;; amdgpu-corpus repo=zjin-lcf/HeCBench kind=compiled arch=gfx1201 opt=O3
	.amdgcn_target "amdgcn-amd-amdhsa--gfx1201"
	.amdhsa_code_object_version 6
	.section	.text._Z11ratt_kernelIfEvPKT_PS0_S0_,"axG",@progbits,_Z11ratt_kernelIfEvPKT_PS0_S0_,comdat
	.protected	_Z11ratt_kernelIfEvPKT_PS0_S0_ ; -- Begin function _Z11ratt_kernelIfEvPKT_PS0_S0_
	.globl	_Z11ratt_kernelIfEvPKT_PS0_S0_
	.p2align	8
	.type	_Z11ratt_kernelIfEvPKT_PS0_S0_,@function
_Z11ratt_kernelIfEvPKT_PS0_S0_:         ; @_Z11ratt_kernelIfEvPKT_PS0_S0_
; %bb.0:
	s_clause 0x3
	s_load_b128 s[4:7], s[0:1], 0x0
	s_load_b32 s2, s[0:1], 0x10
	s_load_b32 s3, s[0:1], 0x18
	;; [unrolled: 1-line block ×3, first 2 shown]
	s_wait_kmcnt 0x0
	s_and_b32 s1, s0, 0xffff
	s_delay_alu instid0(SALU_CYCLE_1) | instskip(SKIP_1) | instid1(VALU_DEP_1)
	v_mad_co_u64_u32 v[0:1], null, ttmp9, s1, v[0:1]
	v_mov_b32_e32 v1, 0
	v_lshlrev_b64_e32 v[4:5], 2, v[0:1]
	s_delay_alu instid0(VALU_DEP_1) | instskip(NEXT) | instid1(VALU_DEP_1)
	v_add_co_u32 v2, vcc_lo, s4, v4
	v_add_co_ci_u32_e64 v3, null, s5, v5, vcc_lo
	s_mov_b32 s4, 0x4381940b
	s_mov_b32 s5, 0xc662728f
	global_load_b32 v2, v[2:3], off
	s_wait_loadcnt 0x0
	v_mul_f32_e32 v3, s2, v2
	s_mov_b32 s2, 0x3ee872b0
	s_delay_alu instid0(VALU_DEP_1) | instskip(SKIP_2) | instid1(VALU_DEP_1)
	v_cmp_gt_f32_e32 vcc_lo, 0x800000, v3
	s_wait_alu 0xfffd
	v_cndmask_b32_e64 v2, 0, 32, vcc_lo
	v_ldexp_f32 v2, v3, v2
	s_delay_alu instid0(VALU_DEP_1) | instskip(NEXT) | instid1(TRANS32_DEP_1)
	v_log_f32_e32 v2, v2
	v_mul_f32_e32 v6, 0x3f317217, v2
	v_cmp_gt_f32_e64 s0, 0x7f800000, |v2|
	s_delay_alu instid0(VALU_DEP_2) | instskip(NEXT) | instid1(VALU_DEP_1)
	v_fma_f32 v6, 0x3f317217, v2, -v6
	v_fmamk_f32 v6, v2, 0x3377d1cf, v6
	s_delay_alu instid0(VALU_DEP_1) | instskip(SKIP_1) | instid1(VALU_DEP_1)
	v_fmac_f32_e32 v6, 0x3f317217, v2
	s_wait_alu 0xf1ff
	v_cndmask_b32_e64 v2, v2, v6, s0
	v_cndmask_b32_e64 v6, 0, 0x41b17218, vcc_lo
	s_mov_b32 s0, 0xc5e2a6e5
	s_delay_alu instid0(VALU_DEP_1) | instskip(SKIP_1) | instid1(VALU_DEP_1)
	v_sub_f32_e32 v2, v2, v6
	v_div_scale_f32 v6, null, v3, v3, 1.0
	v_rcp_f32_e32 v7, v6
	s_delay_alu instid0(TRANS32_DEP_1) | instskip(NEXT) | instid1(VALU_DEP_1)
	v_fma_f32 v8, -v6, v7, 1.0
	v_fmac_f32_e32 v7, v8, v7
	v_div_scale_f32 v8, vcc_lo, 1.0, v3, 1.0
	s_delay_alu instid0(VALU_DEP_1) | instskip(NEXT) | instid1(VALU_DEP_1)
	v_mul_f32_e32 v9, v8, v7
	v_fma_f32 v10, -v6, v9, v8
	s_delay_alu instid0(VALU_DEP_1) | instskip(NEXT) | instid1(VALU_DEP_1)
	v_fmac_f32_e32 v9, v10, v7
	v_fma_f32 v6, -v6, v9, v8
	s_wait_alu 0xfffd
	s_delay_alu instid0(VALU_DEP_1) | instskip(NEXT) | instid1(VALU_DEP_1)
	v_div_fmas_f32 v6, v6, v7, v9
	v_div_fixup_f32 v3, v6, v3, 1.0
	s_wait_alu 0xfffe
	s_delay_alu instid0(VALU_DEP_1) | instskip(SKIP_1) | instid1(VALU_DEP_1)
	v_fmaak_f32 v7, s0, v3, 0x4200330f
	s_mov_b32 s0, 0x402ae148
	v_mul_f32_e32 v8, 0x3fb8aa3b, v7
	s_delay_alu instid0(VALU_DEP_1) | instskip(SKIP_1) | instid1(VALU_DEP_1)
	v_fma_f32 v9, 0x3fb8aa3b, v7, -v8
	v_rndne_f32_e32 v10, v8
	v_dual_fmac_f32 v9, 0x32a5705f, v7 :: v_dual_sub_f32 v8, v8, v10
	s_delay_alu instid0(VALU_DEP_1) | instskip(SKIP_2) | instid1(VALU_DEP_3)
	v_add_f32_e32 v8, v8, v9
	v_cvt_i32_f32_e32 v9, v10
	v_cmp_ngt_f32_e32 vcc_lo, 0xc2ce8ed0, v7
	v_exp_f32_e32 v8, v8
	s_delay_alu instid0(TRANS32_DEP_1) | instskip(SKIP_1) | instid1(VALU_DEP_1)
	v_ldexp_f32 v8, v8, v9
	s_wait_alu 0xfffd
	v_cndmask_b32_e32 v8, 0, v8, vcc_lo
	v_cmp_nlt_f32_e32 vcc_lo, 0x42b17218, v7
	s_wait_alu 0xfffd
	s_delay_alu instid0(VALU_DEP_2)
	v_dual_mul_f32 v6, v3, v3 :: v_dual_cndmask_b32 v7, 0x7f800000, v8
	v_add_co_u32 v4, vcc_lo, s6, v4
	s_wait_alu 0xfffd
	v_add_co_ci_u32_e64 v5, null, s7, v5, vcc_lo
	global_store_b32 v[4:5], v7, off
	s_wait_alu 0xfffe
	v_fmaak_f32 v4, s0, v2, 0x412d1dd0
	s_mul_i32 s0, s3, s1
	s_mov_b32 s1, 0x3fc147ae
	s_mov_b32 s3, 0x3fc00000
	s_wait_alu 0xfffe
	v_add_nc_u32_e32 v0, s0, v0
	v_fmamk_f32 v4, v3, 0xc545d3ba, v4
	s_delay_alu instid0(VALU_DEP_1) | instskip(NEXT) | instid1(VALU_DEP_1)
	v_mul_f32_e32 v5, 0x3fb8aa3b, v4
	v_fma_f32 v7, 0x3fb8aa3b, v4, -v5
	v_rndne_f32_e32 v8, v5
	s_delay_alu instid0(VALU_DEP_2) | instskip(NEXT) | instid1(VALU_DEP_2)
	v_fmac_f32_e32 v7, 0x32a5705f, v4
	v_sub_f32_e32 v5, v5, v8
	s_delay_alu instid0(VALU_DEP_1) | instskip(SKIP_2) | instid1(VALU_DEP_3)
	v_add_f32_e32 v5, v5, v7
	v_cvt_i32_f32_e32 v7, v8
	v_cmp_ngt_f32_e32 vcc_lo, 0xc2ce8ed0, v4
	v_exp_f32_e32 v5, v5
	s_delay_alu instid0(TRANS32_DEP_1) | instskip(SKIP_1) | instid1(VALU_DEP_1)
	v_ldexp_f32 v5, v5, v7
	s_wait_alu 0xfffd
	v_cndmask_b32_e32 v5, 0, v5, vcc_lo
	v_cmp_nlt_f32_e32 vcc_lo, 0x42b17218, v4
	s_wait_alu 0xfffd
	s_delay_alu instid0(VALU_DEP_2) | instskip(SKIP_2) | instid1(VALU_DEP_2)
	v_cndmask_b32_e32 v7, 0x7f800000, v5, vcc_lo
	v_lshlrev_b64_e32 v[4:5], 2, v[0:1]
	v_add_nc_u32_e32 v0, s0, v0
	v_add_co_u32 v4, vcc_lo, s6, v4
	s_wait_alu 0xfffd
	s_delay_alu instid0(VALU_DEP_3) | instskip(SKIP_3) | instid1(VALU_DEP_1)
	v_add_co_ci_u32_e64 v5, null, s7, v5, vcc_lo
	global_store_b32 v[4:5], v7, off
	v_fmaak_f32 v4, s1, v2, 0x419986bc
	s_mov_b32 s1, 0x4019999a
	v_fmamk_f32 v4, v3, 0xc4d7c110, v4
	s_delay_alu instid0(VALU_DEP_1) | instskip(NEXT) | instid1(VALU_DEP_1)
	v_mul_f32_e32 v5, 0x3fb8aa3b, v4
	v_fma_f32 v7, 0x3fb8aa3b, v4, -v5
	v_rndne_f32_e32 v8, v5
	s_delay_alu instid0(VALU_DEP_2) | instskip(NEXT) | instid1(VALU_DEP_2)
	v_fmac_f32_e32 v7, 0x32a5705f, v4
	v_sub_f32_e32 v5, v5, v8
	s_delay_alu instid0(VALU_DEP_1) | instskip(SKIP_2) | instid1(VALU_DEP_3)
	v_add_f32_e32 v5, v5, v7
	v_cvt_i32_f32_e32 v7, v8
	v_cmp_ngt_f32_e32 vcc_lo, 0xc2ce8ed0, v4
	v_exp_f32_e32 v5, v5
	s_delay_alu instid0(TRANS32_DEP_1) | instskip(SKIP_1) | instid1(VALU_DEP_1)
	v_ldexp_f32 v5, v5, v7
	s_wait_alu 0xfffd
	v_cndmask_b32_e32 v5, 0, v5, vcc_lo
	v_cmp_nlt_f32_e32 vcc_lo, 0x42b17218, v4
	s_wait_alu 0xfffd
	s_delay_alu instid0(VALU_DEP_2) | instskip(SKIP_2) | instid1(VALU_DEP_2)
	v_cndmask_b32_e32 v7, 0x7f800000, v5, vcc_lo
	v_lshlrev_b64_e32 v[4:5], 2, v[0:1]
	v_add_nc_u32_e32 v0, s0, v0
	v_add_co_u32 v4, vcc_lo, s6, v4
	s_wait_alu 0xfffd
	s_delay_alu instid0(VALU_DEP_3) | instskip(SKIP_4) | instid1(VALU_DEP_1)
	v_add_co_ci_u32_e64 v5, null, s7, v5, vcc_lo
	global_store_b32 v[4:5], v7, off
	s_wait_alu 0xfffe
	v_fmaak_f32 v4, s1, v2, 0x4127b9fc
	s_mov_b32 s1, 0xbf19999a
	v_fmamk_f32 v4, v3, 0x4484b930, v4
	s_delay_alu instid0(VALU_DEP_1) | instskip(NEXT) | instid1(VALU_DEP_1)
	v_mul_f32_e32 v5, 0x3fb8aa3b, v4
	v_fma_f32 v7, 0x3fb8aa3b, v4, -v5
	v_rndne_f32_e32 v8, v5
	s_delay_alu instid0(VALU_DEP_2) | instskip(NEXT) | instid1(VALU_DEP_2)
	v_fmac_f32_e32 v7, 0x32a5705f, v4
	v_sub_f32_e32 v5, v5, v8
	s_delay_alu instid0(VALU_DEP_1) | instskip(SKIP_2) | instid1(VALU_DEP_3)
	v_add_f32_e32 v5, v5, v7
	v_cvt_i32_f32_e32 v7, v8
	v_cmp_ngt_f32_e32 vcc_lo, 0xc2ce8ed0, v4
	v_exp_f32_e32 v5, v5
	s_delay_alu instid0(TRANS32_DEP_1) | instskip(SKIP_1) | instid1(VALU_DEP_1)
	v_ldexp_f32 v5, v5, v7
	s_wait_alu 0xfffd
	v_cndmask_b32_e32 v5, 0, v5, vcc_lo
	v_cmp_nlt_f32_e32 vcc_lo, 0x42b17218, v4
	s_wait_alu 0xfffd
	s_delay_alu instid0(VALU_DEP_2) | instskip(SKIP_2) | instid1(VALU_DEP_2)
	v_cndmask_b32_e32 v7, 0x7f800000, v5, vcc_lo
	v_lshlrev_b64_e32 v[4:5], 2, v[0:1]
	v_add_nc_u32_e32 v0, s0, v0
	v_add_co_u32 v4, vcc_lo, s6, v4
	s_wait_alu 0xfffd
	s_delay_alu instid0(VALU_DEP_3) | instskip(SKIP_4) | instid1(VALU_DEP_2)
	v_add_co_ci_u32_e64 v5, null, s7, v5, vcc_lo
	global_store_b32 v[4:5], v7, off
	v_mul_f32_e32 v7, 0x5d5e0b6b, v3
	v_lshlrev_b64_e32 v[4:5], 2, v[0:1]
	v_add_nc_u32_e32 v0, s0, v0
	v_add_co_u32 v4, vcc_lo, s6, v4
	s_wait_alu 0xfffd
	s_delay_alu instid0(VALU_DEP_3) | instskip(SKIP_4) | instid1(VALU_DEP_1)
	v_add_co_ci_u32_e64 v5, null, s7, v5, vcc_lo
	global_store_b32 v[4:5], v7, off
	s_wait_alu 0xfffe
	v_fmaak_f32 v4, s1, v2, 0x421c2783
	s_mov_b32 s1, 0xbfa00000
	v_mul_f32_e32 v5, 0x3fb8aa3b, v4
	s_delay_alu instid0(VALU_DEP_1) | instskip(SKIP_1) | instid1(VALU_DEP_1)
	v_fma_f32 v7, 0x3fb8aa3b, v4, -v5
	v_rndne_f32_e32 v8, v5
	v_sub_f32_e32 v5, v5, v8
	s_delay_alu instid0(VALU_DEP_3) | instskip(SKIP_1) | instid1(VALU_DEP_2)
	v_fmac_f32_e32 v7, 0x32a5705f, v4
	v_cmp_ngt_f32_e32 vcc_lo, 0xc2ce8ed0, v4
	v_add_f32_e32 v5, v5, v7
	v_cvt_i32_f32_e32 v7, v8
	s_delay_alu instid0(VALU_DEP_2) | instskip(NEXT) | instid1(TRANS32_DEP_1)
	v_exp_f32_e32 v5, v5
	v_ldexp_f32 v5, v5, v7
	s_wait_alu 0xfffd
	s_delay_alu instid0(VALU_DEP_1) | instskip(SKIP_2) | instid1(VALU_DEP_2)
	v_cndmask_b32_e32 v5, 0, v5, vcc_lo
	v_cmp_nlt_f32_e32 vcc_lo, 0x42b17218, v4
	s_wait_alu 0xfffd
	v_cndmask_b32_e32 v7, 0x7f800000, v5, vcc_lo
	v_lshlrev_b64_e32 v[4:5], 2, v[0:1]
	v_add_nc_u32_e32 v0, s0, v0
	s_delay_alu instid0(VALU_DEP_2) | instskip(SKIP_1) | instid1(VALU_DEP_3)
	v_add_co_u32 v4, vcc_lo, s6, v4
	s_wait_alu 0xfffd
	v_add_co_ci_u32_e64 v5, null, s7, v5, vcc_lo
	global_store_b32 v[4:5], v7, off
	s_wait_alu 0xfffe
	v_fmaak_f32 v4, s1, v2, 0x423629db
	s_mov_b32 s1, 0xbf5c28f6
	s_delay_alu instid0(VALU_DEP_1) | instskip(NEXT) | instid1(VALU_DEP_1)
	v_mul_f32_e32 v5, 0x3fb8aa3b, v4
	v_fma_f32 v7, 0x3fb8aa3b, v4, -v5
	v_rndne_f32_e32 v8, v5
	s_delay_alu instid0(VALU_DEP_1) | instskip(NEXT) | instid1(VALU_DEP_3)
	v_sub_f32_e32 v5, v5, v8
	v_fmac_f32_e32 v7, 0x32a5705f, v4
	v_cmp_ngt_f32_e32 vcc_lo, 0xc2ce8ed0, v4
	s_delay_alu instid0(VALU_DEP_2) | instskip(SKIP_1) | instid1(VALU_DEP_2)
	v_add_f32_e32 v5, v5, v7
	v_cvt_i32_f32_e32 v7, v8
	v_exp_f32_e32 v5, v5
	s_delay_alu instid0(TRANS32_DEP_1) | instskip(SKIP_1) | instid1(VALU_DEP_1)
	v_ldexp_f32 v5, v5, v7
	s_wait_alu 0xfffd
	v_cndmask_b32_e32 v5, 0, v5, vcc_lo
	v_cmp_nlt_f32_e32 vcc_lo, 0x42b17218, v4
	s_wait_alu 0xfffd
	s_delay_alu instid0(VALU_DEP_2) | instskip(SKIP_2) | instid1(VALU_DEP_2)
	v_cndmask_b32_e32 v7, 0x7f800000, v5, vcc_lo
	v_lshlrev_b64_e32 v[4:5], 2, v[0:1]
	v_add_nc_u32_e32 v0, s0, v0
	v_add_co_u32 v4, vcc_lo, s6, v4
	s_wait_alu 0xfffd
	s_delay_alu instid0(VALU_DEP_3) | instskip(SKIP_4) | instid1(VALU_DEP_3)
	v_add_co_ci_u32_e64 v5, null, s7, v5, vcc_lo
	global_store_b32 v[4:5], v7, off
	v_lshlrev_b64_e32 v[4:5], 2, v[0:1]
	v_dual_mul_f32 v7, 0x61ee8644, v6 :: v_dual_add_nc_u32 v0, s0, v0
	v_mul_f32_e32 v6, 0x649513eb, v6
	v_add_co_u32 v4, vcc_lo, s6, v4
	s_wait_alu 0xfffd
	s_delay_alu instid0(VALU_DEP_4) | instskip(SKIP_3) | instid1(VALU_DEP_2)
	v_add_co_ci_u32_e64 v5, null, s7, v5, vcc_lo
	global_store_b32 v[4:5], v7, off
	v_lshlrev_b64_e32 v[4:5], 2, v[0:1]
	v_add_nc_u32_e32 v0, s0, v0
	v_add_co_u32 v4, vcc_lo, s6, v4
	s_wait_alu 0xfffd
	s_delay_alu instid0(VALU_DEP_3) | instskip(SKIP_4) | instid1(VALU_DEP_3)
	v_add_co_ci_u32_e64 v5, null, s7, v5, vcc_lo
	global_store_b32 v[4:5], v6, off
	v_lshlrev_b64_e32 v[4:5], 2, v[0:1]
	v_mul_f32_e32 v6, 0x5cde0b6b, v3
	v_add_nc_u32_e32 v0, s0, v0
	v_add_co_u32 v4, vcc_lo, s6, v4
	s_wait_alu 0xfffd
	s_delay_alu instid0(VALU_DEP_4) | instskip(SKIP_3) | instid1(VALU_DEP_2)
	v_add_co_ci_u32_e64 v5, null, s7, v5, vcc_lo
	global_store_b32 v[4:5], v6, off
	v_lshlrev_b64_e32 v[4:5], 2, v[0:1]
	v_mul_f32_e32 v6, 0x5bd529af, v3
	v_add_co_u32 v4, vcc_lo, s6, v4
	s_wait_alu 0xfffd
	s_delay_alu instid0(VALU_DEP_3) | instskip(SKIP_4) | instid1(VALU_DEP_1)
	v_add_co_ci_u32_e64 v5, null, s7, v5, vcc_lo
	global_store_b32 v[4:5], v6, off
	s_wait_alu 0xfffe
	v_fmaak_f32 v4, s1, v2, 0x4229e794
	s_mov_b32 s1, 0xbfdc28f6
	v_mul_f32_e32 v5, 0x3fb8aa3b, v4
	v_cmp_ngt_f32_e32 vcc_lo, 0xc2ce8ed0, v4
	s_delay_alu instid0(VALU_DEP_2) | instskip(SKIP_1) | instid1(VALU_DEP_1)
	v_fma_f32 v6, 0x3fb8aa3b, v4, -v5
	v_rndne_f32_e32 v7, v5
	v_dual_fmac_f32 v6, 0x32a5705f, v4 :: v_dual_sub_f32 v5, v5, v7
	s_delay_alu instid0(VALU_DEP_1) | instskip(SKIP_2) | instid1(VALU_DEP_3)
	v_add_f32_e32 v5, v5, v6
	v_cvt_i32_f32_e32 v6, v7
	v_add_nc_u32_e32 v0, s0, v0
	v_exp_f32_e32 v5, v5
	s_delay_alu instid0(TRANS32_DEP_1) | instskip(SKIP_1) | instid1(VALU_DEP_1)
	v_ldexp_f32 v5, v5, v6
	s_wait_alu 0xfffd
	v_cndmask_b32_e32 v5, 0, v5, vcc_lo
	v_cmp_nlt_f32_e32 vcc_lo, 0x42b17218, v4
	s_wait_alu 0xfffd
	s_delay_alu instid0(VALU_DEP_2) | instskip(SKIP_1) | instid1(VALU_DEP_1)
	v_cndmask_b32_e32 v6, 0x7f800000, v5, vcc_lo
	v_lshlrev_b64_e32 v[4:5], 2, v[0:1]
	v_add_co_u32 v4, vcc_lo, s6, v4
	s_wait_alu 0xfffd
	s_delay_alu instid0(VALU_DEP_2) | instskip(SKIP_4) | instid1(VALU_DEP_1)
	v_add_co_ci_u32_e64 v5, null, s7, v5, vcc_lo
	global_store_b32 v[4:5], v6, off
	s_wait_alu 0xfffe
	v_fmaak_f32 v4, s1, v2, 0x423c99ec
	s_mov_b32 s1, 0xbf428f5c
	v_mul_f32_e32 v5, 0x3fb8aa3b, v4
	v_cmp_ngt_f32_e32 vcc_lo, 0xc2ce8ed0, v4
	s_delay_alu instid0(VALU_DEP_2) | instskip(SKIP_1) | instid1(VALU_DEP_1)
	v_fma_f32 v6, 0x3fb8aa3b, v4, -v5
	v_rndne_f32_e32 v7, v5
	v_dual_fmac_f32 v6, 0x32a5705f, v4 :: v_dual_sub_f32 v5, v5, v7
	s_delay_alu instid0(VALU_DEP_1) | instskip(SKIP_2) | instid1(VALU_DEP_3)
	v_add_f32_e32 v5, v5, v6
	v_cvt_i32_f32_e32 v6, v7
	v_add_nc_u32_e32 v0, s0, v0
	v_exp_f32_e32 v5, v5
	s_delay_alu instid0(TRANS32_DEP_1) | instskip(SKIP_1) | instid1(VALU_DEP_1)
	v_ldexp_f32 v5, v5, v6
	s_wait_alu 0xfffd
	v_cndmask_b32_e32 v5, 0, v5, vcc_lo
	v_cmp_nlt_f32_e32 vcc_lo, 0x42b17218, v4
	s_wait_alu 0xfffd
	s_delay_alu instid0(VALU_DEP_2) | instskip(SKIP_1) | instid1(VALU_DEP_1)
	v_cndmask_b32_e32 v6, 0x7f800000, v5, vcc_lo
	v_lshlrev_b64_e32 v[4:5], 2, v[0:1]
	v_add_co_u32 v4, vcc_lo, s6, v4
	s_wait_alu 0xfffd
	s_delay_alu instid0(VALU_DEP_2) | instskip(SKIP_4) | instid1(VALU_DEP_1)
	;; [unrolled: 28-line block ×5, first 2 shown]
	v_add_co_ci_u32_e64 v5, null, s7, v5, vcc_lo
	global_store_b32 v[4:5], v6, off
	s_wait_alu 0xfffe
	v_fmaak_f32 v4, s1, v3, 0x41e8140b
	s_mov_b32 s1, 0xc3ce519f
	v_mul_f32_e32 v5, 0x3fb8aa3b, v4
	v_cmp_ngt_f32_e32 vcc_lo, 0xc2ce8ed0, v4
	s_delay_alu instid0(VALU_DEP_2) | instskip(SKIP_1) | instid1(VALU_DEP_1)
	v_fma_f32 v6, 0x3fb8aa3b, v4, -v5
	v_rndne_f32_e32 v7, v5
	v_dual_fmac_f32 v6, 0x32a5705f, v4 :: v_dual_sub_f32 v5, v5, v7
	s_delay_alu instid0(VALU_DEP_1) | instskip(SKIP_2) | instid1(VALU_DEP_3)
	v_add_f32_e32 v5, v5, v6
	v_cvt_i32_f32_e32 v6, v7
	v_add_nc_u32_e32 v0, s0, v0
	v_exp_f32_e32 v5, v5
	s_delay_alu instid0(TRANS32_DEP_1) | instskip(SKIP_1) | instid1(VALU_DEP_1)
	v_ldexp_f32 v5, v5, v6
	s_wait_alu 0xfffd
	v_cndmask_b32_e32 v5, 0, v5, vcc_lo
	v_cmp_nlt_f32_e32 vcc_lo, 0x42b17218, v4
	s_wait_alu 0xfffd
	s_delay_alu instid0(VALU_DEP_2) | instskip(SKIP_2) | instid1(VALU_DEP_2)
	v_cndmask_b32_e32 v6, 0x7f800000, v5, vcc_lo
	v_lshlrev_b64_e32 v[4:5], 2, v[0:1]
	v_add_nc_u32_e32 v0, s0, v0
	v_add_co_u32 v4, vcc_lo, s6, v4
	s_wait_alu 0xfffd
	s_delay_alu instid0(VALU_DEP_3) | instskip(SKIP_4) | instid1(VALU_DEP_1)
	v_add_co_ci_u32_e64 v5, null, s7, v5, vcc_lo
	global_store_b32 v[4:5], v6, off
	s_wait_alu 0xfffe
	v_fmaak_f32 v4, s1, v3, 0x41f385fd
	s_mov_b32 s1, 0xc316f70a
	v_mul_f32_e32 v5, 0x3fb8aa3b, v4
	v_cmp_ngt_f32_e32 vcc_lo, 0xc2ce8ed0, v4
	s_delay_alu instid0(VALU_DEP_2) | instskip(SKIP_1) | instid1(VALU_DEP_1)
	v_fma_f32 v6, 0x3fb8aa3b, v4, -v5
	v_rndne_f32_e32 v7, v5
	v_dual_fmac_f32 v6, 0x32a5705f, v4 :: v_dual_sub_f32 v5, v5, v7
	s_delay_alu instid0(VALU_DEP_1) | instskip(SKIP_1) | instid1(VALU_DEP_2)
	v_add_f32_e32 v5, v5, v6
	v_cvt_i32_f32_e32 v6, v7
	v_exp_f32_e32 v5, v5
	s_delay_alu instid0(TRANS32_DEP_1) | instskip(SKIP_1) | instid1(VALU_DEP_1)
	v_ldexp_f32 v5, v5, v6
	s_wait_alu 0xfffd
	v_cndmask_b32_e32 v5, 0, v5, vcc_lo
	v_cmp_nlt_f32_e32 vcc_lo, 0x42b17218, v4
	s_wait_alu 0xfffd
	s_delay_alu instid0(VALU_DEP_2) | instskip(SKIP_2) | instid1(VALU_DEP_2)
	v_cndmask_b32_e32 v6, 0x7f800000, v5, vcc_lo
	v_lshlrev_b64_e32 v[4:5], 2, v[0:1]
	v_add_nc_u32_e32 v0, s0, v0
	v_add_co_u32 v4, vcc_lo, s6, v4
	s_wait_alu 0xfffd
	s_delay_alu instid0(VALU_DEP_3) | instskip(SKIP_4) | instid1(VALU_DEP_1)
	v_add_co_ci_u32_e64 v5, null, s7, v5, vcc_lo
	global_store_b32 v[4:5], v6, off
	s_wait_alu 0xfffe
	v_fmaak_f32 v4, s1, v3, 0x41ff2086
	s_mov_b32 s1, 0x437b9bbc
	v_mul_f32_e32 v5, 0x3fb8aa3b, v4
	v_cmp_ngt_f32_e32 vcc_lo, 0xc2ce8ed0, v4
	s_delay_alu instid0(VALU_DEP_2) | instskip(SKIP_1) | instid1(VALU_DEP_1)
	v_fma_f32 v6, 0x3fb8aa3b, v4, -v5
	v_rndne_f32_e32 v7, v5
	v_dual_fmac_f32 v6, 0x32a5705f, v4 :: v_dual_sub_f32 v5, v5, v7
	s_delay_alu instid0(VALU_DEP_1) | instskip(SKIP_1) | instid1(VALU_DEP_2)
	v_add_f32_e32 v5, v5, v6
	v_cvt_i32_f32_e32 v6, v7
	v_exp_f32_e32 v5, v5
	s_delay_alu instid0(TRANS32_DEP_1) | instskip(SKIP_1) | instid1(VALU_DEP_1)
	v_ldexp_f32 v5, v5, v6
	s_wait_alu 0xfffd
	v_cndmask_b32_e32 v5, 0, v5, vcc_lo
	v_cmp_nlt_f32_e32 vcc_lo, 0x42b17218, v4
	s_wait_alu 0xfffd
	s_delay_alu instid0(VALU_DEP_2) | instskip(SKIP_2) | instid1(VALU_DEP_2)
	v_cndmask_b32_e32 v6, 0x7f800000, v5, vcc_lo
	v_lshlrev_b64_e32 v[4:5], 2, v[0:1]
	v_add_nc_u32_e32 v0, s0, v0
	v_add_co_u32 v4, vcc_lo, s6, v4
	s_wait_alu 0xfffd
	s_delay_alu instid0(VALU_DEP_3) | instskip(SKIP_3) | instid1(VALU_DEP_2)
	v_add_co_ci_u32_e64 v5, null, s7, v5, vcc_lo
	global_store_b32 v[4:5], v6, off
	v_lshlrev_b64_e32 v[4:5], 2, v[0:1]
	v_add_nc_u32_e32 v0, s0, v0
	v_add_co_u32 v6, vcc_lo, s6, v4
	s_wait_alu 0xfffd
	s_delay_alu instid0(VALU_DEP_3)
	v_add_co_ci_u32_e64 v7, null, s7, v5, vcc_lo
	v_mov_b32_e32 v5, 0x559184e7
	s_wait_alu 0xfffe
	v_fmaak_f32 v4, s1, v3, 0x41fbbf1f
	s_mov_b32 s1, 0x444d0f90
	global_store_b32 v[6:7], v5, off
	v_mul_f32_e32 v6, 0x3fb8aa3b, v4
	v_cmp_ngt_f32_e32 vcc_lo, 0xc2ce8ed0, v4
	s_delay_alu instid0(VALU_DEP_2) | instskip(SKIP_1) | instid1(VALU_DEP_2)
	v_fma_f32 v7, 0x3fb8aa3b, v4, -v6
	v_rndne_f32_e32 v8, v6
	v_fmac_f32_e32 v7, 0x32a5705f, v4
	s_delay_alu instid0(VALU_DEP_2) | instskip(NEXT) | instid1(VALU_DEP_1)
	v_sub_f32_e32 v6, v6, v8
	v_add_f32_e32 v6, v6, v7
	v_cvt_i32_f32_e32 v7, v8
	s_delay_alu instid0(VALU_DEP_2) | instskip(NEXT) | instid1(TRANS32_DEP_1)
	v_exp_f32_e32 v6, v6
	v_ldexp_f32 v6, v6, v7
	s_wait_alu 0xfffd
	s_delay_alu instid0(VALU_DEP_1) | instskip(SKIP_2) | instid1(VALU_DEP_2)
	v_cndmask_b32_e32 v6, 0, v6, vcc_lo
	v_cmp_nlt_f32_e32 vcc_lo, 0x42b17218, v4
	s_wait_alu 0xfffd
	v_cndmask_b32_e32 v4, 0x7f800000, v6, vcc_lo
	v_lshlrev_b64_e32 v[6:7], 2, v[0:1]
	v_add_nc_u32_e32 v0, s0, v0
	s_delay_alu instid0(VALU_DEP_2) | instskip(SKIP_1) | instid1(VALU_DEP_3)
	v_add_co_u32 v6, vcc_lo, s6, v6
	s_wait_alu 0xfffd
	v_add_co_ci_u32_e64 v7, null, s7, v7, vcc_lo
	global_store_b32 v[6:7], v4, off
	s_wait_alu 0xfffe
	v_fmaak_f32 v4, s1, v3, 0x41ccb9f6
	s_mov_b32 s1, 0xc5bcb4cd
	s_delay_alu instid0(VALU_DEP_1) | instskip(SKIP_1) | instid1(VALU_DEP_2)
	v_mul_f32_e32 v6, 0x3fb8aa3b, v4
	v_cmp_ngt_f32_e32 vcc_lo, 0xc2ce8ed0, v4
	v_fma_f32 v7, 0x3fb8aa3b, v4, -v6
	v_rndne_f32_e32 v8, v6
	s_delay_alu instid0(VALU_DEP_2) | instskip(NEXT) | instid1(VALU_DEP_2)
	v_fmac_f32_e32 v7, 0x32a5705f, v4
	v_sub_f32_e32 v6, v6, v8
	s_delay_alu instid0(VALU_DEP_1) | instskip(SKIP_1) | instid1(VALU_DEP_2)
	v_add_f32_e32 v6, v6, v7
	v_cvt_i32_f32_e32 v7, v8
	v_exp_f32_e32 v6, v6
	s_delay_alu instid0(TRANS32_DEP_1) | instskip(SKIP_1) | instid1(VALU_DEP_1)
	v_ldexp_f32 v6, v6, v7
	s_wait_alu 0xfffd
	v_cndmask_b32_e32 v6, 0, v6, vcc_lo
	v_cmp_nlt_f32_e32 vcc_lo, 0x42b17218, v4
	s_wait_alu 0xfffd
	s_delay_alu instid0(VALU_DEP_2) | instskip(SKIP_2) | instid1(VALU_DEP_2)
	v_cndmask_b32_e32 v4, 0x7f800000, v6, vcc_lo
	v_lshlrev_b64_e32 v[6:7], 2, v[0:1]
	v_add_nc_u32_e32 v0, s0, v0
	v_add_co_u32 v6, vcc_lo, s6, v6
	s_wait_alu 0xfffd
	s_delay_alu instid0(VALU_DEP_3) | instskip(SKIP_4) | instid1(VALU_DEP_1)
	v_add_co_ci_u32_e64 v7, null, s7, v7, vcc_lo
	global_store_b32 v[6:7], v4, off
	s_wait_alu 0xfffe
	v_fmaak_f32 v4, s1, v3, 0x4206af63
	s_mov_b32 s1, 0xc4e2728f
	v_mul_f32_e32 v6, 0x3fb8aa3b, v4
	v_cmp_ngt_f32_e32 vcc_lo, 0xc2ce8ed0, v4
	s_delay_alu instid0(VALU_DEP_2) | instskip(SKIP_1) | instid1(VALU_DEP_2)
	v_fma_f32 v7, 0x3fb8aa3b, v4, -v6
	v_rndne_f32_e32 v8, v6
	v_fmac_f32_e32 v7, 0x32a5705f, v4
	s_delay_alu instid0(VALU_DEP_2) | instskip(NEXT) | instid1(VALU_DEP_1)
	v_sub_f32_e32 v6, v6, v8
	v_add_f32_e32 v6, v6, v7
	v_cvt_i32_f32_e32 v7, v8
	s_delay_alu instid0(VALU_DEP_2) | instskip(NEXT) | instid1(TRANS32_DEP_1)
	v_exp_f32_e32 v6, v6
	v_ldexp_f32 v6, v6, v7
	s_wait_alu 0xfffd
	s_delay_alu instid0(VALU_DEP_1) | instskip(SKIP_2) | instid1(VALU_DEP_2)
	v_cndmask_b32_e32 v6, 0, v6, vcc_lo
	v_cmp_nlt_f32_e32 vcc_lo, 0x42b17218, v4
	s_wait_alu 0xfffd
	v_cndmask_b32_e32 v4, 0x7f800000, v6, vcc_lo
	v_lshlrev_b64_e32 v[6:7], 2, v[0:1]
	v_add_nc_u32_e32 v0, s0, v0
	s_delay_alu instid0(VALU_DEP_2) | instskip(SKIP_1) | instid1(VALU_DEP_3)
	v_add_co_u32 v6, vcc_lo, s6, v6
	s_wait_alu 0xfffd
	v_add_co_ci_u32_e64 v7, null, s7, v7, vcc_lo
	global_store_b32 v[6:7], v4, off
	v_fmaak_f32 v4, 2.0, v2, 0x41827840
	s_delay_alu instid0(VALU_DEP_1) | instskip(NEXT) | instid1(VALU_DEP_1)
	v_dual_add_f32 v7, v2, v2 :: v_dual_fmamk_f32 v4, v3, 0xc5238ba0, v4
	v_fmamk_f32 v7, v3, 0xc46f0726, v7
	s_delay_alu instid0(VALU_DEP_2) | instskip(SKIP_1) | instid1(VALU_DEP_2)
	v_mul_f32_e32 v6, 0x3fb8aa3b, v4
	v_cmp_ngt_f32_e32 vcc_lo, 0xc2ce8ed0, v4
	v_fma_f32 v8, 0x3fb8aa3b, v4, -v6
	v_rndne_f32_e32 v9, v6
	s_delay_alu instid0(VALU_DEP_2) | instskip(NEXT) | instid1(VALU_DEP_2)
	v_fmac_f32_e32 v8, 0x32a5705f, v4
	v_sub_f32_e32 v6, v6, v9
	s_delay_alu instid0(VALU_DEP_1) | instskip(SKIP_1) | instid1(VALU_DEP_2)
	v_add_f32_e32 v6, v6, v8
	v_cvt_i32_f32_e32 v8, v9
	v_exp_f32_e32 v6, v6
	s_delay_alu instid0(TRANS32_DEP_1) | instskip(SKIP_3) | instid1(VALU_DEP_3)
	v_ldexp_f32 v6, v6, v8
	v_lshlrev_b64_e32 v[8:9], 2, v[0:1]
	v_add_nc_u32_e32 v0, s0, v0
	s_wait_alu 0xfffd
	v_cndmask_b32_e32 v6, 0, v6, vcc_lo
	v_cmp_nlt_f32_e32 vcc_lo, 0x42b17218, v4
	s_wait_alu 0xfffd
	s_delay_alu instid0(VALU_DEP_2)
	v_cndmask_b32_e32 v4, 0x7f800000, v6, vcc_lo
	v_add_co_u32 v8, vcc_lo, s6, v8
	s_wait_alu 0xfffd
	v_add_co_ci_u32_e64 v9, null, s7, v9, vcc_lo
	global_store_b32 v[8:9], v4, off
	s_wait_alu 0xfffe
	v_fmaak_f32 v4, s1, v3, 0x41ef7807
	s_mov_b32 s1, 0xc3210782
	s_delay_alu instid0(VALU_DEP_1) | instskip(SKIP_1) | instid1(VALU_DEP_2)
	v_mul_f32_e32 v6, 0x3fb8aa3b, v4
	v_cmp_ngt_f32_e32 vcc_lo, 0xc2ce8ed0, v4
	v_fma_f32 v8, 0x3fb8aa3b, v4, -v6
	v_rndne_f32_e32 v9, v6
	s_delay_alu instid0(VALU_DEP_2) | instskip(NEXT) | instid1(VALU_DEP_2)
	v_fmac_f32_e32 v8, 0x32a5705f, v4
	v_sub_f32_e32 v6, v6, v9
	s_delay_alu instid0(VALU_DEP_1) | instskip(SKIP_1) | instid1(VALU_DEP_2)
	v_add_f32_e32 v6, v6, v8
	v_cvt_i32_f32_e32 v8, v9
	v_exp_f32_e32 v6, v6
	s_delay_alu instid0(TRANS32_DEP_1) | instskip(SKIP_3) | instid1(VALU_DEP_3)
	v_ldexp_f32 v6, v6, v8
	v_lshlrev_b64_e32 v[8:9], 2, v[0:1]
	v_add_nc_u32_e32 v0, s0, v0
	s_wait_alu 0xfffd
	v_cndmask_b32_e32 v6, 0, v6, vcc_lo
	v_cmp_nlt_f32_e32 vcc_lo, 0x42b17218, v4
	s_wait_alu 0xfffd
	s_delay_alu instid0(VALU_DEP_2)
	v_cndmask_b32_e32 v4, 0x7f800000, v6, vcc_lo
	v_add_co_u32 v8, vcc_lo, s6, v8
	s_wait_alu 0xfffd
	v_add_co_ci_u32_e64 v9, null, s7, v9, vcc_lo
	global_store_b32 v[8:9], v4, off
	v_fmaak_f32 v4, 2.0, v2, 0x4180a4a6
	s_delay_alu instid0(VALU_DEP_1) | instskip(NEXT) | instid1(VALU_DEP_1)
	v_fmac_f32_e32 v4, 0xc4fb9bbc, v3
	v_mul_f32_e32 v6, 0x3fb8aa3b, v4
	v_cmp_ngt_f32_e32 vcc_lo, 0xc2ce8ed0, v4
	s_delay_alu instid0(VALU_DEP_2) | instskip(SKIP_1) | instid1(VALU_DEP_2)
	v_fma_f32 v8, 0x3fb8aa3b, v4, -v6
	v_rndne_f32_e32 v9, v6
	v_fmac_f32_e32 v8, 0x32a5705f, v4
	s_delay_alu instid0(VALU_DEP_2) | instskip(NEXT) | instid1(VALU_DEP_1)
	v_sub_f32_e32 v6, v6, v9
	v_add_f32_e32 v6, v6, v8
	v_cvt_i32_f32_e32 v8, v9
	s_delay_alu instid0(VALU_DEP_2) | instskip(NEXT) | instid1(TRANS32_DEP_1)
	v_exp_f32_e32 v6, v6
	v_ldexp_f32 v6, v6, v8
	v_lshlrev_b64_e32 v[8:9], 2, v[0:1]
	v_add_nc_u32_e32 v0, s0, v0
	s_wait_alu 0xfffd
	s_delay_alu instid0(VALU_DEP_3) | instskip(SKIP_2) | instid1(VALU_DEP_2)
	v_cndmask_b32_e32 v6, 0, v6, vcc_lo
	v_cmp_nlt_f32_e32 vcc_lo, 0x42b17218, v4
	s_wait_alu 0xfffd
	v_cndmask_b32_e32 v4, 0x7f800000, v6, vcc_lo
	v_add_co_u32 v8, vcc_lo, s6, v8
	s_wait_alu 0xfffd
	v_add_co_ci_u32_e64 v9, null, s7, v9, vcc_lo
	global_store_b32 v[8:9], v4, off
	s_wait_alu 0xfffe
	v_fmaak_f32 v4, s1, v3, 0x41e1866d
	s_mov_b32 s1, 0xc5965603
	s_delay_alu instid0(VALU_DEP_1) | instskip(SKIP_1) | instid1(VALU_DEP_2)
	v_mul_f32_e32 v6, 0x3fb8aa3b, v4
	v_cmp_ngt_f32_e32 vcc_lo, 0xc2ce8ed0, v4
	v_fma_f32 v8, 0x3fb8aa3b, v4, -v6
	v_rndne_f32_e32 v9, v6
	s_delay_alu instid0(VALU_DEP_2) | instskip(NEXT) | instid1(VALU_DEP_2)
	v_fmac_f32_e32 v8, 0x32a5705f, v4
	v_sub_f32_e32 v6, v6, v9
	s_delay_alu instid0(VALU_DEP_1) | instskip(SKIP_1) | instid1(VALU_DEP_2)
	v_add_f32_e32 v6, v6, v8
	v_cvt_i32_f32_e32 v8, v9
	v_exp_f32_e32 v6, v6
	s_delay_alu instid0(TRANS32_DEP_1) | instskip(SKIP_3) | instid1(VALU_DEP_3)
	v_ldexp_f32 v6, v6, v8
	v_lshlrev_b64_e32 v[8:9], 2, v[0:1]
	v_add_nc_u32_e32 v0, s0, v0
	s_wait_alu 0xfffd
	v_cndmask_b32_e32 v6, 0, v6, vcc_lo
	v_cmp_nlt_f32_e32 vcc_lo, 0x42b17218, v4
	s_wait_alu 0xfffd
	s_delay_alu instid0(VALU_DEP_2)
	v_cndmask_b32_e32 v4, 0x7f800000, v6, vcc_lo
	v_add_co_u32 v8, vcc_lo, s6, v8
	s_wait_alu 0xfffd
	v_add_co_ci_u32_e64 v9, null, s7, v9, vcc_lo
	global_store_b32 v[8:9], v4, off
	s_wait_alu 0xfffe
	v_fmaak_f32 v4, s1, v3, 0x4207f9e8
	s_mov_b32 s1, 0xc4bcb4cd
	s_delay_alu instid0(VALU_DEP_1) | instskip(SKIP_1) | instid1(VALU_DEP_2)
	v_mul_f32_e32 v6, 0x3fb8aa3b, v4
	v_cmp_ngt_f32_e32 vcc_lo, 0xc2ce8ed0, v4
	v_fma_f32 v8, 0x3fb8aa3b, v4, -v6
	v_rndne_f32_e32 v9, v6
	s_delay_alu instid0(VALU_DEP_2) | instskip(NEXT) | instid1(VALU_DEP_2)
	v_fmac_f32_e32 v8, 0x32a5705f, v4
	v_sub_f32_e32 v6, v6, v9
	s_delay_alu instid0(VALU_DEP_1) | instskip(SKIP_1) | instid1(VALU_DEP_2)
	v_add_f32_e32 v6, v6, v8
	v_cvt_i32_f32_e32 v8, v9
	v_exp_f32_e32 v6, v6
	s_delay_alu instid0(TRANS32_DEP_1) | instskip(SKIP_3) | instid1(VALU_DEP_3)
	v_ldexp_f32 v6, v6, v8
	v_lshlrev_b64_e32 v[8:9], 2, v[0:1]
	v_add_nc_u32_e32 v0, s0, v0
	s_wait_alu 0xfffd
	v_cndmask_b32_e32 v6, 0, v6, vcc_lo
	v_cmp_nlt_f32_e32 vcc_lo, 0x42b17218, v4
	s_wait_alu 0xfffd
	s_delay_alu instid0(VALU_DEP_2)
	;; [unrolled: 29-line block ×3, first 2 shown]
	v_cndmask_b32_e32 v4, 0x7f800000, v6, vcc_lo
	v_add_co_u32 v8, vcc_lo, s6, v8
	s_wait_alu 0xfffd
	v_add_co_ci_u32_e64 v9, null, s7, v9, vcc_lo
	global_store_b32 v[8:9], v4, off
	s_wait_alu 0xfffe
	v_fmaak_f32 v4, s1, v2, 0x418d6d3f
	s_mov_b32 s1, 0xc6bbeb83
	s_delay_alu instid0(VALU_DEP_1) | instskip(NEXT) | instid1(VALU_DEP_1)
	v_fmamk_f32 v4, v3, 0xc20ce692, v4
	v_mul_f32_e32 v6, 0x3fb8aa3b, v4
	v_cmp_ngt_f32_e32 vcc_lo, 0xc2ce8ed0, v4
	s_delay_alu instid0(VALU_DEP_2) | instskip(SKIP_1) | instid1(VALU_DEP_2)
	v_fma_f32 v8, 0x3fb8aa3b, v4, -v6
	v_rndne_f32_e32 v9, v6
	v_fmac_f32_e32 v8, 0x32a5705f, v4
	s_delay_alu instid0(VALU_DEP_2) | instskip(NEXT) | instid1(VALU_DEP_1)
	v_sub_f32_e32 v6, v6, v9
	v_add_f32_e32 v6, v6, v8
	v_cvt_i32_f32_e32 v8, v9
	s_delay_alu instid0(VALU_DEP_2) | instskip(NEXT) | instid1(TRANS32_DEP_1)
	v_exp_f32_e32 v6, v6
	v_ldexp_f32 v6, v6, v8
	v_lshlrev_b64_e32 v[8:9], 2, v[0:1]
	v_add_nc_u32_e32 v0, s0, v0
	s_wait_alu 0xfffd
	s_delay_alu instid0(VALU_DEP_3) | instskip(SKIP_2) | instid1(VALU_DEP_2)
	v_cndmask_b32_e32 v6, 0, v6, vcc_lo
	v_cmp_nlt_f32_e32 vcc_lo, 0x42b17218, v4
	s_wait_alu 0xfffd
	v_cndmask_b32_e32 v4, 0x7f800000, v6, vcc_lo
	v_add_co_u32 v8, vcc_lo, s6, v8
	s_wait_alu 0xfffd
	v_add_co_ci_u32_e64 v9, null, s7, v9, vcc_lo
	global_store_b32 v[8:9], v4, off
	v_fmaak_f32 v4, s3, v2, 0x418c9d1a
	s_delay_alu instid0(VALU_DEP_1) | instskip(NEXT) | instid1(VALU_DEP_1)
	v_fmamk_f32 v4, v3, 0xc71c780c, v4
	v_mul_f32_e32 v6, 0x3fb8aa3b, v4
	v_cmp_ngt_f32_e32 vcc_lo, 0xc2ce8ed0, v4
	s_delay_alu instid0(VALU_DEP_2) | instskip(SKIP_1) | instid1(VALU_DEP_2)
	v_fma_f32 v8, 0x3fb8aa3b, v4, -v6
	v_rndne_f32_e32 v9, v6
	v_fmac_f32_e32 v8, 0x32a5705f, v4
	s_delay_alu instid0(VALU_DEP_2) | instskip(NEXT) | instid1(VALU_DEP_1)
	v_sub_f32_e32 v6, v6, v9
	v_add_f32_e32 v6, v6, v8
	v_cvt_i32_f32_e32 v8, v9
	s_delay_alu instid0(VALU_DEP_2) | instskip(NEXT) | instid1(TRANS32_DEP_1)
	v_exp_f32_e32 v6, v6
	v_ldexp_f32 v6, v6, v8
	v_lshlrev_b64_e32 v[8:9], 2, v[0:1]
	v_add_nc_u32_e32 v0, s0, v0
	s_wait_alu 0xfffd
	s_delay_alu instid0(VALU_DEP_3) | instskip(SKIP_2) | instid1(VALU_DEP_2)
	v_cndmask_b32_e32 v6, 0, v6, vcc_lo
	v_cmp_nlt_f32_e32 vcc_lo, 0x42b17218, v4
	s_wait_alu 0xfffd
	v_cndmask_b32_e32 v4, 0x7f800000, v6, vcc_lo
	v_add_co_u32 v8, vcc_lo, s6, v8
	s_wait_alu 0xfffd
	v_add_co_ci_u32_e64 v9, null, s7, v9, vcc_lo
	global_store_b32 v[8:9], v4, off
	s_wait_alu 0xfffe
	v_fmaak_f32 v4, s1, v3, 0x41e460e5
	s_mov_b32 s1, 0xc6398fa7
	s_delay_alu instid0(VALU_DEP_1) | instskip(SKIP_1) | instid1(VALU_DEP_2)
	v_mul_f32_e32 v6, 0x3fb8aa3b, v4
	v_cmp_ngt_f32_e32 vcc_lo, 0xc2ce8ed0, v4
	v_fma_f32 v8, 0x3fb8aa3b, v4, -v6
	v_rndne_f32_e32 v9, v6
	s_delay_alu instid0(VALU_DEP_2) | instskip(NEXT) | instid1(VALU_DEP_2)
	v_fmac_f32_e32 v8, 0x32a5705f, v4
	v_sub_f32_e32 v6, v6, v9
	s_delay_alu instid0(VALU_DEP_1) | instskip(SKIP_1) | instid1(VALU_DEP_2)
	v_add_f32_e32 v6, v6, v8
	v_cvt_i32_f32_e32 v8, v9
	v_exp_f32_e32 v6, v6
	s_delay_alu instid0(TRANS32_DEP_1) | instskip(SKIP_3) | instid1(VALU_DEP_3)
	v_ldexp_f32 v6, v6, v8
	v_lshlrev_b64_e32 v[8:9], 2, v[0:1]
	v_add_nc_u32_e32 v0, s0, v0
	s_wait_alu 0xfffd
	v_cndmask_b32_e32 v6, 0, v6, vcc_lo
	v_cmp_nlt_f32_e32 vcc_lo, 0x42b17218, v4
	s_wait_alu 0xfffd
	s_delay_alu instid0(VALU_DEP_2)
	v_cndmask_b32_e32 v4, 0x7f800000, v6, vcc_lo
	v_add_co_u32 v8, vcc_lo, s6, v8
	s_wait_alu 0xfffd
	v_add_co_ci_u32_e64 v9, null, s7, v9, vcc_lo
	global_store_b32 v[8:9], v4, off
	s_wait_alu 0xfffe
	v_fmaak_f32 v4, s1, v3, 0x4202910e
	s_mov_b32 s1, 0x3fe51eb8
	s_delay_alu instid0(VALU_DEP_1) | instskip(SKIP_1) | instid1(VALU_DEP_2)
	v_mul_f32_e32 v6, 0x3fb8aa3b, v4
	v_cmp_ngt_f32_e32 vcc_lo, 0xc2ce8ed0, v4
	v_fma_f32 v8, 0x3fb8aa3b, v4, -v6
	v_rndne_f32_e32 v9, v6
	s_delay_alu instid0(VALU_DEP_2) | instskip(NEXT) | instid1(VALU_DEP_2)
	v_fmac_f32_e32 v8, 0x32a5705f, v4
	v_sub_f32_e32 v6, v6, v9
	s_delay_alu instid0(VALU_DEP_1) | instskip(SKIP_1) | instid1(VALU_DEP_2)
	v_add_f32_e32 v6, v6, v8
	v_cvt_i32_f32_e32 v8, v9
	v_exp_f32_e32 v6, v6
	s_delay_alu instid0(TRANS32_DEP_1) | instskip(SKIP_3) | instid1(VALU_DEP_3)
	v_ldexp_f32 v6, v6, v8
	v_lshlrev_b64_e32 v[8:9], 2, v[0:1]
	v_add_nc_u32_e32 v0, s0, v0
	s_wait_alu 0xfffd
	v_cndmask_b32_e32 v6, 0, v6, vcc_lo
	v_cmp_nlt_f32_e32 vcc_lo, 0x42b17218, v4
	s_wait_alu 0xfffd
	s_delay_alu instid0(VALU_DEP_2)
	v_cndmask_b32_e32 v4, 0x7f800000, v6, vcc_lo
	v_add_co_u32 v8, vcc_lo, s6, v8
	s_wait_alu 0xfffd
	v_add_co_ci_u32_e64 v9, null, s7, v9, vcc_lo
	v_mov_b32_e32 v6, 0x55da475b
	global_store_b32 v[8:9], v4, off
	v_lshlrev_b64_e32 v[8:9], 2, v[0:1]
	v_mov_b32_e32 v4, 0x564f5d63
	v_add_nc_u32_e32 v0, s0, v0
	s_delay_alu instid0(VALU_DEP_3) | instskip(SKIP_1) | instid1(VALU_DEP_4)
	v_add_co_u32 v8, vcc_lo, s6, v8
	s_wait_alu 0xfffd
	v_add_co_ci_u32_e64 v9, null, s7, v9, vcc_lo
	global_store_b32 v[8:9], v4, off
	v_lshlrev_b64_e32 v[8:9], 2, v[0:1]
	s_wait_alu 0xfffe
	v_fmaak_f32 v4, s1, v2, 0x41942dbe
	v_add_nc_u32_e32 v0, s0, v0
	s_mov_b32 s1, 0x43bdf6dc
	s_delay_alu instid0(VALU_DEP_3)
	v_add_co_u32 v8, vcc_lo, s6, v8
	s_wait_alu 0xfffd
	v_add_co_ci_u32_e64 v9, null, s7, v9, vcc_lo
	v_fmamk_f32 v4, v3, 0xc45217cc, v4
	global_store_b32 v[8:9], v6, off
	v_mul_f32_e32 v8, 0x3fb8aa3b, v4
	v_cmp_ngt_f32_e32 vcc_lo, 0xc2ce8ed0, v4
	s_delay_alu instid0(VALU_DEP_2) | instskip(SKIP_1) | instid1(VALU_DEP_1)
	v_fma_f32 v9, 0x3fb8aa3b, v4, -v8
	v_rndne_f32_e32 v10, v8
	v_dual_fmac_f32 v9, 0x32a5705f, v4 :: v_dual_sub_f32 v8, v8, v10
	s_delay_alu instid0(VALU_DEP_1) | instskip(SKIP_1) | instid1(VALU_DEP_2)
	v_add_f32_e32 v8, v8, v9
	v_cvt_i32_f32_e32 v9, v10
	v_exp_f32_e32 v8, v8
	s_delay_alu instid0(TRANS32_DEP_1) | instskip(SKIP_1) | instid1(VALU_DEP_1)
	v_ldexp_f32 v8, v8, v9
	s_wait_alu 0xfffd
	v_cndmask_b32_e32 v8, 0, v8, vcc_lo
	v_cmp_nlt_f32_e32 vcc_lo, 0x42b17218, v4
	s_wait_alu 0xfffd
	s_delay_alu instid0(VALU_DEP_2) | instskip(SKIP_2) | instid1(VALU_DEP_2)
	v_cndmask_b32_e32 v4, 0x7f800000, v8, vcc_lo
	v_lshlrev_b64_e32 v[8:9], 2, v[0:1]
	v_add_nc_u32_e32 v0, s0, v0
	v_add_co_u32 v8, vcc_lo, s6, v8
	s_wait_alu 0xfffd
	s_delay_alu instid0(VALU_DEP_3) | instskip(SKIP_4) | instid1(VALU_DEP_1)
	v_add_co_ci_u32_e64 v9, null, s7, v9, vcc_lo
	global_store_b32 v[8:9], v4, off
	s_wait_alu 0xfffe
	v_fmaak_f32 v4, s1, v3, 0x41eafc65
	s_mov_b32 s1, 0xc3ad9c19
	v_mul_f32_e32 v8, 0x3fb8aa3b, v4
	v_cmp_ngt_f32_e32 vcc_lo, 0xc2ce8ed0, v4
	s_delay_alu instid0(VALU_DEP_2) | instskip(SKIP_1) | instid1(VALU_DEP_1)
	v_fma_f32 v9, 0x3fb8aa3b, v4, -v8
	v_rndne_f32_e32 v10, v8
	v_dual_fmac_f32 v9, 0x32a5705f, v4 :: v_dual_sub_f32 v8, v8, v10
	s_delay_alu instid0(VALU_DEP_1) | instskip(SKIP_1) | instid1(VALU_DEP_2)
	v_add_f32_e32 v8, v8, v9
	v_cvt_i32_f32_e32 v9, v10
	v_exp_f32_e32 v8, v8
	s_delay_alu instid0(TRANS32_DEP_1) | instskip(SKIP_1) | instid1(VALU_DEP_1)
	v_ldexp_f32 v8, v8, v9
	s_wait_alu 0xfffd
	v_cndmask_b32_e32 v8, 0, v8, vcc_lo
	v_cmp_nlt_f32_e32 vcc_lo, 0x42b17218, v4
	s_wait_alu 0xfffd
	s_delay_alu instid0(VALU_DEP_2) | instskip(SKIP_2) | instid1(VALU_DEP_2)
	v_cndmask_b32_e32 v4, 0x7f800000, v8, vcc_lo
	v_lshlrev_b64_e32 v[8:9], 2, v[0:1]
	v_add_nc_u32_e32 v0, s0, v0
	v_add_co_u32 v8, vcc_lo, s6, v8
	s_wait_alu 0xfffd
	s_delay_alu instid0(VALU_DEP_3) | instskip(SKIP_4) | instid1(VALU_DEP_3)
	v_add_co_ci_u32_e64 v9, null, s7, v9, vcc_lo
	global_store_b32 v[8:9], v4, off
	v_lshlrev_b64_e32 v[8:9], 2, v[0:1]
	v_mov_b32_e32 v4, 0x55f01b4a
	v_add_nc_u32_e32 v0, s0, v0
	v_add_co_u32 v8, vcc_lo, s6, v8
	s_wait_alu 0xfffd
	s_delay_alu instid0(VALU_DEP_4) | instskip(SKIP_4) | instid1(VALU_DEP_3)
	v_add_co_ci_u32_e64 v9, null, s7, v9, vcc_lo
	global_store_b32 v[8:9], v4, off
	v_lshlrev_b64_e32 v[8:9], 2, v[0:1]
	v_mov_b32_e32 v4, 0x5635e621
	v_add_nc_u32_e32 v0, s0, v0
	v_add_co_u32 v8, vcc_lo, s6, v8
	s_wait_alu 0xfffd
	s_delay_alu instid0(VALU_DEP_4) | instskip(SKIP_4) | instid1(VALU_DEP_1)
	v_add_co_ci_u32_e64 v9, null, s7, v9, vcc_lo
	global_store_b32 v[8:9], v4, off
	s_wait_alu 0xfffe
	v_fmaak_f32 v8, s1, v3, 0x41e6d6a0
	s_mov_b32 s1, 0x3ef5c28f
	v_mul_f32_e32 v9, 0x3fb8aa3b, v8
	v_cmp_ngt_f32_e32 vcc_lo, 0xc2ce8ed0, v8
	s_delay_alu instid0(VALU_DEP_2) | instskip(SKIP_1) | instid1(VALU_DEP_1)
	v_fma_f32 v10, 0x3fb8aa3b, v8, -v9
	v_rndne_f32_e32 v11, v9
	v_dual_fmac_f32 v10, 0x32a5705f, v8 :: v_dual_sub_f32 v9, v9, v11
	s_delay_alu instid0(VALU_DEP_1) | instskip(SKIP_1) | instid1(VALU_DEP_2)
	v_add_f32_e32 v9, v9, v10
	v_cvt_i32_f32_e32 v10, v11
	v_exp_f32_e32 v9, v9
	s_delay_alu instid0(TRANS32_DEP_1) | instskip(SKIP_1) | instid1(VALU_DEP_1)
	v_ldexp_f32 v9, v9, v10
	s_wait_alu 0xfffd
	v_cndmask_b32_e32 v9, 0, v9, vcc_lo
	v_cmp_nlt_f32_e32 vcc_lo, 0x42b17218, v8
	s_wait_alu 0xfffd
	s_delay_alu instid0(VALU_DEP_2) | instskip(SKIP_2) | instid1(VALU_DEP_2)
	v_cndmask_b32_e32 v10, 0x7f800000, v9, vcc_lo
	v_lshlrev_b64_e32 v[8:9], 2, v[0:1]
	v_add_nc_u32_e32 v0, s0, v0
	v_add_co_u32 v8, vcc_lo, s6, v8
	s_wait_alu 0xfffd
	s_delay_alu instid0(VALU_DEP_3) | instskip(SKIP_4) | instid1(VALU_DEP_1)
	v_add_co_ci_u32_e64 v9, null, s7, v9, vcc_lo
	global_store_b32 v[8:9], v10, off
	s_wait_alu 0xfffe
	v_fmaak_f32 v8, s1, v2, 0x41ddbcd3
	s_mov_b32 s1, 0xc3494963
	v_fmamk_f32 v8, v3, 0x4302d61a, v8
	s_delay_alu instid0(VALU_DEP_1) | instskip(SKIP_1) | instid1(VALU_DEP_2)
	v_mul_f32_e32 v9, 0x3fb8aa3b, v8
	v_cmp_ngt_f32_e32 vcc_lo, 0xc2ce8ed0, v8
	v_fma_f32 v10, 0x3fb8aa3b, v8, -v9
	v_rndne_f32_e32 v11, v9
	s_delay_alu instid0(VALU_DEP_1) | instskip(NEXT) | instid1(VALU_DEP_1)
	v_dual_fmac_f32 v10, 0x32a5705f, v8 :: v_dual_sub_f32 v9, v9, v11
	v_add_f32_e32 v9, v9, v10
	v_cvt_i32_f32_e32 v10, v11
	s_delay_alu instid0(VALU_DEP_2) | instskip(NEXT) | instid1(TRANS32_DEP_1)
	v_exp_f32_e32 v9, v9
	v_ldexp_f32 v9, v9, v10
	s_wait_alu 0xfffd
	s_delay_alu instid0(VALU_DEP_1) | instskip(SKIP_2) | instid1(VALU_DEP_2)
	v_cndmask_b32_e32 v9, 0, v9, vcc_lo
	v_cmp_nlt_f32_e32 vcc_lo, 0x42b17218, v8
	s_wait_alu 0xfffd
	v_cndmask_b32_e32 v10, 0x7f800000, v9, vcc_lo
	v_lshlrev_b64_e32 v[8:9], 2, v[0:1]
	v_add_nc_u32_e32 v0, s0, v0
	s_delay_alu instid0(VALU_DEP_2) | instskip(SKIP_1) | instid1(VALU_DEP_3)
	v_add_co_u32 v8, vcc_lo, s6, v8
	s_wait_alu 0xfffd
	v_add_co_ci_u32_e64 v9, null, s7, v9, vcc_lo
	global_store_b32 v[8:9], v10, off
	v_lshlrev_b64_e32 v[8:9], 2, v[0:1]
	v_mov_b32_e32 v10, 0x5685838a
	v_add_nc_u32_e32 v0, s0, v0
	s_delay_alu instid0(VALU_DEP_3) | instskip(SKIP_1) | instid1(VALU_DEP_4)
	v_add_co_u32 v8, vcc_lo, s6, v8
	s_wait_alu 0xfffd
	v_add_co_ci_u32_e64 v9, null, s7, v9, vcc_lo
	global_store_b32 v[8:9], v10, off
	v_lshlrev_b64_e32 v[8:9], 2, v[0:1]
	v_add_nc_u32_e32 v0, s0, v0
	s_delay_alu instid0(VALU_DEP_2) | instskip(SKIP_1) | instid1(VALU_DEP_3)
	v_add_co_u32 v8, vcc_lo, s6, v8
	s_wait_alu 0xfffd
	v_add_co_ci_u32_e64 v9, null, s7, v9, vcc_lo
	global_store_b32 v[8:9], v6, off
	v_lshlrev_b64_e32 v[8:9], 2, v[0:1]
	v_add_nc_u32_e32 v0, s0, v0
	s_delay_alu instid0(VALU_DEP_2) | instskip(SKIP_1) | instid1(VALU_DEP_3)
	;; [unrolled: 7-line block ×3, first 2 shown]
	v_add_co_u32 v8, vcc_lo, s6, v8
	s_wait_alu 0xfffd
	v_add_co_ci_u32_e64 v9, null, s7, v9, vcc_lo
	global_store_b32 v[8:9], v4, off
	v_sub_f32_e32 v8, 0x421f145d, v2
	s_delay_alu instid0(VALU_DEP_1) | instskip(NEXT) | instid1(VALU_DEP_1)
	v_fmamk_f32 v8, v3, 0xc605aabc, v8
	v_mul_f32_e32 v9, 0x3fb8aa3b, v8
	v_cmp_ngt_f32_e32 vcc_lo, 0xc2ce8ed0, v8
	s_delay_alu instid0(VALU_DEP_2) | instskip(SKIP_1) | instid1(VALU_DEP_1)
	v_fma_f32 v10, 0x3fb8aa3b, v8, -v9
	v_rndne_f32_e32 v11, v9
	v_dual_fmac_f32 v10, 0x32a5705f, v8 :: v_dual_sub_f32 v9, v9, v11
	s_delay_alu instid0(VALU_DEP_1) | instskip(SKIP_1) | instid1(VALU_DEP_2)
	v_add_f32_e32 v9, v9, v10
	v_cvt_i32_f32_e32 v10, v11
	v_exp_f32_e32 v9, v9
	s_delay_alu instid0(TRANS32_DEP_1) | instskip(SKIP_1) | instid1(VALU_DEP_1)
	v_ldexp_f32 v9, v9, v10
	s_wait_alu 0xfffd
	v_cndmask_b32_e32 v9, 0, v9, vcc_lo
	v_cmp_nlt_f32_e32 vcc_lo, 0x42b17218, v8
	s_wait_alu 0xfffd
	s_delay_alu instid0(VALU_DEP_2) | instskip(SKIP_2) | instid1(VALU_DEP_2)
	v_cndmask_b32_e32 v10, 0x7f800000, v9, vcc_lo
	v_lshlrev_b64_e32 v[8:9], 2, v[0:1]
	v_add_nc_u32_e32 v0, s0, v0
	v_add_co_u32 v8, vcc_lo, s6, v8
	s_wait_alu 0xfffd
	s_delay_alu instid0(VALU_DEP_3) | instskip(SKIP_4) | instid1(VALU_DEP_1)
	v_add_co_ci_u32_e64 v9, null, s7, v9, vcc_lo
	global_store_b32 v[8:9], v10, off
	s_wait_alu 0xfffe
	v_fmaak_f32 v8, s1, v3, 0x41ed45fb
	s_mov_b32 s1, 0xbf4ccccd
	v_mul_f32_e32 v9, 0x3fb8aa3b, v8
	v_cmp_ngt_f32_e32 vcc_lo, 0xc2ce8ed0, v8
	s_delay_alu instid0(VALU_DEP_2) | instskip(SKIP_1) | instid1(VALU_DEP_1)
	v_fma_f32 v10, 0x3fb8aa3b, v8, -v9
	v_rndne_f32_e32 v11, v9
	v_dual_fmac_f32 v10, 0x32a5705f, v8 :: v_dual_sub_f32 v9, v9, v11
	s_delay_alu instid0(VALU_DEP_1) | instskip(SKIP_1) | instid1(VALU_DEP_2)
	v_add_f32_e32 v9, v9, v10
	v_cvt_i32_f32_e32 v10, v11
	v_exp_f32_e32 v9, v9
	s_delay_alu instid0(TRANS32_DEP_1) | instskip(SKIP_1) | instid1(VALU_DEP_1)
	v_ldexp_f32 v9, v9, v10
	s_wait_alu 0xfffd
	v_cndmask_b32_e32 v9, 0, v9, vcc_lo
	v_cmp_nlt_f32_e32 vcc_lo, 0x42b17218, v8
	s_wait_alu 0xfffd
	s_delay_alu instid0(VALU_DEP_2) | instskip(SKIP_2) | instid1(VALU_DEP_2)
	v_cndmask_b32_e32 v10, 0x7f800000, v9, vcc_lo
	v_lshlrev_b64_e32 v[8:9], 2, v[0:1]
	v_add_nc_u32_e32 v0, s0, v0
	v_add_co_u32 v8, vcc_lo, s6, v8
	s_wait_alu 0xfffd
	s_delay_alu instid0(VALU_DEP_3) | instskip(SKIP_4) | instid1(VALU_DEP_1)
	v_add_co_ci_u32_e64 v9, null, s7, v9, vcc_lo
	global_store_b32 v[8:9], v10, off
	s_wait_alu 0xfffe
	v_fmaak_f32 v8, s1, v2, 0x421707d6
	s_mov_b32 s1, 0xc396f70a
	v_mul_f32_e32 v9, 0x3fb8aa3b, v8
	v_cmp_ngt_f32_e32 vcc_lo, 0xc2ce8ed0, v8
	s_delay_alu instid0(VALU_DEP_2) | instskip(SKIP_1) | instid1(VALU_DEP_1)
	v_fma_f32 v10, 0x3fb8aa3b, v8, -v9
	v_rndne_f32_e32 v11, v9
	v_dual_fmac_f32 v10, 0x32a5705f, v8 :: v_dual_sub_f32 v9, v9, v11
	s_delay_alu instid0(VALU_DEP_1) | instskip(SKIP_1) | instid1(VALU_DEP_2)
	v_add_f32_e32 v9, v9, v10
	v_cvt_i32_f32_e32 v10, v11
	v_exp_f32_e32 v9, v9
	s_delay_alu instid0(TRANS32_DEP_1) | instskip(SKIP_1) | instid1(VALU_DEP_1)
	v_ldexp_f32 v9, v9, v10
	s_wait_alu 0xfffd
	v_cndmask_b32_e32 v9, 0, v9, vcc_lo
	v_cmp_nlt_f32_e32 vcc_lo, 0x42b17218, v8
	s_wait_alu 0xfffd
	s_delay_alu instid0(VALU_DEP_2) | instskip(SKIP_2) | instid1(VALU_DEP_2)
	v_cndmask_b32_e32 v10, 0x7f800000, v9, vcc_lo
	v_lshlrev_b64_e32 v[8:9], 2, v[0:1]
	v_add_nc_u32_e32 v0, s0, v0
	v_add_co_u32 v8, vcc_lo, s6, v8
	s_wait_alu 0xfffd
	s_delay_alu instid0(VALU_DEP_3) | instskip(SKIP_2) | instid1(VALU_DEP_1)
	v_add_co_ci_u32_e64 v9, null, s7, v9, vcc_lo
	global_store_b32 v[8:9], v10, off
	v_fmaak_f32 v8, 2.0, v2, 0x4151f533
	v_fmamk_f32 v8, v3, 0xc563641b, v8
	s_delay_alu instid0(VALU_DEP_1) | instskip(SKIP_1) | instid1(VALU_DEP_2)
	v_mul_f32_e32 v9, 0x3fb8aa3b, v8
	v_cmp_ngt_f32_e32 vcc_lo, 0xc2ce8ed0, v8
	v_fma_f32 v10, 0x3fb8aa3b, v8, -v9
	v_rndne_f32_e32 v11, v9
	s_delay_alu instid0(VALU_DEP_1) | instskip(NEXT) | instid1(VALU_DEP_1)
	v_dual_fmac_f32 v10, 0x32a5705f, v8 :: v_dual_sub_f32 v9, v9, v11
	v_add_f32_e32 v9, v9, v10
	v_cvt_i32_f32_e32 v10, v11
	s_delay_alu instid0(VALU_DEP_2) | instskip(NEXT) | instid1(TRANS32_DEP_1)
	v_exp_f32_e32 v9, v9
	v_ldexp_f32 v9, v9, v10
	s_wait_alu 0xfffd
	s_delay_alu instid0(VALU_DEP_1) | instskip(SKIP_2) | instid1(VALU_DEP_2)
	v_cndmask_b32_e32 v9, 0, v9, vcc_lo
	v_cmp_nlt_f32_e32 vcc_lo, 0x42b17218, v8
	s_wait_alu 0xfffd
	v_cndmask_b32_e32 v10, 0x7f800000, v9, vcc_lo
	v_lshlrev_b64_e32 v[8:9], 2, v[0:1]
	v_add_nc_u32_e32 v0, s0, v0
	s_delay_alu instid0(VALU_DEP_2) | instskip(SKIP_1) | instid1(VALU_DEP_3)
	v_add_co_u32 v8, vcc_lo, s6, v8
	s_wait_alu 0xfffd
	v_add_co_ci_u32_e64 v9, null, s7, v9, vcc_lo
	global_store_b32 v[8:9], v10, off
	v_lshlrev_b64_e32 v[8:9], 2, v[0:1]
	v_mov_b32_e32 v10, 0x569184e7
	v_add_nc_u32_e32 v0, s0, v0
	s_delay_alu instid0(VALU_DEP_3) | instskip(SKIP_1) | instid1(VALU_DEP_4)
	v_add_co_u32 v8, vcc_lo, s6, v8
	s_wait_alu 0xfffd
	v_add_co_ci_u32_e64 v9, null, s7, v9, vcc_lo
	global_store_b32 v[8:9], v10, off
	v_mul_f32_e32 v8, 0xc43cb4cd, v3
	s_delay_alu instid0(VALU_DEP_1) | instskip(SKIP_1) | instid1(VALU_DEP_2)
	v_mul_f32_e32 v9, 0x3fb8aa3b, v8
	v_cmp_ngt_f32_e32 vcc_lo, 0xc2ce8ed0, v8
	v_fma_f32 v10, 0x3fb8aa3b, v8, -v9
	v_rndne_f32_e32 v11, v9
	s_delay_alu instid0(VALU_DEP_1) | instskip(NEXT) | instid1(VALU_DEP_1)
	v_dual_fmac_f32 v10, 0x32a5705f, v8 :: v_dual_sub_f32 v9, v9, v11
	v_add_f32_e32 v9, v9, v10
	v_cvt_i32_f32_e32 v10, v11
	s_delay_alu instid0(VALU_DEP_2) | instskip(NEXT) | instid1(TRANS32_DEP_1)
	v_exp_f32_e32 v9, v9
	v_ldexp_f32 v9, v9, v10
	s_wait_alu 0xfffd
	s_delay_alu instid0(VALU_DEP_1) | instskip(SKIP_2) | instid1(VALU_DEP_2)
	v_cndmask_b32_e32 v9, 0, v9, vcc_lo
	v_cmp_nlt_f32_e32 vcc_lo, 0x42b17218, v8
	s_wait_alu 0xfffd
	v_cndmask_b32_e32 v10, 0x7f800000, v9, vcc_lo
	v_lshlrev_b64_e32 v[8:9], 2, v[0:1]
	s_delay_alu instid0(VALU_DEP_2) | instskip(SKIP_1) | instid1(VALU_DEP_3)
	v_dual_mul_f32 v11, 0x5519ab11, v10 :: v_dual_add_nc_u32 v0, s0, v0
	v_mul_f32_e32 v10, 0x5419ab11, v10
	v_add_co_u32 v8, vcc_lo, s6, v8
	s_wait_alu 0xfffd
	s_delay_alu instid0(VALU_DEP_4) | instskip(SKIP_3) | instid1(VALU_DEP_2)
	v_add_co_ci_u32_e64 v9, null, s7, v9, vcc_lo
	global_store_b32 v[8:9], v11, off
	v_lshlrev_b64_e32 v[8:9], 2, v[0:1]
	v_add_nc_u32_e32 v0, s0, v0
	v_add_co_u32 v8, vcc_lo, s6, v8
	s_wait_alu 0xfffd
	s_delay_alu instid0(VALU_DEP_3) | instskip(SKIP_3) | instid1(VALU_DEP_2)
	v_add_co_ci_u32_e64 v9, null, s7, v9, vcc_lo
	global_store_b32 v[8:9], v10, off
	v_lshlrev_b64_e32 v[8:9], 2, v[0:1]
	v_add_nc_u32_e32 v0, s0, v0
	v_add_co_u32 v8, vcc_lo, s6, v8
	s_wait_alu 0xfffd
	s_delay_alu instid0(VALU_DEP_3) | instskip(SKIP_2) | instid1(VALU_DEP_1)
	v_add_co_ci_u32_e64 v9, null, s7, v9, vcc_lo
	global_store_b32 v[8:9], v5, off
	v_fmaak_f32 v8, 2.0, v2, 0x4181ec29
	v_fmac_f32_e32 v8, 0xc4bcb4cd, v3
	s_delay_alu instid0(VALU_DEP_1) | instskip(SKIP_1) | instid1(VALU_DEP_2)
	v_mul_f32_e32 v9, 0x3fb8aa3b, v8
	v_cmp_ngt_f32_e32 vcc_lo, 0xc2ce8ed0, v8
	v_fma_f32 v10, 0x3fb8aa3b, v8, -v9
	v_rndne_f32_e32 v11, v9
	s_delay_alu instid0(VALU_DEP_1) | instskip(NEXT) | instid1(VALU_DEP_1)
	v_dual_fmac_f32 v10, 0x32a5705f, v8 :: v_dual_sub_f32 v9, v9, v11
	v_add_f32_e32 v9, v9, v10
	v_cvt_i32_f32_e32 v10, v11
	s_delay_alu instid0(VALU_DEP_2) | instskip(NEXT) | instid1(TRANS32_DEP_1)
	v_exp_f32_e32 v9, v9
	v_ldexp_f32 v9, v9, v10
	s_wait_alu 0xfffd
	s_delay_alu instid0(VALU_DEP_1) | instskip(SKIP_2) | instid1(VALU_DEP_2)
	v_cndmask_b32_e32 v9, 0, v9, vcc_lo
	v_cmp_nlt_f32_e32 vcc_lo, 0x42b17218, v8
	s_wait_alu 0xfffd
	v_cndmask_b32_e32 v10, 0x7f800000, v9, vcc_lo
	v_lshlrev_b64_e32 v[8:9], 2, v[0:1]
	v_add_nc_u32_e32 v0, s0, v0
	s_delay_alu instid0(VALU_DEP_2) | instskip(SKIP_1) | instid1(VALU_DEP_3)
	v_add_co_u32 v8, vcc_lo, s6, v8
	s_wait_alu 0xfffd
	v_add_co_ci_u32_e64 v9, null, s7, v9, vcc_lo
	global_store_b32 v[8:9], v10, off
	v_lshlrev_b64_e32 v[8:9], 2, v[0:1]
	v_add_nc_u32_e32 v0, s0, v0
	s_delay_alu instid0(VALU_DEP_2) | instskip(SKIP_1) | instid1(VALU_DEP_3)
	v_add_co_u32 v8, vcc_lo, s6, v8
	s_wait_alu 0xfffd
	v_add_co_ci_u32_e64 v9, null, s7, v9, vcc_lo
	global_store_b32 v[8:9], v5, off
	v_fmaak_f32 v8, 0.5, v2, 0x41db5cc6
	s_delay_alu instid0(VALU_DEP_1) | instskip(NEXT) | instid1(VALU_DEP_1)
	v_fmamk_f32 v8, v3, 0xc50dd81d, v8
	v_mul_f32_e32 v9, 0x3fb8aa3b, v8
	v_cmp_ngt_f32_e32 vcc_lo, 0xc2ce8ed0, v8
	s_delay_alu instid0(VALU_DEP_2) | instskip(SKIP_1) | instid1(VALU_DEP_1)
	v_fma_f32 v10, 0x3fb8aa3b, v8, -v9
	v_rndne_f32_e32 v11, v9
	v_dual_fmac_f32 v10, 0x32a5705f, v8 :: v_dual_sub_f32 v9, v9, v11
	s_delay_alu instid0(VALU_DEP_1) | instskip(SKIP_1) | instid1(VALU_DEP_2)
	v_add_f32_e32 v9, v9, v10
	v_cvt_i32_f32_e32 v10, v11
	v_exp_f32_e32 v9, v9
	s_delay_alu instid0(TRANS32_DEP_1) | instskip(SKIP_1) | instid1(VALU_DEP_1)
	v_ldexp_f32 v9, v9, v10
	s_wait_alu 0xfffd
	v_cndmask_b32_e32 v9, 0, v9, vcc_lo
	v_cmp_nlt_f32_e32 vcc_lo, 0x42b17218, v8
	s_wait_alu 0xfffd
	s_delay_alu instid0(VALU_DEP_2) | instskip(SKIP_2) | instid1(VALU_DEP_2)
	v_cndmask_b32_e32 v10, 0x7f800000, v9, vcc_lo
	v_lshlrev_b64_e32 v[8:9], 2, v[0:1]
	v_add_nc_u32_e32 v0, s0, v0
	v_add_co_u32 v8, vcc_lo, s6, v8
	s_wait_alu 0xfffd
	s_delay_alu instid0(VALU_DEP_3) | instskip(SKIP_3) | instid1(VALU_DEP_2)
	v_add_co_ci_u32_e64 v9, null, s7, v9, vcc_lo
	global_store_b32 v[8:9], v10, off
	v_lshlrev_b64_e32 v[8:9], 2, v[0:1]
	v_add_nc_u32_e32 v0, s0, v0
	v_add_co_u32 v10, vcc_lo, s6, v8
	s_wait_alu 0xfffd
	s_delay_alu instid0(VALU_DEP_3)
	v_add_co_ci_u32_e64 v11, null, s7, v9, vcc_lo
	v_mov_b32_e32 v9, 0x561184e7
	v_mov_b32_e32 v8, 0x55e8d4a5
	global_store_b32 v[10:11], v9, off
	v_lshlrev_b64_e32 v[10:11], 2, v[0:1]
	v_add_nc_u32_e32 v0, s0, v0
	s_delay_alu instid0(VALU_DEP_2) | instskip(SKIP_1) | instid1(VALU_DEP_3)
	v_add_co_u32 v10, vcc_lo, s6, v10
	s_wait_alu 0xfffd
	v_add_co_ci_u32_e64 v11, null, s7, v11, vcc_lo
	global_store_b32 v[10:11], v8, off
	s_wait_alu 0xfffe
	v_fmaak_f32 v10, s1, v3, 0x41f2b66b
	s_mov_b32 s1, 0x3f866666
	s_delay_alu instid0(VALU_DEP_1) | instskip(SKIP_1) | instid1(VALU_DEP_2)
	v_mul_f32_e32 v11, 0x3fb8aa3b, v10
	v_cmp_ngt_f32_e32 vcc_lo, 0xc2ce8ed0, v10
	v_fma_f32 v12, 0x3fb8aa3b, v10, -v11
	v_rndne_f32_e32 v13, v11
	s_delay_alu instid0(VALU_DEP_1) | instskip(NEXT) | instid1(VALU_DEP_1)
	v_dual_fmac_f32 v12, 0x32a5705f, v10 :: v_dual_sub_f32 v11, v11, v13
	v_add_f32_e32 v11, v11, v12
	v_cvt_i32_f32_e32 v12, v13
	s_delay_alu instid0(VALU_DEP_2) | instskip(NEXT) | instid1(TRANS32_DEP_1)
	v_exp_f32_e32 v11, v11
	v_ldexp_f32 v11, v11, v12
	s_wait_alu 0xfffd
	s_delay_alu instid0(VALU_DEP_1) | instskip(SKIP_2) | instid1(VALU_DEP_2)
	v_cndmask_b32_e32 v11, 0, v11, vcc_lo
	v_cmp_nlt_f32_e32 vcc_lo, 0x42b17218, v10
	s_wait_alu 0xfffd
	v_cndmask_b32_e32 v12, 0x7f800000, v11, vcc_lo
	v_lshlrev_b64_e32 v[10:11], 2, v[0:1]
	v_add_nc_u32_e32 v0, s0, v0
	s_delay_alu instid0(VALU_DEP_2) | instskip(SKIP_1) | instid1(VALU_DEP_3)
	v_add_co_u32 v10, vcc_lo, s6, v10
	s_wait_alu 0xfffd
	v_add_co_ci_u32_e64 v11, null, s7, v11, vcc_lo
	global_store_b32 v[10:11], v12, off
	v_lshlrev_b64_e32 v[10:11], 2, v[0:1]
	v_add_nc_u32_e32 v0, s0, v0
	v_mov_b32_e32 v12, 0x555a475b
	s_delay_alu instid0(VALU_DEP_3) | instskip(SKIP_1) | instid1(VALU_DEP_4)
	v_add_co_u32 v10, vcc_lo, s6, v10
	s_wait_alu 0xfffd
	v_add_co_ci_u32_e64 v11, null, s7, v11, vcc_lo
	global_store_b32 v[10:11], v6, off
	v_lshlrev_b64_e32 v[10:11], 2, v[0:1]
	v_add_nc_u32_e32 v0, s0, v0
	s_delay_alu instid0(VALU_DEP_2) | instskip(SKIP_1) | instid1(VALU_DEP_3)
	v_add_co_u32 v10, vcc_lo, s6, v10
	s_wait_alu 0xfffd
	v_add_co_ci_u32_e64 v11, null, s7, v11, vcc_lo
	global_store_b32 v[10:11], v12, off
	v_lshlrev_b64_e32 v[10:11], 2, v[0:1]
	v_add_nc_u32_e32 v0, s0, v0
	s_delay_alu instid0(VALU_DEP_2) | instskip(SKIP_1) | instid1(VALU_DEP_3)
	v_add_co_u32 v10, vcc_lo, s6, v10
	s_wait_alu 0xfffd
	v_add_co_ci_u32_e64 v11, null, s7, v11, vcc_lo
	global_store_b32 v[10:11], v12, off
	v_lshlrev_b64_e32 v[10:11], 2, v[0:1]
	v_add_nc_u32_e32 v0, s0, v0
	v_mov_b32_e32 v12, 0x567ea895
	s_delay_alu instid0(VALU_DEP_3) | instskip(SKIP_1) | instid1(VALU_DEP_4)
	v_add_co_u32 v10, vcc_lo, s6, v10
	s_wait_alu 0xfffd
	v_add_co_ci_u32_e64 v11, null, s7, v11, vcc_lo
	global_store_b32 v[10:11], v6, off
	v_lshlrev_b64_e32 v[10:11], 2, v[0:1]
	v_add_nc_u32_e32 v0, s0, v0
	s_delay_alu instid0(VALU_DEP_2) | instskip(SKIP_1) | instid1(VALU_DEP_3)
	v_add_co_u32 v10, vcc_lo, s6, v10
	s_wait_alu 0xfffd
	v_add_co_ci_u32_e64 v11, null, s7, v11, vcc_lo
	global_store_b32 v[10:11], v12, off
	v_lshlrev_b64_e32 v[10:11], 2, v[0:1]
	v_mov_b32_e32 v12, 0x55cbba10
	v_add_nc_u32_e32 v0, s0, v0
	s_delay_alu instid0(VALU_DEP_3) | instskip(SKIP_1) | instid1(VALU_DEP_4)
	v_add_co_u32 v10, vcc_lo, s6, v10
	s_wait_alu 0xfffd
	v_add_co_ci_u32_e64 v11, null, s7, v11, vcc_lo
	global_store_b32 v[10:11], v12, off
	v_lshlrev_b64_e32 v[10:11], 2, v[0:1]
	v_mov_b32_e32 v12, 0x552e9f7c
	v_add_nc_u32_e32 v0, s0, v0
	s_delay_alu instid0(VALU_DEP_3) | instskip(SKIP_1) | instid1(VALU_DEP_4)
	v_add_co_u32 v10, vcc_lo, s6, v10
	s_wait_alu 0xfffd
	v_add_co_ci_u32_e64 v11, null, s7, v11, vcc_lo
	global_store_b32 v[10:11], v12, off
	v_lshlrev_b64_e32 v[10:11], 2, v[0:1]
	v_add_nc_u32_e32 v0, s0, v0
	v_mov_b32_e32 v12, 0x5502f79d
	s_delay_alu instid0(VALU_DEP_3) | instskip(SKIP_1) | instid1(VALU_DEP_4)
	v_add_co_u32 v10, vcc_lo, s6, v10
	s_wait_alu 0xfffd
	v_add_co_ci_u32_e64 v11, null, s7, v11, vcc_lo
	global_store_b32 v[10:11], v6, off
	v_lshlrev_b64_e32 v[10:11], 2, v[0:1]
	v_add_nc_u32_e32 v0, s0, v0
	s_delay_alu instid0(VALU_DEP_2) | instskip(SKIP_1) | instid1(VALU_DEP_3)
	v_add_co_u32 v10, vcc_lo, s6, v10
	s_wait_alu 0xfffd
	v_add_co_ci_u32_e64 v11, null, s7, v11, vcc_lo
	global_store_b32 v[10:11], v12, off
	v_lshlrev_b64_e32 v[10:11], 2, v[0:1]
	v_mov_b32_e32 v12, 0x54cbba10
	v_add_nc_u32_e32 v0, s0, v0
	s_delay_alu instid0(VALU_DEP_3) | instskip(SKIP_1) | instid1(VALU_DEP_4)
	v_add_co_u32 v10, vcc_lo, s6, v10
	s_wait_alu 0xfffd
	v_add_co_ci_u32_e64 v11, null, s7, v11, vcc_lo
	global_store_b32 v[10:11], v12, off
	v_lshlrev_b64_e32 v[10:11], 2, v[0:1]
	v_mov_b32_e32 v12, 0x554bba10
	v_add_nc_u32_e32 v0, s0, v0
	s_delay_alu instid0(VALU_DEP_3) | instskip(SKIP_1) | instid1(VALU_DEP_4)
	v_add_co_u32 v10, vcc_lo, s6, v10
	s_wait_alu 0xfffd
	v_add_co_ci_u32_e64 v11, null, s7, v11, vcc_lo
	global_store_b32 v[10:11], v12, off
	v_fmaak_f32 v10, s2, v2, 0x41d81e62
	s_delay_alu instid0(VALU_DEP_1) | instskip(NEXT) | instid1(VALU_DEP_1)
	v_fmamk_f32 v10, v3, 0xc4a38ba0, v10
	v_mul_f32_e32 v11, 0x3fb8aa3b, v10
	v_cmp_ngt_f32_e32 vcc_lo, 0xc2ce8ed0, v10
	s_delay_alu instid0(VALU_DEP_2) | instskip(SKIP_1) | instid1(VALU_DEP_1)
	v_fma_f32 v12, 0x3fb8aa3b, v10, -v11
	v_rndne_f32_e32 v13, v11
	v_dual_fmac_f32 v12, 0x32a5705f, v10 :: v_dual_sub_f32 v11, v11, v13
	s_delay_alu instid0(VALU_DEP_1) | instskip(SKIP_1) | instid1(VALU_DEP_2)
	v_add_f32_e32 v11, v11, v12
	v_cvt_i32_f32_e32 v12, v13
	v_exp_f32_e32 v11, v11
	s_delay_alu instid0(TRANS32_DEP_1) | instskip(SKIP_1) | instid1(VALU_DEP_1)
	v_ldexp_f32 v11, v11, v12
	s_wait_alu 0xfffd
	v_cndmask_b32_e32 v11, 0, v11, vcc_lo
	v_cmp_nlt_f32_e32 vcc_lo, 0x42b17218, v10
	s_wait_alu 0xfffd
	s_delay_alu instid0(VALU_DEP_2) | instskip(SKIP_2) | instid1(VALU_DEP_2)
	v_cndmask_b32_e32 v12, 0x7f800000, v11, vcc_lo
	v_lshlrev_b64_e32 v[10:11], 2, v[0:1]
	v_add_nc_u32_e32 v0, s0, v0
	v_add_co_u32 v10, vcc_lo, s6, v10
	s_wait_alu 0xfffd
	s_delay_alu instid0(VALU_DEP_3) | instskip(SKIP_4) | instid1(VALU_DEP_1)
	v_add_co_ci_u32_e64 v11, null, s7, v11, vcc_lo
	global_store_b32 v[10:11], v12, off
	s_wait_alu 0xfffe
	v_fmaak_f32 v10, s1, v2, 0x41bedebe
	s_mov_b32 s1, 0xc4deac62
	v_fmamk_f32 v10, v3, 0xc4ce011b, v10
	s_delay_alu instid0(VALU_DEP_1) | instskip(SKIP_1) | instid1(VALU_DEP_2)
	v_mul_f32_e32 v11, 0x3fb8aa3b, v10
	v_cmp_ngt_f32_e32 vcc_lo, 0xc2ce8ed0, v10
	v_fma_f32 v12, 0x3fb8aa3b, v10, -v11
	v_rndne_f32_e32 v13, v11
	s_delay_alu instid0(VALU_DEP_1) | instskip(NEXT) | instid1(VALU_DEP_1)
	v_dual_fmac_f32 v12, 0x32a5705f, v10 :: v_dual_sub_f32 v11, v11, v13
	v_add_f32_e32 v11, v11, v12
	v_cvt_i32_f32_e32 v12, v13
	s_delay_alu instid0(VALU_DEP_2) | instskip(NEXT) | instid1(TRANS32_DEP_1)
	v_exp_f32_e32 v11, v11
	v_ldexp_f32 v11, v11, v12
	s_wait_alu 0xfffd
	s_delay_alu instid0(VALU_DEP_1) | instskip(SKIP_2) | instid1(VALU_DEP_2)
	v_cndmask_b32_e32 v11, 0, v11, vcc_lo
	v_cmp_nlt_f32_e32 vcc_lo, 0x42b17218, v10
	s_wait_alu 0xfffd
	v_cndmask_b32_e32 v12, 0x7f800000, v11, vcc_lo
	v_lshlrev_b64_e32 v[10:11], 2, v[0:1]
	v_add_nc_u32_e32 v0, s0, v0
	s_delay_alu instid0(VALU_DEP_2) | instskip(SKIP_1) | instid1(VALU_DEP_3)
	v_add_co_u32 v10, vcc_lo, s6, v10
	s_wait_alu 0xfffd
	v_add_co_ci_u32_e64 v11, null, s7, v11, vcc_lo
	global_store_b32 v[10:11], v12, off
	s_wait_alu 0xfffe
	v_fmaak_f32 v10, s1, v3, 0x41fa5b4e
	s_mov_b32 s1, 0x3f970a3d
	s_delay_alu instid0(VALU_DEP_1) | instskip(SKIP_1) | instid1(VALU_DEP_2)
	v_mul_f32_e32 v11, 0x3fb8aa3b, v10
	v_cmp_ngt_f32_e32 vcc_lo, 0xc2ce8ed0, v10
	v_fma_f32 v12, 0x3fb8aa3b, v10, -v11
	v_rndne_f32_e32 v13, v11
	s_delay_alu instid0(VALU_DEP_1) | instskip(NEXT) | instid1(VALU_DEP_1)
	v_dual_fmac_f32 v12, 0x32a5705f, v10 :: v_dual_sub_f32 v11, v11, v13
	v_add_f32_e32 v11, v11, v12
	v_cvt_i32_f32_e32 v12, v13
	s_delay_alu instid0(VALU_DEP_2) | instskip(NEXT) | instid1(TRANS32_DEP_1)
	v_exp_f32_e32 v11, v11
	v_ldexp_f32 v11, v11, v12
	s_wait_alu 0xfffd
	s_delay_alu instid0(VALU_DEP_1) | instskip(SKIP_2) | instid1(VALU_DEP_2)
	v_cndmask_b32_e32 v11, 0, v11, vcc_lo
	v_cmp_nlt_f32_e32 vcc_lo, 0x42b17218, v10
	s_wait_alu 0xfffd
	v_cndmask_b32_e32 v12, 0x7f800000, v11, vcc_lo
	v_lshlrev_b64_e32 v[10:11], 2, v[0:1]
	v_add_nc_u32_e32 v0, s0, v0
	s_delay_alu instid0(VALU_DEP_2) | instskip(SKIP_1) | instid1(VALU_DEP_3)
	v_add_co_u32 v10, vcc_lo, s6, v10
	s_wait_alu 0xfffd
	v_add_co_ci_u32_e64 v11, null, s7, v11, vcc_lo
	global_store_b32 v[10:11], v12, off
	s_wait_alu 0xfffe
	v_fmaak_f32 v10, s1, v2, 0x41afa588
	s_mov_b32 s1, 0xc69d4155
	s_delay_alu instid0(VALU_DEP_1) | instskip(NEXT) | instid1(VALU_DEP_1)
	v_fmamk_f32 v10, v3, 0x4360f017, v10
	v_mul_f32_e32 v11, 0x3fb8aa3b, v10
	v_cmp_ngt_f32_e32 vcc_lo, 0xc2ce8ed0, v10
	s_delay_alu instid0(VALU_DEP_2) | instskip(SKIP_1) | instid1(VALU_DEP_1)
	v_fma_f32 v12, 0x3fb8aa3b, v10, -v11
	v_rndne_f32_e32 v13, v11
	v_dual_fmac_f32 v12, 0x32a5705f, v10 :: v_dual_sub_f32 v11, v11, v13
	s_delay_alu instid0(VALU_DEP_1) | instskip(SKIP_1) | instid1(VALU_DEP_2)
	v_add_f32_e32 v11, v11, v12
	v_cvt_i32_f32_e32 v12, v13
	v_exp_f32_e32 v11, v11
	s_delay_alu instid0(TRANS32_DEP_1) | instskip(SKIP_1) | instid1(VALU_DEP_1)
	v_ldexp_f32 v11, v11, v12
	s_wait_alu 0xfffd
	v_cndmask_b32_e32 v11, 0, v11, vcc_lo
	v_cmp_nlt_f32_e32 vcc_lo, 0x42b17218, v10
	s_wait_alu 0xfffd
	s_delay_alu instid0(VALU_DEP_2) | instskip(SKIP_2) | instid1(VALU_DEP_2)
	v_cndmask_b32_e32 v12, 0x7f800000, v11, vcc_lo
	v_lshlrev_b64_e32 v[10:11], 2, v[0:1]
	v_add_nc_u32_e32 v0, s0, v0
	v_add_co_u32 v10, vcc_lo, s6, v10
	s_wait_alu 0xfffd
	s_delay_alu instid0(VALU_DEP_3) | instskip(SKIP_4) | instid1(VALU_DEP_1)
	v_add_co_ci_u32_e64 v11, null, s7, v11, vcc_lo
	global_store_b32 v[10:11], v12, off
	s_wait_alu 0xfffe
	v_fmaak_f32 v10, s1, v3, 0x4200f1dc
	s_lshl_b32 s1, s0, 1
	v_mul_f32_e32 v11, 0x3fb8aa3b, v10
	v_cmp_ngt_f32_e32 vcc_lo, 0xc2ce8ed0, v10
	s_delay_alu instid0(VALU_DEP_2) | instskip(SKIP_1) | instid1(VALU_DEP_1)
	v_fma_f32 v12, 0x3fb8aa3b, v10, -v11
	v_rndne_f32_e32 v13, v11
	v_dual_fmac_f32 v12, 0x32a5705f, v10 :: v_dual_sub_f32 v11, v11, v13
	s_delay_alu instid0(VALU_DEP_1) | instskip(SKIP_1) | instid1(VALU_DEP_2)
	v_add_f32_e32 v11, v11, v12
	v_cvt_i32_f32_e32 v12, v13
	v_exp_f32_e32 v11, v11
	s_delay_alu instid0(TRANS32_DEP_1) | instskip(SKIP_1) | instid1(VALU_DEP_1)
	v_ldexp_f32 v11, v11, v12
	s_wait_alu 0xfffd
	v_cndmask_b32_e32 v11, 0, v11, vcc_lo
	v_cmp_nlt_f32_e32 vcc_lo, 0x42b17218, v10
	s_wait_alu 0xfffd
	s_delay_alu instid0(VALU_DEP_2) | instskip(SKIP_2) | instid1(VALU_DEP_2)
	v_cndmask_b32_e32 v12, 0x7f800000, v11, vcc_lo
	v_lshlrev_b64_e32 v[10:11], 2, v[0:1]
	v_add_nc_u32_e32 v0, s0, v0
	v_add_co_u32 v10, vcc_lo, s6, v10
	s_wait_alu 0xfffd
	s_delay_alu instid0(VALU_DEP_3) | instskip(SKIP_2) | instid1(VALU_DEP_1)
	v_add_co_ci_u32_e64 v11, null, s7, v11, vcc_lo
	global_store_b32 v[10:11], v12, off
	v_mul_f32_e32 v10, 0xc57b9bbc, v3
	v_mul_f32_e32 v11, 0x3fb8aa3b, v10
	v_cmp_ngt_f32_e32 vcc_lo, 0xc2ce8ed0, v10
	s_delay_alu instid0(VALU_DEP_2) | instskip(SKIP_1) | instid1(VALU_DEP_1)
	v_fma_f32 v12, 0x3fb8aa3b, v10, -v11
	v_rndne_f32_e32 v13, v11
	v_dual_fmac_f32 v12, 0x32a5705f, v10 :: v_dual_sub_f32 v11, v11, v13
	s_delay_alu instid0(VALU_DEP_1) | instskip(SKIP_1) | instid1(VALU_DEP_2)
	v_add_f32_e32 v11, v11, v12
	v_cvt_i32_f32_e32 v12, v13
	v_exp_f32_e32 v11, v11
	s_delay_alu instid0(TRANS32_DEP_1) | instskip(SKIP_1) | instid1(VALU_DEP_1)
	v_ldexp_f32 v11, v11, v12
	s_wait_alu 0xfffd
	v_cndmask_b32_e32 v11, 0, v11, vcc_lo
	v_cmp_nlt_f32_e32 vcc_lo, 0x42b17218, v10
	s_wait_alu 0xfffd
	s_delay_alu instid0(VALU_DEP_2) | instskip(SKIP_1) | instid1(VALU_DEP_2)
	v_cndmask_b32_e32 v13, 0x7f800000, v11, vcc_lo
	v_lshlrev_b64_e32 v[10:11], 2, v[0:1]
	v_mul_f32_e32 v12, 0x5368d4a5, v13
	v_mul_f32_e32 v14, 0x5635e621, v13
	s_delay_alu instid0(VALU_DEP_3) | instskip(SKIP_1) | instid1(VALU_DEP_4)
	v_add_co_u32 v10, vcc_lo, s6, v10
	s_wait_alu 0xfffd
	v_add_co_ci_u32_e64 v11, null, s7, v11, vcc_lo
	global_store_b32 v[10:11], v12, off
	v_mad_co_u64_u32 v[10:11], null, s0, 51, v[0:1]
	v_mov_b32_e32 v11, v1
	s_delay_alu instid0(VALU_DEP_1) | instskip(SKIP_2) | instid1(VALU_DEP_2)
	v_lshlrev_b64_e32 v[11:12], 2, v[10:11]
	s_wait_alu 0xfffe
	v_add_nc_u32_e32 v0, s1, v10
	v_add_co_u32 v11, vcc_lo, s6, v11
	s_wait_alu 0xfffd
	s_delay_alu instid0(VALU_DEP_3) | instskip(SKIP_3) | instid1(VALU_DEP_2)
	v_add_co_ci_u32_e64 v12, null, s7, v12, vcc_lo
	global_store_b32 v[11:12], v14, off
	v_lshlrev_b64_e32 v[10:11], 2, v[0:1]
	v_mul_f32_e32 v12, 0x551184e7, v13
	v_add_co_u32 v10, vcc_lo, s6, v10
	s_wait_alu 0xfffd
	s_delay_alu instid0(VALU_DEP_3) | instskip(SKIP_3) | instid1(VALU_DEP_1)
	v_add_co_ci_u32_e64 v11, null, s7, v11, vcc_lo
	global_store_b32 v[10:11], v12, off
	v_fmaak_f32 v10, s4, v3, 0x4200b904
	s_mov_b32 s4, 0xbf2147ae
	v_mul_f32_e32 v11, 0x3fb8aa3b, v10
	v_cmp_ngt_f32_e32 vcc_lo, 0xc2ce8ed0, v10
	s_delay_alu instid0(VALU_DEP_2) | instskip(SKIP_1) | instid1(VALU_DEP_1)
	v_fma_f32 v12, 0x3fb8aa3b, v10, -v11
	v_rndne_f32_e32 v13, v11
	v_dual_fmac_f32 v12, 0x32a5705f, v10 :: v_dual_sub_f32 v11, v11, v13
	s_delay_alu instid0(VALU_DEP_1) | instskip(SKIP_1) | instid1(VALU_DEP_2)
	v_add_f32_e32 v11, v11, v12
	v_cvt_i32_f32_e32 v12, v13
	v_exp_f32_e32 v11, v11
	s_delay_alu instid0(TRANS32_DEP_1) | instskip(SKIP_1) | instid1(VALU_DEP_1)
	v_ldexp_f32 v11, v11, v12
	s_wait_alu 0xfffd
	v_cndmask_b32_e32 v11, 0, v11, vcc_lo
	v_cmp_nlt_f32_e32 vcc_lo, 0x42b17218, v10
	s_wait_alu 0xfffd
	s_delay_alu instid0(VALU_DEP_2) | instskip(SKIP_4) | instid1(VALU_DEP_1)
	v_cndmask_b32_e32 v13, 0x7f800000, v11, vcc_lo
	v_mad_co_u64_u32 v[10:11], null, 0xffffffcc, s0, v[0:1]
	s_wait_alu 0xfffe
	v_dual_mov_b32 v11, v1 :: v_dual_fmaak_f32 v0, s4, v2, 0x4214524f
	s_mov_b32 s4, 0x3fcccccd
	v_lshlrev_b64_e32 v[11:12], 2, v[10:11]
	s_delay_alu instid0(VALU_DEP_2) | instskip(NEXT) | instid1(VALU_DEP_2)
	v_fmamk_f32 v0, v3, 0xc340bb63, v0
	v_add_co_u32 v11, vcc_lo, s6, v11
	s_wait_alu 0xfffd
	s_delay_alu instid0(VALU_DEP_3) | instskip(NEXT) | instid1(VALU_DEP_3)
	v_add_co_ci_u32_e64 v12, null, s7, v12, vcc_lo
	v_cmp_ngt_f32_e32 vcc_lo, 0xc2ce8ed0, v0
	global_store_b32 v[11:12], v13, off
	v_mul_f32_e32 v11, 0x3fb8aa3b, v0
	s_delay_alu instid0(VALU_DEP_1) | instskip(SKIP_1) | instid1(VALU_DEP_1)
	v_fma_f32 v12, 0x3fb8aa3b, v0, -v11
	v_rndne_f32_e32 v13, v11
	v_dual_fmac_f32 v12, 0x32a5705f, v0 :: v_dual_sub_f32 v11, v11, v13
	s_delay_alu instid0(VALU_DEP_1) | instskip(SKIP_1) | instid1(VALU_DEP_2)
	v_add_f32_e32 v11, v11, v12
	v_cvt_i32_f32_e32 v12, v13
	v_exp_f32_e32 v11, v11
	s_delay_alu instid0(TRANS32_DEP_1) | instskip(SKIP_1) | instid1(VALU_DEP_1)
	v_ldexp_f32 v11, v11, v12
	s_wait_alu 0xfffd
	v_cndmask_b32_e32 v11, 0, v11, vcc_lo
	v_cmp_nlt_f32_e32 vcc_lo, 0x42b17218, v0
	v_add_nc_u32_e32 v0, s0, v10
	s_wait_alu 0xfffd
	s_delay_alu instid0(VALU_DEP_3) | instskip(NEXT) | instid1(VALU_DEP_2)
	v_cndmask_b32_e32 v12, 0x7f800000, v11, vcc_lo
	v_lshlrev_b64_e32 v[10:11], 2, v[0:1]
	v_add_nc_u32_e32 v0, s0, v0
	s_delay_alu instid0(VALU_DEP_2) | instskip(SKIP_1) | instid1(VALU_DEP_3)
	v_add_co_u32 v10, vcc_lo, s6, v10
	s_wait_alu 0xfffd
	v_add_co_ci_u32_e64 v11, null, s7, v11, vcc_lo
	global_store_b32 v[10:11], v12, off
	v_lshlrev_b64_e32 v[10:11], 2, v[0:1]
	v_mov_b32_e32 v12, 0x5699573f
	v_add_nc_u32_e32 v0, s0, v0
	s_delay_alu instid0(VALU_DEP_3) | instskip(SKIP_1) | instid1(VALU_DEP_4)
	v_add_co_u32 v10, vcc_lo, s6, v10
	s_wait_alu 0xfffd
	v_add_co_ci_u32_e64 v11, null, s7, v11, vcc_lo
	global_store_b32 v[10:11], v12, off
	s_wait_alu 0xfffe
	v_fmaak_f32 v10, s4, v2, 0x418eba16
	s_delay_alu instid0(VALU_DEP_1) | instskip(NEXT) | instid1(VALU_DEP_1)
	v_fmamk_f32 v10, v3, 0xc52a76f3, v10
	v_mul_f32_e32 v11, 0x3fb8aa3b, v10
	v_cmp_ngt_f32_e32 vcc_lo, 0xc2ce8ed0, v10
	s_delay_alu instid0(VALU_DEP_2) | instskip(SKIP_1) | instid1(VALU_DEP_1)
	v_fma_f32 v12, 0x3fb8aa3b, v10, -v11
	v_rndne_f32_e32 v13, v11
	v_dual_fmac_f32 v12, 0x32a5705f, v10 :: v_dual_sub_f32 v11, v11, v13
	s_delay_alu instid0(VALU_DEP_1) | instskip(SKIP_1) | instid1(VALU_DEP_2)
	v_add_f32_e32 v11, v11, v12
	v_cvt_i32_f32_e32 v12, v13
	v_exp_f32_e32 v11, v11
	s_delay_alu instid0(TRANS32_DEP_1) | instskip(SKIP_1) | instid1(VALU_DEP_1)
	v_ldexp_f32 v11, v11, v12
	s_wait_alu 0xfffd
	v_cndmask_b32_e32 v11, 0, v11, vcc_lo
	v_cmp_nlt_f32_e32 vcc_lo, 0x42b17218, v10
	s_wait_alu 0xfffd
	s_delay_alu instid0(VALU_DEP_2) | instskip(SKIP_2) | instid1(VALU_DEP_2)
	v_cndmask_b32_e32 v12, 0x7f800000, v11, vcc_lo
	v_lshlrev_b64_e32 v[10:11], 2, v[0:1]
	v_add_nc_u32_e32 v0, s0, v0
	v_add_co_u32 v10, vcc_lo, s6, v10
	s_wait_alu 0xfffd
	s_delay_alu instid0(VALU_DEP_3) | instskip(SKIP_4) | instid1(VALU_DEP_3)
	v_add_co_ci_u32_e64 v11, null, s7, v11, vcc_lo
	global_store_b32 v[10:11], v12, off
	v_lshlrev_b64_e32 v[10:11], 2, v[0:1]
	v_mov_b32_e32 v12, 0x55b5f8c1
	v_add_nc_u32_e32 v0, s0, v0
	v_add_co_u32 v10, vcc_lo, s6, v10
	s_wait_alu 0xfffd
	s_delay_alu instid0(VALU_DEP_4) | instskip(SKIP_3) | instid1(VALU_DEP_1)
	v_add_co_ci_u32_e64 v11, null, s7, v11, vcc_lo
	global_store_b32 v[10:11], v12, off
	v_fmaak_f32 v10, s5, v3, 0x41f879e0
	s_mov_b32 s5, 0xc58c960e
	v_mul_f32_e32 v11, 0x3fb8aa3b, v10
	v_cmp_ngt_f32_e32 vcc_lo, 0xc2ce8ed0, v10
	s_delay_alu instid0(VALU_DEP_2) | instskip(SKIP_1) | instid1(VALU_DEP_1)
	v_fma_f32 v12, 0x3fb8aa3b, v10, -v11
	v_rndne_f32_e32 v13, v11
	v_dual_fmac_f32 v12, 0x32a5705f, v10 :: v_dual_sub_f32 v11, v11, v13
	s_delay_alu instid0(VALU_DEP_1) | instskip(SKIP_1) | instid1(VALU_DEP_2)
	v_add_f32_e32 v11, v11, v12
	v_cvt_i32_f32_e32 v12, v13
	v_exp_f32_e32 v11, v11
	s_delay_alu instid0(TRANS32_DEP_1) | instskip(SKIP_1) | instid1(VALU_DEP_1)
	v_ldexp_f32 v11, v11, v12
	s_wait_alu 0xfffd
	v_cndmask_b32_e32 v11, 0, v11, vcc_lo
	v_cmp_nlt_f32_e32 vcc_lo, 0x42b17218, v10
	s_wait_alu 0xfffd
	s_delay_alu instid0(VALU_DEP_2) | instskip(SKIP_2) | instid1(VALU_DEP_2)
	v_cndmask_b32_e32 v12, 0x7f800000, v11, vcc_lo
	v_lshlrev_b64_e32 v[10:11], 2, v[0:1]
	v_add_nc_u32_e32 v0, s0, v0
	v_add_co_u32 v10, vcc_lo, s6, v10
	s_wait_alu 0xfffd
	s_delay_alu instid0(VALU_DEP_3) | instskip(SKIP_4) | instid1(VALU_DEP_1)
	v_add_co_ci_u32_e64 v11, null, s7, v11, vcc_lo
	global_store_b32 v[10:11], v12, off
	s_wait_alu 0xfffe
	v_fmaak_f32 v10, s5, v3, 0x41c2744c
	s_mov_b32 s5, 0x401e147b
	v_mul_f32_e32 v11, 0x3fb8aa3b, v10
	v_cmp_ngt_f32_e32 vcc_lo, 0xc2ce8ed0, v10
	s_delay_alu instid0(VALU_DEP_2) | instskip(SKIP_1) | instid1(VALU_DEP_1)
	v_fma_f32 v12, 0x3fb8aa3b, v10, -v11
	v_rndne_f32_e32 v13, v11
	v_dual_fmac_f32 v12, 0x32a5705f, v10 :: v_dual_sub_f32 v11, v11, v13
	s_delay_alu instid0(VALU_DEP_1) | instskip(SKIP_1) | instid1(VALU_DEP_2)
	v_add_f32_e32 v11, v11, v12
	v_cvt_i32_f32_e32 v12, v13
	v_exp_f32_e32 v11, v11
	s_delay_alu instid0(TRANS32_DEP_1) | instskip(SKIP_1) | instid1(VALU_DEP_1)
	v_ldexp_f32 v11, v11, v12
	s_wait_alu 0xfffd
	v_cndmask_b32_e32 v11, 0, v11, vcc_lo
	v_cmp_nlt_f32_e32 vcc_lo, 0x42b17218, v10
	s_wait_alu 0xfffd
	s_delay_alu instid0(VALU_DEP_2) | instskip(SKIP_2) | instid1(VALU_DEP_2)
	v_cndmask_b32_e32 v12, 0x7f800000, v11, vcc_lo
	v_lshlrev_b64_e32 v[10:11], 2, v[0:1]
	v_add_nc_u32_e32 v0, s0, v0
	v_add_co_u32 v10, vcc_lo, s6, v10
	s_wait_alu 0xfffd
	s_delay_alu instid0(VALU_DEP_3) | instskip(SKIP_4) | instid1(VALU_DEP_3)
	v_add_co_ci_u32_e64 v11, null, s7, v11, vcc_lo
	global_store_b32 v[10:11], v12, off
	v_lshlrev_b64_e32 v[10:11], 2, v[0:1]
	v_mov_b32_e32 v12, 0x5368d4a5
	v_add_nc_u32_e32 v0, s0, v0
	v_add_co_u32 v10, vcc_lo, s6, v10
	s_wait_alu 0xfffd
	s_delay_alu instid0(VALU_DEP_4) | instskip(SKIP_4) | instid1(VALU_DEP_3)
	v_add_co_ci_u32_e64 v11, null, s7, v11, vcc_lo
	global_store_b32 v[10:11], v12, off
	v_lshlrev_b64_e32 v[10:11], 2, v[0:1]
	v_mov_b32_e32 v12, 0x5542fee4
	v_add_nc_u32_e32 v0, s0, v0
	v_add_co_u32 v10, vcc_lo, s6, v10
	s_wait_alu 0xfffd
	s_delay_alu instid0(VALU_DEP_4) | instskip(SKIP_4) | instid1(VALU_DEP_1)
	v_add_co_ci_u32_e64 v11, null, s7, v11, vcc_lo
	global_store_b32 v[10:11], v12, off
	s_wait_alu 0xfffe
	v_fmaak_f32 v10, s5, v2, 0x4121b3ee
	s_mov_b32 s5, 0x4033d70a
	v_fmamk_f32 v10, v3, 0xc522ea99, v10
	s_delay_alu instid0(VALU_DEP_1) | instskip(SKIP_1) | instid1(VALU_DEP_2)
	v_mul_f32_e32 v11, 0x3fb8aa3b, v10
	v_cmp_ngt_f32_e32 vcc_lo, 0xc2ce8ed0, v10
	v_fma_f32 v12, 0x3fb8aa3b, v10, -v11
	v_rndne_f32_e32 v13, v11
	s_delay_alu instid0(VALU_DEP_1) | instskip(NEXT) | instid1(VALU_DEP_1)
	v_dual_fmac_f32 v12, 0x32a5705f, v10 :: v_dual_sub_f32 v11, v11, v13
	v_add_f32_e32 v11, v11, v12
	v_cvt_i32_f32_e32 v12, v13
	s_delay_alu instid0(VALU_DEP_2) | instskip(NEXT) | instid1(TRANS32_DEP_1)
	v_exp_f32_e32 v11, v11
	v_ldexp_f32 v11, v11, v12
	s_wait_alu 0xfffd
	s_delay_alu instid0(VALU_DEP_1) | instskip(SKIP_2) | instid1(VALU_DEP_2)
	v_cndmask_b32_e32 v11, 0, v11, vcc_lo
	v_cmp_nlt_f32_e32 vcc_lo, 0x42b17218, v10
	s_wait_alu 0xfffd
	v_cndmask_b32_e32 v12, 0x7f800000, v11, vcc_lo
	v_lshlrev_b64_e32 v[10:11], 2, v[0:1]
	v_add_nc_u32_e32 v0, s0, v0
	s_delay_alu instid0(VALU_DEP_2) | instskip(SKIP_1) | instid1(VALU_DEP_3)
	v_add_co_u32 v10, vcc_lo, s6, v10
	s_wait_alu 0xfffd
	v_add_co_ci_u32_e64 v11, null, s7, v11, vcc_lo
	global_store_b32 v[10:11], v12, off
	v_lshlrev_b64_e32 v[10:11], 2, v[0:1]
	v_add_nc_u32_e32 v0, s0, v0
	v_mov_b32_e32 v12, 0x54f6ccec
	s_delay_alu instid0(VALU_DEP_3) | instskip(SKIP_1) | instid1(VALU_DEP_4)
	v_add_co_u32 v10, vcc_lo, s6, v10
	s_wait_alu 0xfffd
	v_add_co_ci_u32_e64 v11, null, s7, v11, vcc_lo
	global_store_b32 v[10:11], v6, off
	v_lshlrev_b64_e32 v[10:11], 2, v[0:1]
	v_add_nc_u32_e32 v0, s0, v0
	s_delay_alu instid0(VALU_DEP_2) | instskip(SKIP_1) | instid1(VALU_DEP_3)
	v_add_co_u32 v10, vcc_lo, s6, v10
	s_wait_alu 0xfffd
	v_add_co_ci_u32_e64 v11, null, s7, v11, vcc_lo
	global_store_b32 v[10:11], v12, off
	v_lshlrev_b64_e32 v[10:11], 2, v[0:1]
	v_mov_b32_e32 v12, 0x5582f79d
	v_add_nc_u32_e32 v0, s0, v0
	s_delay_alu instid0(VALU_DEP_3) | instskip(SKIP_1) | instid1(VALU_DEP_4)
	v_add_co_u32 v10, vcc_lo, s6, v10
	s_wait_alu 0xfffd
	v_add_co_ci_u32_e64 v11, null, s7, v11, vcc_lo
	global_store_b32 v[10:11], v12, off
	s_wait_alu 0xfffe
	v_fmaak_f32 v10, s5, v2, 0x4101b939
	s_mov_b32 s5, 0xbf7851ec
	s_delay_alu instid0(VALU_DEP_1) | instskip(NEXT) | instid1(VALU_DEP_1)
	v_fmamk_f32 v10, v3, 0xc5384d98, v10
	v_mul_f32_e32 v11, 0x3fb8aa3b, v10
	v_cmp_ngt_f32_e32 vcc_lo, 0xc2ce8ed0, v10
	s_delay_alu instid0(VALU_DEP_2) | instskip(SKIP_1) | instid1(VALU_DEP_1)
	v_fma_f32 v12, 0x3fb8aa3b, v10, -v11
	v_rndne_f32_e32 v13, v11
	v_dual_fmac_f32 v12, 0x32a5705f, v10 :: v_dual_sub_f32 v11, v11, v13
	s_delay_alu instid0(VALU_DEP_1) | instskip(SKIP_1) | instid1(VALU_DEP_2)
	v_add_f32_e32 v11, v11, v12
	v_cvt_i32_f32_e32 v12, v13
	v_exp_f32_e32 v11, v11
	s_delay_alu instid0(TRANS32_DEP_1) | instskip(SKIP_1) | instid1(VALU_DEP_1)
	v_ldexp_f32 v11, v11, v12
	s_wait_alu 0xfffd
	v_cndmask_b32_e32 v11, 0, v11, vcc_lo
	v_cmp_nlt_f32_e32 vcc_lo, 0x42b17218, v10
	s_wait_alu 0xfffd
	s_delay_alu instid0(VALU_DEP_2) | instskip(SKIP_2) | instid1(VALU_DEP_2)
	v_cndmask_b32_e32 v12, 0x7f800000, v11, vcc_lo
	v_lshlrev_b64_e32 v[10:11], 2, v[0:1]
	v_add_nc_u32_e32 v0, s0, v0
	v_add_co_u32 v10, vcc_lo, s6, v10
	s_wait_alu 0xfffd
	s_delay_alu instid0(VALU_DEP_3) | instskip(SKIP_3) | instid1(VALU_DEP_2)
	v_add_co_ci_u32_e64 v11, null, s7, v11, vcc_lo
	global_store_b32 v[10:11], v12, off
	v_lshlrev_b64_e32 v[10:11], 2, v[0:1]
	v_add_nc_u32_e32 v0, s0, v0
	v_add_co_u32 v10, vcc_lo, s6, v10
	s_wait_alu 0xfffd
	s_delay_alu instid0(VALU_DEP_3) | instskip(SKIP_2) | instid1(VALU_DEP_1)
	v_add_co_ci_u32_e64 v11, null, s7, v11, vcc_lo
	global_store_b32 v[10:11], v9, off
	v_mul_f32_e32 v9, 0x438f6ab0, v3
	v_mul_f32_e32 v10, 0x3fb8aa3b, v9
	v_cmp_ngt_f32_e32 vcc_lo, 0xc2ce8ed0, v9
	s_delay_alu instid0(VALU_DEP_2) | instskip(SKIP_1) | instid1(VALU_DEP_1)
	v_fma_f32 v11, 0x3fb8aa3b, v9, -v10
	v_rndne_f32_e32 v12, v10
	v_dual_fmac_f32 v11, 0x32a5705f, v9 :: v_dual_sub_f32 v10, v10, v12
	s_delay_alu instid0(VALU_DEP_1) | instskip(SKIP_1) | instid1(VALU_DEP_2)
	v_add_f32_e32 v10, v10, v11
	v_cvt_i32_f32_e32 v11, v12
	v_exp_f32_e32 v10, v10
	s_delay_alu instid0(TRANS32_DEP_1) | instskip(SKIP_1) | instid1(VALU_DEP_1)
	v_ldexp_f32 v10, v10, v11
	s_wait_alu 0xfffd
	v_cndmask_b32_e32 v10, 0, v10, vcc_lo
	v_cmp_nlt_f32_e32 vcc_lo, 0x42b17218, v9
	s_wait_alu 0xfffd
	s_delay_alu instid0(VALU_DEP_2) | instskip(SKIP_1) | instid1(VALU_DEP_2)
	v_cndmask_b32_e32 v11, 0x7f800000, v10, vcc_lo
	v_lshlrev_b64_e32 v[9:10], 2, v[0:1]
	v_mul_f32_e32 v12, 0x552e9f7c, v11
	s_delay_alu instid0(VALU_DEP_2) | instskip(SKIP_1) | instid1(VALU_DEP_3)
	v_add_co_u32 v9, vcc_lo, s6, v9
	s_wait_alu 0xfffd
	v_add_co_ci_u32_e64 v10, null, s7, v10, vcc_lo
	global_store_b32 v[9:10], v12, off
	v_mad_co_u64_u32 v[9:10], null, s0, 15, v[0:1]
	v_mov_b32_e32 v10, v1
	v_mul_f32_e32 v12, 0x5568d4a5, v11
	s_wait_alu 0xfffe
	v_fmaak_f32 v0, s5, v2, 0x42165f01
	s_mov_b32 s5, 0x3dcccccd
	s_delay_alu instid0(VALU_DEP_4) | instskip(NEXT) | instid1(VALU_DEP_2)
	v_lshlrev_b64_e32 v[10:11], 2, v[9:10]
	v_fmamk_f32 v0, v3, 0xc39bff46, v0
	s_delay_alu instid0(VALU_DEP_2) | instskip(SKIP_1) | instid1(VALU_DEP_3)
	v_add_co_u32 v10, vcc_lo, s6, v10
	s_wait_alu 0xfffd
	v_add_co_ci_u32_e64 v11, null, s7, v11, vcc_lo
	s_delay_alu instid0(VALU_DEP_3) | instskip(SKIP_2) | instid1(VALU_DEP_1)
	v_cmp_ngt_f32_e32 vcc_lo, 0xc2ce8ed0, v0
	global_store_b32 v[10:11], v12, off
	v_mul_f32_e32 v10, 0x3fb8aa3b, v0
	v_fma_f32 v11, 0x3fb8aa3b, v0, -v10
	v_rndne_f32_e32 v12, v10
	s_delay_alu instid0(VALU_DEP_2) | instskip(NEXT) | instid1(VALU_DEP_2)
	v_fmac_f32_e32 v11, 0x32a5705f, v0
	v_sub_f32_e32 v10, v10, v12
	s_delay_alu instid0(VALU_DEP_1) | instskip(SKIP_1) | instid1(VALU_DEP_2)
	v_add_f32_e32 v10, v10, v11
	v_cvt_i32_f32_e32 v11, v12
	v_exp_f32_e32 v10, v10
	s_delay_alu instid0(TRANS32_DEP_1) | instskip(SKIP_1) | instid1(VALU_DEP_1)
	v_ldexp_f32 v10, v10, v11
	s_wait_alu 0xfffd
	v_cndmask_b32_e32 v10, 0, v10, vcc_lo
	v_cmp_nlt_f32_e32 vcc_lo, 0x42b17218, v0
	s_wait_alu 0xfffd
	s_delay_alu instid0(VALU_DEP_2) | instskip(SKIP_2) | instid1(VALU_DEP_1)
	v_cndmask_b32_e32 v0, 0x7f800000, v10, vcc_lo
	v_mad_co_u64_u32 v[9:10], null, s0, -14, v[9:10]
	v_mov_b32_e32 v10, v1
	v_lshlrev_b64_e32 v[10:11], 2, v[9:10]
	s_delay_alu instid0(VALU_DEP_1) | instskip(SKIP_1) | instid1(VALU_DEP_2)
	v_add_co_u32 v10, vcc_lo, s6, v10
	s_wait_alu 0xfffd
	v_add_co_ci_u32_e64 v11, null, s7, v11, vcc_lo
	global_store_b32 v[10:11], v0, off
	s_wait_alu 0xfffe
	v_fmaak_f32 v0, s5, v2, 0x41e9e85c
	s_mov_b32 s5, 0x40f33333
	s_delay_alu instid0(VALU_DEP_1) | instskip(NEXT) | instid1(VALU_DEP_1)
	v_fmamk_f32 v0, v3, 0xc5a6b0c6, v0
	v_mul_f32_e32 v10, 0x3fb8aa3b, v0
	v_cmp_ngt_f32_e32 vcc_lo, 0xc2ce8ed0, v0
	s_delay_alu instid0(VALU_DEP_2) | instskip(SKIP_1) | instid1(VALU_DEP_2)
	v_fma_f32 v11, 0x3fb8aa3b, v0, -v10
	v_rndne_f32_e32 v12, v10
	v_fmac_f32_e32 v11, 0x32a5705f, v0
	s_delay_alu instid0(VALU_DEP_2) | instskip(NEXT) | instid1(VALU_DEP_1)
	v_sub_f32_e32 v10, v10, v12
	v_add_f32_e32 v10, v10, v11
	v_cvt_i32_f32_e32 v11, v12
	s_delay_alu instid0(VALU_DEP_2) | instskip(NEXT) | instid1(TRANS32_DEP_1)
	v_exp_f32_e32 v10, v10
	v_ldexp_f32 v10, v10, v11
	s_wait_alu 0xfffd
	s_delay_alu instid0(VALU_DEP_1) | instskip(SKIP_3) | instid1(VALU_DEP_3)
	v_cndmask_b32_e32 v10, 0, v10, vcc_lo
	v_cmp_nlt_f32_e32 vcc_lo, 0x42b17218, v0
	v_add_nc_u32_e32 v0, s0, v9
	s_wait_alu 0xfffd
	v_cndmask_b32_e32 v11, 0x7f800000, v10, vcc_lo
	s_delay_alu instid0(VALU_DEP_2) | instskip(SKIP_1) | instid1(VALU_DEP_2)
	v_lshlrev_b64_e32 v[9:10], 2, v[0:1]
	v_add_nc_u32_e32 v0, s0, v0
	v_add_co_u32 v9, vcc_lo, s6, v9
	s_wait_alu 0xfffd
	s_delay_alu instid0(VALU_DEP_3) | instskip(SKIP_3) | instid1(VALU_DEP_2)
	v_add_co_ci_u32_e64 v10, null, s7, v10, vcc_lo
	global_store_b32 v[9:10], v11, off
	v_lshlrev_b64_e32 v[9:10], 2, v[0:1]
	v_add_nc_u32_e32 v0, s0, v0
	v_add_co_u32 v9, vcc_lo, s6, v9
	s_wait_alu 0xfffd
	s_delay_alu instid0(VALU_DEP_3) | instskip(SKIP_3) | instid1(VALU_DEP_2)
	v_add_co_ci_u32_e64 v10, null, s7, v10, vcc_lo
	global_store_b32 v[9:10], v4, off
	;; [unrolled: 7-line block ×3, first 2 shown]
	v_lshlrev_b64_e32 v[9:10], 2, v[0:1]
	v_add_nc_u32_e32 v0, s0, v0
	v_add_co_u32 v9, vcc_lo, s6, v9
	s_wait_alu 0xfffd
	s_delay_alu instid0(VALU_DEP_3) | instskip(SKIP_4) | instid1(VALU_DEP_3)
	v_add_co_ci_u32_e64 v10, null, s7, v10, vcc_lo
	global_store_b32 v[9:10], v8, off
	v_lshlrev_b64_e32 v[8:9], 2, v[0:1]
	v_mov_b32_e32 v10, 0x5568d4a5
	v_add_nc_u32_e32 v0, s0, v0
	v_add_co_u32 v8, vcc_lo, s6, v8
	s_wait_alu 0xfffd
	s_delay_alu instid0(VALU_DEP_4) | instskip(SKIP_3) | instid1(VALU_DEP_2)
	v_add_co_ci_u32_e64 v9, null, s7, v9, vcc_lo
	global_store_b32 v[8:9], v10, off
	v_lshlrev_b64_e32 v[8:9], 2, v[0:1]
	v_add_nc_u32_e32 v0, s0, v0
	v_add_co_u32 v10, vcc_lo, s6, v8
	s_wait_alu 0xfffd
	s_delay_alu instid0(VALU_DEP_3)
	v_add_co_ci_u32_e64 v11, null, s7, v9, vcc_lo
	v_mov_b32_e32 v9, 0x551184e7
	v_mov_b32_e32 v8, 0x549184e7
	global_store_b32 v[10:11], v9, off
	v_lshlrev_b64_e32 v[10:11], 2, v[0:1]
	v_add_nc_u32_e32 v0, s0, v0
	s_delay_alu instid0(VALU_DEP_2) | instskip(SKIP_1) | instid1(VALU_DEP_3)
	v_add_co_u32 v10, vcc_lo, s6, v10
	s_wait_alu 0xfffd
	v_add_co_ci_u32_e64 v11, null, s7, v11, vcc_lo
	global_store_b32 v[10:11], v8, off
	s_wait_alu 0xfffe
	v_fmaak_f32 v8, s5, v2, 0xc1e3d654
	s_mov_b32 s5, 0x3fcf5c29
	s_delay_alu instid0(VALU_DEP_1) | instskip(NEXT) | instid1(VALU_DEP_1)
	v_fmamk_f32 v8, v3, 0x44de0b5b, v8
	v_mul_f32_e32 v10, 0x3fb8aa3b, v8
	v_cmp_ngt_f32_e32 vcc_lo, 0xc2ce8ed0, v8
	s_delay_alu instid0(VALU_DEP_2) | instskip(SKIP_1) | instid1(VALU_DEP_2)
	v_fma_f32 v11, 0x3fb8aa3b, v8, -v10
	v_rndne_f32_e32 v12, v10
	v_fmac_f32_e32 v11, 0x32a5705f, v8
	s_delay_alu instid0(VALU_DEP_2) | instskip(NEXT) | instid1(VALU_DEP_1)
	v_sub_f32_e32 v10, v10, v12
	v_add_f32_e32 v10, v10, v11
	v_cvt_i32_f32_e32 v11, v12
	s_delay_alu instid0(VALU_DEP_2) | instskip(NEXT) | instid1(TRANS32_DEP_1)
	v_exp_f32_e32 v10, v10
	v_ldexp_f32 v10, v10, v11
	s_wait_alu 0xfffd
	s_delay_alu instid0(VALU_DEP_1) | instskip(SKIP_2) | instid1(VALU_DEP_2)
	v_cndmask_b32_e32 v10, 0, v10, vcc_lo
	v_cmp_nlt_f32_e32 vcc_lo, 0x42b17218, v8
	s_wait_alu 0xfffd
	v_cndmask_b32_e32 v8, 0x7f800000, v10, vcc_lo
	v_lshlrev_b64_e32 v[10:11], 2, v[0:1]
	v_add_nc_u32_e32 v0, s0, v0
	s_delay_alu instid0(VALU_DEP_2) | instskip(SKIP_1) | instid1(VALU_DEP_3)
	v_add_co_u32 v10, vcc_lo, s6, v10
	s_wait_alu 0xfffd
	v_add_co_ci_u32_e64 v11, null, s7, v11, vcc_lo
	global_store_b32 v[10:11], v8, off
	s_wait_alu 0xfffe
	v_fmaak_f32 v8, s5, v2, 0x41a27646
	s_delay_alu instid0(VALU_DEP_1) | instskip(NEXT) | instid1(VALU_DEP_1)
	v_fmamk_f32 v8, v3, 0xc5aa76f3, v8
	v_mul_f32_e32 v10, 0x3fb8aa3b, v8
	v_cmp_ngt_f32_e32 vcc_lo, 0xc2ce8ed0, v8
	s_delay_alu instid0(VALU_DEP_2) | instskip(SKIP_1) | instid1(VALU_DEP_2)
	v_fma_f32 v11, 0x3fb8aa3b, v8, -v10
	v_rndne_f32_e32 v12, v10
	v_fmac_f32_e32 v11, 0x32a5705f, v8
	s_delay_alu instid0(VALU_DEP_2) | instskip(NEXT) | instid1(VALU_DEP_1)
	v_sub_f32_e32 v10, v10, v12
	v_add_f32_e32 v10, v10, v11
	v_cvt_i32_f32_e32 v11, v12
	s_delay_alu instid0(VALU_DEP_2) | instskip(NEXT) | instid1(TRANS32_DEP_1)
	v_exp_f32_e32 v10, v10
	v_ldexp_f32 v10, v10, v11
	s_wait_alu 0xfffd
	s_delay_alu instid0(VALU_DEP_1) | instskip(SKIP_2) | instid1(VALU_DEP_2)
	v_cndmask_b32_e32 v10, 0, v10, vcc_lo
	v_cmp_nlt_f32_e32 vcc_lo, 0x42b17218, v8
	s_wait_alu 0xfffd
	v_cndmask_b32_e32 v8, 0x7f800000, v10, vcc_lo
	v_lshlrev_b64_e32 v[10:11], 2, v[0:1]
	v_add_nc_u32_e32 v0, s0, v0
	s_delay_alu instid0(VALU_DEP_2) | instskip(SKIP_1) | instid1(VALU_DEP_3)
	v_add_co_u32 v10, vcc_lo, s6, v10
	s_wait_alu 0xfffd
	v_add_co_ci_u32_e64 v11, null, s7, v11, vcc_lo
	global_store_b32 v[10:11], v8, off
	v_fmaak_f32 v8, s3, v2, 0x41a5f1ce
	s_mov_b32 s3, 0xc3d6df9f
	s_delay_alu instid0(VALU_DEP_1) | instskip(NEXT) | instid1(VALU_DEP_1)
	v_fmamk_f32 v8, v3, 0xc5873d4f, v8
	v_mul_f32_e32 v10, 0x3fb8aa3b, v8
	v_cmp_ngt_f32_e32 vcc_lo, 0xc2ce8ed0, v8
	s_delay_alu instid0(VALU_DEP_2) | instskip(SKIP_1) | instid1(VALU_DEP_2)
	v_fma_f32 v11, 0x3fb8aa3b, v8, -v10
	v_rndne_f32_e32 v12, v10
	v_fmac_f32_e32 v11, 0x32a5705f, v8
	s_delay_alu instid0(VALU_DEP_2) | instskip(NEXT) | instid1(VALU_DEP_1)
	v_sub_f32_e32 v10, v10, v12
	v_add_f32_e32 v10, v10, v11
	v_cvt_i32_f32_e32 v11, v12
	s_delay_alu instid0(VALU_DEP_2) | instskip(NEXT) | instid1(TRANS32_DEP_1)
	v_exp_f32_e32 v10, v10
	v_ldexp_f32 v10, v10, v11
	s_wait_alu 0xfffd
	s_delay_alu instid0(VALU_DEP_1) | instskip(SKIP_2) | instid1(VALU_DEP_2)
	v_cndmask_b32_e32 v10, 0, v10, vcc_lo
	v_cmp_nlt_f32_e32 vcc_lo, 0x42b17218, v8
	s_wait_alu 0xfffd
	v_cndmask_b32_e32 v8, 0x7f800000, v10, vcc_lo
	v_lshlrev_b64_e32 v[10:11], 2, v[0:1]
	v_add_nc_u32_e32 v0, s0, v0
	s_delay_alu instid0(VALU_DEP_2) | instskip(SKIP_1) | instid1(VALU_DEP_3)
	v_add_co_u32 v10, vcc_lo, s6, v10
	s_wait_alu 0xfffd
	v_add_co_ci_u32_e64 v11, null, s7, v11, vcc_lo
	global_store_b32 v[10:11], v8, off
	v_fmaak_f32 v8, s4, v2, 0x41935d8e
	s_mov_b32 s4, 0xc13d1eb8
	s_delay_alu instid0(VALU_DEP_1) | instskip(NEXT) | instid1(VALU_DEP_1)
	v_fmamk_f32 v8, v3, 0xc4c44127, v8
	v_mul_f32_e32 v10, 0x3fb8aa3b, v8
	v_cmp_ngt_f32_e32 vcc_lo, 0xc2ce8ed0, v8
	s_delay_alu instid0(VALU_DEP_2) | instskip(SKIP_1) | instid1(VALU_DEP_2)
	v_fma_f32 v11, 0x3fb8aa3b, v8, -v10
	v_rndne_f32_e32 v12, v10
	v_fmac_f32_e32 v11, 0x32a5705f, v8
	s_delay_alu instid0(VALU_DEP_2) | instskip(NEXT) | instid1(VALU_DEP_1)
	v_sub_f32_e32 v10, v10, v12
	v_add_f32_e32 v10, v10, v11
	v_cvt_i32_f32_e32 v11, v12
	s_delay_alu instid0(VALU_DEP_2) | instskip(NEXT) | instid1(TRANS32_DEP_1)
	v_exp_f32_e32 v10, v10
	v_ldexp_f32 v10, v10, v11
	s_wait_alu 0xfffd
	s_delay_alu instid0(VALU_DEP_1) | instskip(SKIP_2) | instid1(VALU_DEP_2)
	v_cndmask_b32_e32 v10, 0, v10, vcc_lo
	v_cmp_nlt_f32_e32 vcc_lo, 0x42b17218, v8
	s_wait_alu 0xfffd
	v_cndmask_b32_e32 v8, 0x7f800000, v10, vcc_lo
	v_lshlrev_b64_e32 v[10:11], 2, v[0:1]
	v_add_nc_u32_e32 v0, s0, v0
	s_delay_alu instid0(VALU_DEP_2) | instskip(SKIP_1) | instid1(VALU_DEP_3)
	v_add_co_u32 v10, vcc_lo, s6, v10
	s_wait_alu 0xfffd
	v_add_co_ci_u32_e64 v11, null, s7, v11, vcc_lo
	global_store_b32 v[10:11], v8, off
	v_lshlrev_b64_e32 v[10:11], 2, v[0:1]
	v_mov_b32_e32 v8, 0x565a475b
	v_add_nc_u32_e32 v0, s0, v0
	s_delay_alu instid0(VALU_DEP_3) | instskip(SKIP_1) | instid1(VALU_DEP_4)
	v_add_co_u32 v10, vcc_lo, s6, v10
	s_wait_alu 0xfffd
	v_add_co_ci_u32_e64 v11, null, s7, v11, vcc_lo
	global_store_b32 v[10:11], v8, off
	v_fmaak_f32 v10, 2.0, v2, 0x416b7364
	s_delay_alu instid0(VALU_DEP_1) | instskip(NEXT) | instid1(VALU_DEP_1)
	v_fmamk_f32 v10, v3, 0xc5820cd1, v10
	v_mul_f32_e32 v11, 0x3fb8aa3b, v10
	v_cmp_ngt_f32_e32 vcc_lo, 0xc2ce8ed0, v10
	s_delay_alu instid0(VALU_DEP_2) | instskip(SKIP_1) | instid1(VALU_DEP_1)
	v_fma_f32 v12, 0x3fb8aa3b, v10, -v11
	v_rndne_f32_e32 v13, v11
	v_dual_fmac_f32 v12, 0x32a5705f, v10 :: v_dual_sub_f32 v11, v11, v13
	s_delay_alu instid0(VALU_DEP_1) | instskip(SKIP_1) | instid1(VALU_DEP_2)
	v_add_f32_e32 v11, v11, v12
	v_cvt_i32_f32_e32 v12, v13
	v_exp_f32_e32 v11, v11
	s_delay_alu instid0(TRANS32_DEP_1) | instskip(SKIP_1) | instid1(VALU_DEP_1)
	v_ldexp_f32 v11, v11, v12
	s_wait_alu 0xfffd
	v_cndmask_b32_e32 v11, 0, v11, vcc_lo
	v_cmp_nlt_f32_e32 vcc_lo, 0x42b17218, v10
	s_wait_alu 0xfffd
	s_delay_alu instid0(VALU_DEP_2) | instskip(SKIP_2) | instid1(VALU_DEP_2)
	v_cndmask_b32_e32 v12, 0x7f800000, v11, vcc_lo
	v_lshlrev_b64_e32 v[10:11], 2, v[0:1]
	v_add_nc_u32_e32 v0, s1, v0
	v_add_co_u32 v10, vcc_lo, s6, v10
	s_wait_alu 0xfffd
	s_delay_alu instid0(VALU_DEP_3) | instskip(SKIP_3) | instid1(VALU_DEP_2)
	v_add_co_ci_u32_e64 v11, null, s7, v11, vcc_lo
	global_store_b32 v[10:11], v12, off
	v_lshlrev_b64_e32 v[10:11], 2, v[0:1]
	v_add_nc_u32_e32 v0, s0, v0
	v_add_co_u32 v12, vcc_lo, s6, v10
	s_wait_alu 0xfffd
	s_delay_alu instid0(VALU_DEP_3) | instskip(SKIP_4) | instid1(VALU_DEP_2)
	v_add_co_ci_u32_e64 v13, null, s7, v11, vcc_lo
	v_mov_b32_e32 v10, 0x56b5e621
	global_store_b32 v[12:13], v10, off
	v_lshlrev_b64_e32 v[11:12], 2, v[0:1]
	v_add_nc_u32_e32 v0, s0, v0
	v_add_co_u32 v11, vcc_lo, s6, v11
	s_wait_alu 0xfffd
	s_delay_alu instid0(VALU_DEP_3) | instskip(SKIP_4) | instid1(VALU_DEP_1)
	v_add_co_ci_u32_e64 v12, null, s7, v12, vcc_lo
	global_store_b32 v[11:12], v10, off
	s_wait_alu 0xfffe
	v_fmaak_f32 v11, s3, v3, 0x41e0cee6
	s_mov_b32 s3, 0xbf051eb8
	v_mul_f32_e32 v12, 0x3fb8aa3b, v11
	v_cmp_ngt_f32_e32 vcc_lo, 0xc2ce8ed0, v11
	s_delay_alu instid0(VALU_DEP_2) | instskip(SKIP_1) | instid1(VALU_DEP_1)
	v_fma_f32 v13, 0x3fb8aa3b, v11, -v12
	v_rndne_f32_e32 v14, v12
	v_dual_fmac_f32 v13, 0x32a5705f, v11 :: v_dual_sub_f32 v12, v12, v14
	s_delay_alu instid0(VALU_DEP_1) | instskip(SKIP_1) | instid1(VALU_DEP_2)
	v_add_f32_e32 v12, v12, v13
	v_cvt_i32_f32_e32 v13, v14
	v_exp_f32_e32 v12, v12
	s_delay_alu instid0(TRANS32_DEP_1) | instskip(SKIP_1) | instid1(VALU_DEP_1)
	v_ldexp_f32 v12, v12, v13
	s_wait_alu 0xfffd
	v_cndmask_b32_e32 v12, 0, v12, vcc_lo
	v_cmp_nlt_f32_e32 vcc_lo, 0x42b17218, v11
	s_wait_alu 0xfffd
	s_delay_alu instid0(VALU_DEP_2) | instskip(SKIP_2) | instid1(VALU_DEP_2)
	v_cndmask_b32_e32 v13, 0x7f800000, v12, vcc_lo
	v_lshlrev_b64_e32 v[11:12], 2, v[0:1]
	v_add_nc_u32_e32 v0, s0, v0
	v_add_co_u32 v11, vcc_lo, s6, v11
	s_wait_alu 0xfffd
	s_delay_alu instid0(VALU_DEP_3) | instskip(SKIP_3) | instid1(VALU_DEP_2)
	v_add_co_ci_u32_e64 v12, null, s7, v12, vcc_lo
	global_store_b32 v[11:12], v13, off
	v_lshlrev_b64_e32 v[11:12], 2, v[0:1]
	v_add_nc_u32_e32 v0, s0, v0
	v_add_co_u32 v11, vcc_lo, s6, v11
	s_wait_alu 0xfffd
	s_delay_alu instid0(VALU_DEP_3) | instskip(SKIP_3) | instid1(VALU_DEP_2)
	v_add_co_ci_u32_e64 v12, null, s7, v12, vcc_lo
	global_store_b32 v[11:12], v4, off
	;; [unrolled: 7-line block ×3, first 2 shown]
	v_lshlrev_b64_e32 v[11:12], 2, v[0:1]
	v_add_nc_u32_e32 v0, s0, v0
	v_add_co_u32 v11, vcc_lo, s6, v11
	s_wait_alu 0xfffd
	s_delay_alu instid0(VALU_DEP_3) | instskip(SKIP_4) | instid1(VALU_DEP_1)
	v_add_co_ci_u32_e64 v12, null, s7, v12, vcc_lo
	global_store_b32 v[11:12], v9, off
	s_wait_alu 0xfffe
	v_fmaak_f32 v11, s3, v2, 0x42094335
	s_mov_b32 s3, 0x40900000
	v_fmamk_f32 v11, v3, 0xc6c7847e, v11
	s_delay_alu instid0(VALU_DEP_1) | instskip(SKIP_1) | instid1(VALU_DEP_2)
	v_mul_f32_e32 v12, 0x3fb8aa3b, v11
	v_cmp_ngt_f32_e32 vcc_lo, 0xc2ce8ed0, v11
	v_fma_f32 v13, 0x3fb8aa3b, v11, -v12
	v_rndne_f32_e32 v14, v12
	s_delay_alu instid0(VALU_DEP_1) | instskip(NEXT) | instid1(VALU_DEP_1)
	v_dual_fmac_f32 v13, 0x32a5705f, v11 :: v_dual_sub_f32 v12, v12, v14
	v_add_f32_e32 v12, v12, v13
	v_cvt_i32_f32_e32 v13, v14
	s_delay_alu instid0(VALU_DEP_2) | instskip(NEXT) | instid1(TRANS32_DEP_1)
	v_exp_f32_e32 v12, v12
	v_ldexp_f32 v12, v12, v13
	s_wait_alu 0xfffd
	s_delay_alu instid0(VALU_DEP_1) | instskip(SKIP_2) | instid1(VALU_DEP_2)
	v_cndmask_b32_e32 v12, 0, v12, vcc_lo
	v_cmp_nlt_f32_e32 vcc_lo, 0x42b17218, v11
	s_wait_alu 0xfffd
	v_cndmask_b32_e32 v13, 0x7f800000, v12, vcc_lo
	v_lshlrev_b64_e32 v[11:12], 2, v[0:1]
	v_add_nc_u32_e32 v0, s0, v0
	s_delay_alu instid0(VALU_DEP_2) | instskip(SKIP_1) | instid1(VALU_DEP_3)
	v_add_co_u32 v11, vcc_lo, s6, v11
	s_wait_alu 0xfffd
	v_add_co_ci_u32_e64 v12, null, s7, v12, vcc_lo
	global_store_b32 v[11:12], v13, off
	v_fmaak_f32 v11, s5, v2, 0x419e2bb8
	s_delay_alu instid0(VALU_DEP_1) | instskip(NEXT) | instid1(VALU_DEP_1)
	v_fmamk_f32 v11, v3, 0xc691a690, v11
	v_mul_f32_e32 v12, 0x3fb8aa3b, v11
	v_cmp_ngt_f32_e32 vcc_lo, 0xc2ce8ed0, v11
	s_delay_alu instid0(VALU_DEP_2) | instskip(SKIP_1) | instid1(VALU_DEP_1)
	v_fma_f32 v13, 0x3fb8aa3b, v11, -v12
	v_rndne_f32_e32 v14, v12
	v_dual_fmac_f32 v13, 0x32a5705f, v11 :: v_dual_sub_f32 v12, v12, v14
	s_delay_alu instid0(VALU_DEP_1) | instskip(SKIP_1) | instid1(VALU_DEP_2)
	v_add_f32_e32 v12, v12, v13
	v_cvt_i32_f32_e32 v13, v14
	v_exp_f32_e32 v12, v12
	s_delay_alu instid0(TRANS32_DEP_1) | instskip(SKIP_1) | instid1(VALU_DEP_1)
	v_ldexp_f32 v12, v12, v13
	s_wait_alu 0xfffd
	v_cndmask_b32_e32 v12, 0, v12, vcc_lo
	v_cmp_nlt_f32_e32 vcc_lo, 0x42b17218, v11
	s_wait_alu 0xfffd
	s_delay_alu instid0(VALU_DEP_2) | instskip(SKIP_2) | instid1(VALU_DEP_2)
	v_cndmask_b32_e32 v13, 0x7f800000, v12, vcc_lo
	v_lshlrev_b64_e32 v[11:12], 2, v[0:1]
	v_add_nc_u32_e32 v0, s0, v0
	v_add_co_u32 v11, vcc_lo, s6, v11
	s_wait_alu 0xfffd
	s_delay_alu instid0(VALU_DEP_3) | instskip(SKIP_3) | instid1(VALU_DEP_1)
	v_add_co_ci_u32_e64 v12, null, s7, v12, vcc_lo
	v_cmp_ngt_f32_e32 vcc_lo, 0xc2ce8ed0, v7
	global_store_b32 v[11:12], v13, off
	v_mul_f32_e32 v11, 0x3fb8aa3b, v7
	v_fma_f32 v12, 0x3fb8aa3b, v7, -v11
	v_rndne_f32_e32 v13, v11
	s_delay_alu instid0(VALU_DEP_1) | instskip(NEXT) | instid1(VALU_DEP_1)
	v_dual_fmac_f32 v12, 0x32a5705f, v7 :: v_dual_sub_f32 v11, v11, v13
	v_add_f32_e32 v11, v11, v12
	v_cvt_i32_f32_e32 v12, v13
	s_delay_alu instid0(VALU_DEP_2) | instskip(NEXT) | instid1(TRANS32_DEP_1)
	v_exp_f32_e32 v11, v11
	v_ldexp_f32 v11, v11, v12
	s_wait_alu 0xfffd
	s_delay_alu instid0(VALU_DEP_1) | instskip(SKIP_2) | instid1(VALU_DEP_2)
	v_cndmask_b32_e32 v11, 0, v11, vcc_lo
	v_cmp_nlt_f32_e32 vcc_lo, 0x42b17218, v7
	s_wait_alu 0xfffd
	v_cndmask_b32_e32 v7, 0x7f800000, v11, vcc_lo
	v_lshlrev_b64_e32 v[11:12], 2, v[0:1]
	s_delay_alu instid0(VALU_DEP_2) | instskip(SKIP_1) | instid1(VALU_DEP_3)
	v_dual_mul_f32 v13, 0x4b790600, v7 :: v_dual_add_nc_u32 v0, s0, v0
	v_mul_f32_e32 v7, 0x4a790600, v7
	v_add_co_u32 v11, vcc_lo, s6, v11
	s_wait_alu 0xfffd
	s_delay_alu instid0(VALU_DEP_4) | instskip(SKIP_3) | instid1(VALU_DEP_2)
	v_add_co_ci_u32_e64 v12, null, s7, v12, vcc_lo
	global_store_b32 v[11:12], v13, off
	v_lshlrev_b64_e32 v[11:12], 2, v[0:1]
	v_add_nc_u32_e32 v0, s0, v0
	v_add_co_u32 v11, vcc_lo, s6, v11
	s_wait_alu 0xfffd
	s_delay_alu instid0(VALU_DEP_3) | instskip(SKIP_4) | instid1(VALU_DEP_1)
	v_add_co_ci_u32_e64 v12, null, s7, v12, vcc_lo
	global_store_b32 v[11:12], v7, off
	s_wait_alu 0xfffe
	v_fmaak_f32 v7, s3, v2, 0xc106e571
	s_mov_b32 s3, 0xc53cb4cd
	v_fmamk_f32 v7, v3, 0x43fb9bbc, v7
	s_delay_alu instid0(VALU_DEP_1) | instskip(SKIP_1) | instid1(VALU_DEP_2)
	v_mul_f32_e32 v11, 0x3fb8aa3b, v7
	v_cmp_ngt_f32_e32 vcc_lo, 0xc2ce8ed0, v7
	v_fma_f32 v12, 0x3fb8aa3b, v7, -v11
	v_rndne_f32_e32 v13, v11
	s_delay_alu instid0(VALU_DEP_1) | instskip(NEXT) | instid1(VALU_DEP_1)
	v_dual_fmac_f32 v12, 0x32a5705f, v7 :: v_dual_sub_f32 v11, v11, v13
	v_add_f32_e32 v11, v11, v12
	v_cvt_i32_f32_e32 v12, v13
	s_delay_alu instid0(VALU_DEP_2) | instskip(NEXT) | instid1(TRANS32_DEP_1)
	v_exp_f32_e32 v11, v11
	v_ldexp_f32 v11, v11, v12
	s_wait_alu 0xfffd
	s_delay_alu instid0(VALU_DEP_1) | instskip(SKIP_2) | instid1(VALU_DEP_2)
	v_cndmask_b32_e32 v11, 0, v11, vcc_lo
	v_cmp_nlt_f32_e32 vcc_lo, 0x42b17218, v7
	s_wait_alu 0xfffd
	v_cndmask_b32_e32 v7, 0x7f800000, v11, vcc_lo
	v_lshlrev_b64_e32 v[11:12], 2, v[0:1]
	v_add_nc_u32_e32 v0, s0, v0
	s_delay_alu instid0(VALU_DEP_2) | instskip(SKIP_1) | instid1(VALU_DEP_3)
	v_add_co_u32 v11, vcc_lo, s6, v11
	s_wait_alu 0xfffd
	v_add_co_ci_u32_e64 v12, null, s7, v12, vcc_lo
	global_store_b32 v[11:12], v7, off
	v_fmaak_f32 v7, 4.0, v2, 0xc0f455f7
	s_delay_alu instid0(VALU_DEP_1) | instskip(NEXT) | instid1(VALU_DEP_1)
	v_fmamk_f32 v7, v3, 0x447b9bbc, v7
	v_mul_f32_e32 v11, 0x3fb8aa3b, v7
	v_cmp_ngt_f32_e32 vcc_lo, 0xc2ce8ed0, v7
	s_delay_alu instid0(VALU_DEP_2) | instskip(SKIP_1) | instid1(VALU_DEP_1)
	v_fma_f32 v12, 0x3fb8aa3b, v7, -v11
	v_rndne_f32_e32 v13, v11
	v_dual_fmac_f32 v12, 0x32a5705f, v7 :: v_dual_sub_f32 v11, v11, v13
	s_delay_alu instid0(VALU_DEP_1) | instskip(SKIP_1) | instid1(VALU_DEP_2)
	v_add_f32_e32 v11, v11, v12
	v_cvt_i32_f32_e32 v12, v13
	v_exp_f32_e32 v11, v11
	s_delay_alu instid0(TRANS32_DEP_1) | instskip(SKIP_1) | instid1(VALU_DEP_1)
	v_ldexp_f32 v11, v11, v12
	s_wait_alu 0xfffd
	v_cndmask_b32_e32 v11, 0, v11, vcc_lo
	v_cmp_nlt_f32_e32 vcc_lo, 0x42b17218, v7
	s_wait_alu 0xfffd
	s_delay_alu instid0(VALU_DEP_2) | instskip(SKIP_2) | instid1(VALU_DEP_2)
	v_cndmask_b32_e32 v7, 0x7f800000, v11, vcc_lo
	v_lshlrev_b64_e32 v[11:12], 2, v[0:1]
	v_add_nc_u32_e32 v0, s0, v0
	v_add_co_u32 v11, vcc_lo, s6, v11
	s_wait_alu 0xfffd
	s_delay_alu instid0(VALU_DEP_3) | instskip(SKIP_2) | instid1(VALU_DEP_1)
	v_add_co_ci_u32_e64 v12, null, s7, v12, vcc_lo
	global_store_b32 v[11:12], v7, off
	v_fmaak_f32 v7, 2.0, v2, 0x4180f1dc
	v_fmamk_f32 v11, v3, 0xc53cb4cd, v7
	v_fmac_f32_e32 v7, 0xc57b9bbc, v3
	s_delay_alu instid0(VALU_DEP_2) | instskip(SKIP_1) | instid1(VALU_DEP_2)
	v_mul_f32_e32 v12, 0x3fb8aa3b, v11
	v_cmp_ngt_f32_e32 vcc_lo, 0xc2ce8ed0, v11
	v_fma_f32 v13, 0x3fb8aa3b, v11, -v12
	v_rndne_f32_e32 v14, v12
	s_delay_alu instid0(VALU_DEP_1) | instskip(NEXT) | instid1(VALU_DEP_1)
	v_dual_fmac_f32 v13, 0x32a5705f, v11 :: v_dual_sub_f32 v12, v12, v14
	v_add_f32_e32 v12, v12, v13
	v_cvt_i32_f32_e32 v13, v14
	s_delay_alu instid0(VALU_DEP_2) | instskip(NEXT) | instid1(TRANS32_DEP_1)
	v_exp_f32_e32 v12, v12
	v_ldexp_f32 v12, v12, v13
	s_wait_alu 0xfffd
	s_delay_alu instid0(VALU_DEP_1) | instskip(SKIP_2) | instid1(VALU_DEP_2)
	v_cndmask_b32_e32 v12, 0, v12, vcc_lo
	v_cmp_nlt_f32_e32 vcc_lo, 0x42b17218, v11
	s_wait_alu 0xfffd
	v_cndmask_b32_e32 v13, 0x7f800000, v12, vcc_lo
	v_lshlrev_b64_e32 v[11:12], 2, v[0:1]
	v_add_nc_u32_e32 v0, s0, v0
	s_delay_alu instid0(VALU_DEP_2) | instskip(SKIP_1) | instid1(VALU_DEP_3)
	v_add_co_u32 v11, vcc_lo, s6, v11
	s_wait_alu 0xfffd
	v_add_co_ci_u32_e64 v12, null, s7, v12, vcc_lo
	global_store_b32 v[11:12], v13, off
	v_fmaak_f32 v11, s4, v2, 0x42fedc7c
	s_mov_b32 s4, 0xbd75c28f
	s_delay_alu instid0(VALU_DEP_1) | instskip(NEXT) | instid1(VALU_DEP_1)
	v_fmamk_f32 v11, v3, 0xc68c77dd, v11
	v_mul_f32_e32 v12, 0x3fb8aa3b, v11
	v_cmp_ngt_f32_e32 vcc_lo, 0xc2ce8ed0, v11
	s_delay_alu instid0(VALU_DEP_2) | instskip(SKIP_1) | instid1(VALU_DEP_1)
	v_fma_f32 v13, 0x3fb8aa3b, v11, -v12
	v_rndne_f32_e32 v14, v12
	v_dual_fmac_f32 v13, 0x32a5705f, v11 :: v_dual_sub_f32 v12, v12, v14
	s_delay_alu instid0(VALU_DEP_1) | instskip(SKIP_1) | instid1(VALU_DEP_2)
	v_add_f32_e32 v12, v12, v13
	v_cvt_i32_f32_e32 v13, v14
	v_exp_f32_e32 v12, v12
	s_delay_alu instid0(TRANS32_DEP_1) | instskip(SKIP_1) | instid1(VALU_DEP_1)
	v_ldexp_f32 v12, v12, v13
	s_wait_alu 0xfffd
	v_cndmask_b32_e32 v12, 0, v12, vcc_lo
	v_cmp_nlt_f32_e32 vcc_lo, 0x42b17218, v11
	s_wait_alu 0xfffd
	s_delay_alu instid0(VALU_DEP_2) | instskip(SKIP_2) | instid1(VALU_DEP_2)
	v_cndmask_b32_e32 v13, 0x7f800000, v12, vcc_lo
	v_lshlrev_b64_e32 v[11:12], 2, v[0:1]
	v_add_nc_u32_e32 v0, s0, v0
	v_add_co_u32 v11, vcc_lo, s6, v11
	s_wait_alu 0xfffd
	s_delay_alu instid0(VALU_DEP_3) | instskip(SKIP_3) | instid1(VALU_DEP_2)
	v_add_co_ci_u32_e64 v12, null, s7, v12, vcc_lo
	global_store_b32 v[11:12], v13, off
	v_lshlrev_b64_e32 v[11:12], 2, v[0:1]
	v_add_nc_u32_e32 v0, s0, v0
	v_add_co_u32 v11, vcc_lo, s6, v11
	s_wait_alu 0xfffd
	s_delay_alu instid0(VALU_DEP_3) | instskip(SKIP_3) | instid1(VALU_DEP_2)
	v_add_co_ci_u32_e64 v12, null, s7, v12, vcc_lo
	global_store_b32 v[11:12], v10, off
	;; [unrolled: 7-line block ×3, first 2 shown]
	v_lshlrev_b64_e32 v[11:12], 2, v[0:1]
	v_add_nc_u32_e32 v0, s0, v0
	v_add_co_u32 v11, vcc_lo, s6, v11
	s_wait_alu 0xfffd
	s_delay_alu instid0(VALU_DEP_3)
	v_add_co_ci_u32_e64 v12, null, s7, v12, vcc_lo
	global_store_b32 v[11:12], v5, off
	v_lshlrev_b64_e32 v[11:12], 2, v[0:1]
	s_wait_alu 0xfffe
	v_fmaak_f32 v5, s4, v2, 0x4205b870
	v_add_nc_u32_e32 v0, s0, v0
	s_mov_b32 s4, 0x3fb70a3d
	s_delay_alu instid0(VALU_DEP_3)
	v_add_co_u32 v11, vcc_lo, s6, v11
	s_wait_alu 0xfffd
	v_add_co_ci_u32_e64 v12, null, s7, v12, vcc_lo
	v_fmamk_f32 v5, v3, 0xc585aabc, v5
	global_store_b32 v[11:12], v9, off
	v_mul_f32_e32 v11, 0x3fb8aa3b, v5
	v_cmp_ngt_f32_e32 vcc_lo, 0xc2ce8ed0, v5
	s_delay_alu instid0(VALU_DEP_2) | instskip(SKIP_1) | instid1(VALU_DEP_2)
	v_fma_f32 v12, 0x3fb8aa3b, v5, -v11
	v_rndne_f32_e32 v13, v11
	v_fmac_f32_e32 v12, 0x32a5705f, v5
	s_delay_alu instid0(VALU_DEP_2) | instskip(NEXT) | instid1(VALU_DEP_1)
	v_sub_f32_e32 v11, v11, v13
	v_add_f32_e32 v11, v11, v12
	v_cvt_i32_f32_e32 v12, v13
	s_delay_alu instid0(VALU_DEP_2) | instskip(NEXT) | instid1(TRANS32_DEP_1)
	v_exp_f32_e32 v11, v11
	v_ldexp_f32 v11, v11, v12
	s_wait_alu 0xfffd
	s_delay_alu instid0(VALU_DEP_1) | instskip(SKIP_2) | instid1(VALU_DEP_2)
	v_cndmask_b32_e32 v11, 0, v11, vcc_lo
	v_cmp_nlt_f32_e32 vcc_lo, 0x42b17218, v5
	s_wait_alu 0xfffd
	v_cndmask_b32_e32 v5, 0x7f800000, v11, vcc_lo
	v_lshlrev_b64_e32 v[11:12], 2, v[0:1]
	v_add_nc_u32_e32 v0, s1, v0
	s_delay_alu instid0(VALU_DEP_2) | instskip(SKIP_1) | instid1(VALU_DEP_3)
	v_add_co_u32 v11, vcc_lo, s6, v11
	s_wait_alu 0xfffd
	v_add_co_ci_u32_e64 v12, null, s7, v12, vcc_lo
	global_store_b32 v[11:12], v5, off
	s_wait_alu 0xfffe
	v_fmaak_f32 v5, s4, v2, 0x41a907a4
	s_mov_b32 s4, 0xc429d5ec
	s_delay_alu instid0(VALU_DEP_1) | instskip(NEXT) | instid1(VALU_DEP_1)
	v_fmamk_f32 v5, v3, 0xc4a934e4, v5
	v_mul_f32_e32 v11, 0x3fb8aa3b, v5
	v_cmp_ngt_f32_e32 vcc_lo, 0xc2ce8ed0, v5
	s_delay_alu instid0(VALU_DEP_2) | instskip(SKIP_1) | instid1(VALU_DEP_2)
	v_fma_f32 v12, 0x3fb8aa3b, v5, -v11
	v_rndne_f32_e32 v13, v11
	v_fmac_f32_e32 v12, 0x32a5705f, v5
	s_delay_alu instid0(VALU_DEP_2) | instskip(NEXT) | instid1(VALU_DEP_1)
	v_sub_f32_e32 v11, v11, v13
	v_add_f32_e32 v11, v11, v12
	v_cvt_i32_f32_e32 v12, v13
	s_delay_alu instid0(VALU_DEP_2) | instskip(NEXT) | instid1(TRANS32_DEP_1)
	v_exp_f32_e32 v11, v11
	v_ldexp_f32 v11, v11, v12
	s_wait_alu 0xfffd
	s_delay_alu instid0(VALU_DEP_1) | instskip(SKIP_2) | instid1(VALU_DEP_2)
	v_cndmask_b32_e32 v11, 0, v11, vcc_lo
	v_cmp_nlt_f32_e32 vcc_lo, 0x42b17218, v5
	s_wait_alu 0xfffd
	v_cndmask_b32_e32 v5, 0x7f800000, v11, vcc_lo
	v_lshlrev_b64_e32 v[11:12], 2, v[0:1]
	v_add_nc_u32_e32 v0, s1, v0
	s_delay_alu instid0(VALU_DEP_2) | instskip(SKIP_1) | instid1(VALU_DEP_3)
	v_add_co_u32 v11, vcc_lo, s6, v11
	s_wait_alu 0xfffd
	v_add_co_ci_u32_e64 v12, null, s7, v12, vcc_lo
	global_store_b32 v[11:12], v5, off
	s_wait_alu 0xfffe
	v_fmaak_f32 v5, s4, v3, 0x41e1866d
	s_mov_b32 s4, 0x3e8a3d71
	s_delay_alu instid0(VALU_DEP_1) | instskip(SKIP_1) | instid1(VALU_DEP_2)
	v_mul_f32_e32 v11, 0x3fb8aa3b, v5
	v_cmp_ngt_f32_e32 vcc_lo, 0xc2ce8ed0, v5
	v_fma_f32 v12, 0x3fb8aa3b, v5, -v11
	v_rndne_f32_e32 v13, v11
	s_delay_alu instid0(VALU_DEP_2) | instskip(NEXT) | instid1(VALU_DEP_2)
	v_fmac_f32_e32 v12, 0x32a5705f, v5
	v_sub_f32_e32 v11, v11, v13
	s_delay_alu instid0(VALU_DEP_1) | instskip(SKIP_1) | instid1(VALU_DEP_2)
	v_add_f32_e32 v11, v11, v12
	v_cvt_i32_f32_e32 v12, v13
	v_exp_f32_e32 v11, v11
	s_delay_alu instid0(TRANS32_DEP_1) | instskip(SKIP_1) | instid1(VALU_DEP_1)
	v_ldexp_f32 v11, v11, v12
	s_wait_alu 0xfffd
	v_cndmask_b32_e32 v11, 0, v11, vcc_lo
	v_cmp_nlt_f32_e32 vcc_lo, 0x42b17218, v5
	s_wait_alu 0xfffd
	s_delay_alu instid0(VALU_DEP_2) | instskip(SKIP_2) | instid1(VALU_DEP_2)
	v_cndmask_b32_e32 v5, 0x7f800000, v11, vcc_lo
	v_lshlrev_b64_e32 v[11:12], 2, v[0:1]
	v_add_nc_u32_e32 v0, s0, v0
	v_add_co_u32 v11, vcc_lo, s6, v11
	s_wait_alu 0xfffd
	s_delay_alu instid0(VALU_DEP_3) | instskip(SKIP_2) | instid1(VALU_DEP_1)
	v_add_co_ci_u32_e64 v12, null, s7, v12, vcc_lo
	global_store_b32 v[11:12], v5, off
	v_mul_f32_e32 v5, 0xc47b9bbc, v3
	v_mul_f32_e32 v11, 0x3fb8aa3b, v5
	v_cmp_ngt_f32_e32 vcc_lo, 0xc2ce8ed0, v5
	s_delay_alu instid0(VALU_DEP_2) | instskip(SKIP_1) | instid1(VALU_DEP_2)
	v_fma_f32 v12, 0x3fb8aa3b, v5, -v11
	v_rndne_f32_e32 v13, v11
	v_fmac_f32_e32 v12, 0x32a5705f, v5
	s_delay_alu instid0(VALU_DEP_2) | instskip(NEXT) | instid1(VALU_DEP_1)
	v_sub_f32_e32 v11, v11, v13
	v_add_f32_e32 v11, v11, v12
	v_cvt_i32_f32_e32 v12, v13
	s_delay_alu instid0(VALU_DEP_2) | instskip(NEXT) | instid1(TRANS32_DEP_1)
	v_exp_f32_e32 v11, v11
	v_ldexp_f32 v11, v11, v12
	s_wait_alu 0xfffd
	s_delay_alu instid0(VALU_DEP_1) | instskip(SKIP_2) | instid1(VALU_DEP_2)
	v_cndmask_b32_e32 v11, 0, v11, vcc_lo
	v_cmp_nlt_f32_e32 vcc_lo, 0x42b17218, v5
	s_wait_alu 0xfffd
	v_cndmask_b32_e32 v5, 0x7f800000, v11, vcc_lo
	v_lshlrev_b64_e32 v[11:12], 2, v[0:1]
	s_delay_alu instid0(VALU_DEP_2) | instskip(SKIP_1) | instid1(VALU_DEP_3)
	v_mul_f32_e32 v13, 0x54da475b, v5
	v_mul_f32_e32 v14, 0x551184e7, v5
	v_add_co_u32 v11, vcc_lo, s6, v11
	s_wait_alu 0xfffd
	s_delay_alu instid0(VALU_DEP_4) | instskip(SKIP_4) | instid1(VALU_DEP_2)
	v_add_co_ci_u32_e64 v12, null, s7, v12, vcc_lo
	global_store_b32 v[11:12], v13, off
	v_mad_co_u64_u32 v[11:12], null, s0, 21, v[0:1]
	v_mov_b32_e32 v12, v1
	v_mul_f32_e32 v0, 0x559184e7, v5
	v_lshlrev_b64_e32 v[12:13], 2, v[11:12]
	s_delay_alu instid0(VALU_DEP_1) | instskip(SKIP_1) | instid1(VALU_DEP_2)
	v_add_co_u32 v12, vcc_lo, s6, v12
	s_wait_alu 0xfffd
	v_add_co_ci_u32_e64 v13, null, s7, v13, vcc_lo
	global_store_b32 v[12:13], v14, off
	v_mad_co_u64_u32 v[11:12], null, s0, 34, v[11:12]
	v_mov_b32_e32 v12, v1
	s_delay_alu instid0(VALU_DEP_1) | instskip(NEXT) | instid1(VALU_DEP_1)
	v_lshlrev_b64_e32 v[12:13], 2, v[11:12]
	v_add_co_u32 v12, vcc_lo, s6, v12
	s_wait_alu 0xfffd
	s_delay_alu instid0(VALU_DEP_2) | instskip(SKIP_4) | instid1(VALU_DEP_1)
	v_add_co_ci_u32_e64 v13, null, s7, v13, vcc_lo
	global_store_b32 v[12:13], v0, off
	s_wait_alu 0xfffe
	v_fmaak_f32 v0, s4, v2, 0x41eb7cfb
	s_mov_b32 s4, 0x3fce147b
	v_fmamk_f32 v0, v3, 0xc30ce692, v0
	s_delay_alu instid0(VALU_DEP_1) | instskip(SKIP_1) | instid1(VALU_DEP_2)
	v_mul_f32_e32 v5, 0x3fb8aa3b, v0
	v_cmp_ngt_f32_e32 vcc_lo, 0xc2ce8ed0, v0
	v_fma_f32 v12, 0x3fb8aa3b, v0, -v5
	v_rndne_f32_e32 v13, v5
	s_delay_alu instid0(VALU_DEP_1) | instskip(NEXT) | instid1(VALU_DEP_1)
	v_dual_fmac_f32 v12, 0x32a5705f, v0 :: v_dual_sub_f32 v5, v5, v13
	v_add_f32_e32 v5, v5, v12
	v_cvt_i32_f32_e32 v12, v13
	s_delay_alu instid0(VALU_DEP_2) | instskip(NEXT) | instid1(TRANS32_DEP_1)
	v_exp_f32_e32 v5, v5
	v_ldexp_f32 v5, v5, v12
	v_mad_co_u64_u32 v[11:12], null, 0xffffffca, s0, v[11:12]
	s_wait_alu 0xfffd
	s_delay_alu instid0(VALU_DEP_2) | instskip(SKIP_1) | instid1(VALU_DEP_2)
	v_dual_mov_b32 v12, v1 :: v_dual_cndmask_b32 v5, 0, v5
	v_cmp_nlt_f32_e32 vcc_lo, 0x42b17218, v0
	v_lshlrev_b64_e32 v[12:13], 2, v[11:12]
	s_wait_alu 0xfffd
	s_delay_alu instid0(VALU_DEP_3) | instskip(NEXT) | instid1(VALU_DEP_2)
	v_cndmask_b32_e32 v0, 0x7f800000, v5, vcc_lo
	v_add_co_u32 v12, vcc_lo, s6, v12
	s_wait_alu 0xfffd
	s_delay_alu instid0(VALU_DEP_3) | instskip(SKIP_2) | instid1(VALU_DEP_1)
	v_add_co_ci_u32_e64 v13, null, s7, v13, vcc_lo
	global_store_b32 v[12:13], v0, off
	v_add_nc_u32_e32 v0, s0, v11
	v_lshlrev_b64_e32 v[11:12], 2, v[0:1]
	v_add_nc_u32_e32 v0, s0, v0
	s_delay_alu instid0(VALU_DEP_2) | instskip(SKIP_1) | instid1(VALU_DEP_3)
	v_add_co_u32 v11, vcc_lo, s6, v11
	s_wait_alu 0xfffd
	v_add_co_ci_u32_e64 v12, null, s7, v12, vcc_lo
	global_store_b32 v[11:12], v6, off
	v_lshlrev_b64_e32 v[5:6], 2, v[0:1]
	v_dual_mov_b32 v11, 0x562e9f7c :: v_dual_add_nc_u32 v0, s0, v0
	s_delay_alu instid0(VALU_DEP_2) | instskip(SKIP_1) | instid1(VALU_DEP_3)
	v_add_co_u32 v5, vcc_lo, s6, v5
	s_wait_alu 0xfffd
	v_add_co_ci_u32_e64 v6, null, s7, v6, vcc_lo
	global_store_b32 v[5:6], v8, off
	v_lshlrev_b64_e32 v[5:6], 2, v[0:1]
	v_add_nc_u32_e32 v0, s0, v0
	s_delay_alu instid0(VALU_DEP_2) | instskip(SKIP_1) | instid1(VALU_DEP_3)
	v_add_co_u32 v5, vcc_lo, s6, v5
	s_wait_alu 0xfffd
	v_add_co_ci_u32_e64 v6, null, s7, v6, vcc_lo
	global_store_b32 v[5:6], v11, off
	v_lshlrev_b64_e32 v[5:6], 2, v[0:1]
	v_add_nc_u32_e32 v0, s0, v0
	s_delay_alu instid0(VALU_DEP_2) | instskip(SKIP_1) | instid1(VALU_DEP_3)
	v_add_co_u32 v5, vcc_lo, s6, v5
	s_wait_alu 0xfffd
	v_add_co_ci_u32_e64 v6, null, s7, v6, vcc_lo
	global_store_b32 v[5:6], v11, off
	v_lshlrev_b64_e32 v[5:6], 2, v[0:1]
	v_dual_mov_b32 v11, 0x55db143f :: v_dual_add_nc_u32 v0, s0, v0
	s_delay_alu instid0(VALU_DEP_2) | instskip(SKIP_1) | instid1(VALU_DEP_3)
	v_add_co_u32 v5, vcc_lo, s6, v5
	s_wait_alu 0xfffd
	v_add_co_ci_u32_e64 v6, null, s7, v6, vcc_lo
	global_store_b32 v[5:6], v11, off
	s_wait_alu 0xfffe
	v_fmaak_f32 v5, s4, v2, 0x4161bb1b
	s_mov_b32 s4, 0x3e947ae1
	s_delay_alu instid0(VALU_DEP_1) | instskip(NEXT) | instid1(VALU_DEP_1)
	v_fmamk_f32 v5, v3, 0x4340eeeb, v5
	v_mul_f32_e32 v6, 0x3fb8aa3b, v5
	v_cmp_ngt_f32_e32 vcc_lo, 0xc2ce8ed0, v5
	s_delay_alu instid0(VALU_DEP_2) | instskip(SKIP_1) | instid1(VALU_DEP_1)
	v_fma_f32 v11, 0x3fb8aa3b, v5, -v6
	v_rndne_f32_e32 v12, v6
	v_dual_fmac_f32 v11, 0x32a5705f, v5 :: v_dual_sub_f32 v6, v6, v12
	s_delay_alu instid0(VALU_DEP_1) | instskip(SKIP_1) | instid1(VALU_DEP_2)
	v_add_f32_e32 v6, v6, v11
	v_cvt_i32_f32_e32 v11, v12
	v_exp_f32_e32 v6, v6
	s_delay_alu instid0(TRANS32_DEP_1) | instskip(SKIP_1) | instid1(VALU_DEP_1)
	v_ldexp_f32 v6, v6, v11
	s_wait_alu 0xfffd
	v_cndmask_b32_e32 v6, 0, v6, vcc_lo
	v_cmp_nlt_f32_e32 vcc_lo, 0x42b17218, v5
	s_wait_alu 0xfffd
	s_delay_alu instid0(VALU_DEP_2) | instskip(SKIP_2) | instid1(VALU_DEP_2)
	v_cndmask_b32_e32 v11, 0x7f800000, v6, vcc_lo
	v_lshlrev_b64_e32 v[5:6], 2, v[0:1]
	v_add_nc_u32_e32 v0, s0, v0
	v_add_co_u32 v5, vcc_lo, s6, v5
	s_wait_alu 0xfffd
	s_delay_alu instid0(VALU_DEP_3) | instskip(SKIP_4) | instid1(VALU_DEP_1)
	v_add_co_ci_u32_e64 v6, null, s7, v6, vcc_lo
	global_store_b32 v[5:6], v11, off
	s_wait_alu 0xfffe
	v_fmaak_f32 v5, s4, v2, 0x41d36a98
	s_mov_b32 s4, 0xbfb1eb85
	v_fmamk_f32 v5, v3, 0xc0b121dc, v5
	s_delay_alu instid0(VALU_DEP_1) | instskip(SKIP_1) | instid1(VALU_DEP_2)
	v_mul_f32_e32 v6, 0x3fb8aa3b, v5
	v_cmp_ngt_f32_e32 vcc_lo, 0xc2ce8ed0, v5
	v_fma_f32 v11, 0x3fb8aa3b, v5, -v6
	v_rndne_f32_e32 v12, v6
	s_delay_alu instid0(VALU_DEP_1) | instskip(NEXT) | instid1(VALU_DEP_1)
	v_dual_fmac_f32 v11, 0x32a5705f, v5 :: v_dual_sub_f32 v6, v6, v12
	v_add_f32_e32 v6, v6, v11
	v_cvt_i32_f32_e32 v11, v12
	s_delay_alu instid0(VALU_DEP_2) | instskip(NEXT) | instid1(TRANS32_DEP_1)
	v_exp_f32_e32 v6, v6
	v_ldexp_f32 v6, v6, v11
	s_wait_alu 0xfffd
	s_delay_alu instid0(VALU_DEP_1) | instskip(SKIP_2) | instid1(VALU_DEP_2)
	v_cndmask_b32_e32 v6, 0, v6, vcc_lo
	v_cmp_nlt_f32_e32 vcc_lo, 0x42b17218, v5
	s_wait_alu 0xfffd
	v_cndmask_b32_e32 v11, 0x7f800000, v6, vcc_lo
	v_lshlrev_b64_e32 v[5:6], 2, v[0:1]
	v_add_nc_u32_e32 v0, s0, v0
	s_delay_alu instid0(VALU_DEP_2) | instskip(SKIP_1) | instid1(VALU_DEP_3)
	v_add_co_u32 v5, vcc_lo, s6, v5
	s_wait_alu 0xfffd
	v_add_co_ci_u32_e64 v6, null, s7, v6, vcc_lo
	global_store_b32 v[5:6], v11, off
	s_wait_alu 0xfffe
	v_fmaak_f32 v5, s4, v2, 0x4219783c
	s_mov_b32 s4, 0x4395f565
	s_delay_alu instid0(VALU_DEP_1) | instskip(NEXT) | instid1(VALU_DEP_1)
	v_fmamk_f32 v5, v3, 0xc3fe1fda, v5
	v_mul_f32_e32 v6, 0x3fb8aa3b, v5
	v_cmp_ngt_f32_e32 vcc_lo, 0xc2ce8ed0, v5
	s_delay_alu instid0(VALU_DEP_2) | instskip(SKIP_1) | instid1(VALU_DEP_1)
	v_fma_f32 v11, 0x3fb8aa3b, v5, -v6
	v_rndne_f32_e32 v12, v6
	v_dual_fmac_f32 v11, 0x32a5705f, v5 :: v_dual_sub_f32 v6, v6, v12
	s_delay_alu instid0(VALU_DEP_1) | instskip(SKIP_1) | instid1(VALU_DEP_2)
	v_add_f32_e32 v6, v6, v11
	v_cvt_i32_f32_e32 v11, v12
	v_exp_f32_e32 v6, v6
	s_delay_alu instid0(TRANS32_DEP_1) | instskip(SKIP_1) | instid1(VALU_DEP_1)
	v_ldexp_f32 v6, v6, v11
	s_wait_alu 0xfffd
	v_cndmask_b32_e32 v6, 0, v6, vcc_lo
	v_cmp_nlt_f32_e32 vcc_lo, 0x42b17218, v5
	s_wait_alu 0xfffd
	s_delay_alu instid0(VALU_DEP_2) | instskip(SKIP_2) | instid1(VALU_DEP_2)
	v_cndmask_b32_e32 v11, 0x7f800000, v6, vcc_lo
	v_lshlrev_b64_e32 v[5:6], 2, v[0:1]
	v_add_nc_u32_e32 v0, s0, v0
	v_add_co_u32 v5, vcc_lo, s6, v5
	s_wait_alu 0xfffd
	s_delay_alu instid0(VALU_DEP_3) | instskip(SKIP_3) | instid1(VALU_DEP_2)
	v_add_co_ci_u32_e64 v6, null, s7, v6, vcc_lo
	global_store_b32 v[5:6], v11, off
	v_lshlrev_b64_e32 v[5:6], 2, v[0:1]
	v_add_nc_u32_e32 v0, s0, v0
	v_add_co_u32 v5, vcc_lo, s6, v5
	s_wait_alu 0xfffd
	s_delay_alu instid0(VALU_DEP_3) | instskip(SKIP_4) | instid1(VALU_DEP_1)
	v_add_co_ci_u32_e64 v6, null, s7, v6, vcc_lo
	global_store_b32 v[5:6], v9, off
	s_wait_alu 0xfffe
	v_fmaak_f32 v5, s4, v3, 0x41b9bb55
	s_mov_b32 s4, 0xc0351eb8
	v_mul_f32_e32 v6, 0x3fb8aa3b, v5
	v_cmp_ngt_f32_e32 vcc_lo, 0xc2ce8ed0, v5
	s_delay_alu instid0(VALU_DEP_2) | instskip(SKIP_1) | instid1(VALU_DEP_1)
	v_fma_f32 v9, 0x3fb8aa3b, v5, -v6
	v_rndne_f32_e32 v11, v6
	v_dual_fmac_f32 v9, 0x32a5705f, v5 :: v_dual_sub_f32 v6, v6, v11
	s_delay_alu instid0(VALU_DEP_1) | instskip(SKIP_1) | instid1(VALU_DEP_2)
	v_add_f32_e32 v6, v6, v9
	v_cvt_i32_f32_e32 v9, v11
	v_exp_f32_e32 v6, v6
	s_delay_alu instid0(TRANS32_DEP_1) | instskip(SKIP_1) | instid1(VALU_DEP_1)
	v_ldexp_f32 v6, v6, v9
	s_wait_alu 0xfffd
	v_cndmask_b32_e32 v6, 0, v6, vcc_lo
	v_cmp_nlt_f32_e32 vcc_lo, 0x42b17218, v5
	s_wait_alu 0xfffd
	s_delay_alu instid0(VALU_DEP_2) | instskip(SKIP_2) | instid1(VALU_DEP_2)
	v_cndmask_b32_e32 v9, 0x7f800000, v6, vcc_lo
	v_lshlrev_b64_e32 v[5:6], 2, v[0:1]
	v_add_nc_u32_e32 v0, s0, v0
	v_add_co_u32 v5, vcc_lo, s6, v5
	s_wait_alu 0xfffd
	s_delay_alu instid0(VALU_DEP_3) | instskip(SKIP_3) | instid1(VALU_DEP_2)
	v_add_co_ci_u32_e64 v6, null, s7, v6, vcc_lo
	global_store_b32 v[5:6], v9, off
	v_lshlrev_b64_e32 v[5:6], 2, v[0:1]
	v_dual_mov_b32 v9, 0x56a44f2f :: v_dual_add_nc_u32 v0, s0, v0
	v_add_co_u32 v5, vcc_lo, s6, v5
	s_wait_alu 0xfffd
	s_delay_alu instid0(VALU_DEP_3) | instskip(SKIP_3) | instid1(VALU_DEP_2)
	v_add_co_ci_u32_e64 v6, null, s7, v6, vcc_lo
	global_store_b32 v[5:6], v9, off
	v_lshlrev_b64_e32 v[5:6], 2, v[0:1]
	v_dual_mov_b32 v9, 0x52b68a0b :: v_dual_add_nc_u32 v0, s0, v0
	;; [unrolled: 7-line block ×3, first 2 shown]
	v_add_co_u32 v5, vcc_lo, s6, v5
	s_wait_alu 0xfffd
	s_delay_alu instid0(VALU_DEP_3) | instskip(SKIP_4) | instid1(VALU_DEP_1)
	v_add_co_ci_u32_e64 v6, null, s7, v6, vcc_lo
	global_store_b32 v[5:6], v9, off
	s_wait_alu 0xfffe
	v_fmaak_f32 v5, s4, v2, 0x425eab87
	s_mov_b32 s4, 0xc1125a1d
	v_fmamk_f32 v5, v3, 0xc612638d, v5
	s_delay_alu instid0(VALU_DEP_1) | instskip(SKIP_1) | instid1(VALU_DEP_2)
	v_mul_f32_e32 v6, 0x3fb8aa3b, v5
	v_cmp_ngt_f32_e32 vcc_lo, 0xc2ce8ed0, v5
	v_fma_f32 v9, 0x3fb8aa3b, v5, -v6
	v_rndne_f32_e32 v11, v6
	s_delay_alu instid0(VALU_DEP_1) | instskip(NEXT) | instid1(VALU_DEP_1)
	v_dual_fmac_f32 v9, 0x32a5705f, v5 :: v_dual_sub_f32 v6, v6, v11
	v_add_f32_e32 v6, v6, v9
	v_cvt_i32_f32_e32 v9, v11
	s_delay_alu instid0(VALU_DEP_2) | instskip(NEXT) | instid1(TRANS32_DEP_1)
	v_exp_f32_e32 v6, v6
	v_ldexp_f32 v6, v6, v9
	s_wait_alu 0xfffd
	s_delay_alu instid0(VALU_DEP_1) | instskip(SKIP_2) | instid1(VALU_DEP_2)
	v_cndmask_b32_e32 v6, 0, v6, vcc_lo
	v_cmp_nlt_f32_e32 vcc_lo, 0x42b17218, v5
	s_wait_alu 0xfffd
	v_cndmask_b32_e32 v9, 0x7f800000, v6, vcc_lo
	v_lshlrev_b64_e32 v[5:6], 2, v[0:1]
	v_add_nc_u32_e32 v0, s0, v0
	s_delay_alu instid0(VALU_DEP_2) | instskip(SKIP_1) | instid1(VALU_DEP_3)
	v_add_co_u32 v5, vcc_lo, s6, v5
	s_wait_alu 0xfffd
	v_add_co_ci_u32_e64 v6, null, s7, v6, vcc_lo
	global_store_b32 v[5:6], v9, off
	s_wait_alu 0xfffe
	v_fmaak_f32 v5, s4, v2, 0x42c0eb94
	s_mov_b32 s4, 0x3ee147ae
	s_delay_alu instid0(VALU_DEP_1) | instskip(NEXT) | instid1(VALU_DEP_1)
	v_fmamk_f32 v5, v3, 0xc6b861b9, v5
	v_mul_f32_e32 v6, 0x3fb8aa3b, v5
	v_cmp_ngt_f32_e32 vcc_lo, 0xc2ce8ed0, v5
	s_delay_alu instid0(VALU_DEP_2) | instskip(SKIP_1) | instid1(VALU_DEP_1)
	v_fma_f32 v9, 0x3fb8aa3b, v5, -v6
	v_rndne_f32_e32 v11, v6
	v_dual_fmac_f32 v9, 0x32a5705f, v5 :: v_dual_sub_f32 v6, v6, v11
	s_delay_alu instid0(VALU_DEP_1) | instskip(SKIP_1) | instid1(VALU_DEP_2)
	v_add_f32_e32 v6, v6, v9
	v_cvt_i32_f32_e32 v9, v11
	v_exp_f32_e32 v6, v6
	s_delay_alu instid0(TRANS32_DEP_1) | instskip(SKIP_1) | instid1(VALU_DEP_1)
	v_ldexp_f32 v6, v6, v9
	s_wait_alu 0xfffd
	v_cndmask_b32_e32 v6, 0, v6, vcc_lo
	v_cmp_nlt_f32_e32 vcc_lo, 0x42b17218, v5
	s_wait_alu 0xfffd
	s_delay_alu instid0(VALU_DEP_2) | instskip(SKIP_2) | instid1(VALU_DEP_2)
	v_cndmask_b32_e32 v9, 0x7f800000, v6, vcc_lo
	v_lshlrev_b64_e32 v[5:6], 2, v[0:1]
	v_add_nc_u32_e32 v0, s0, v0
	v_add_co_u32 v5, vcc_lo, s6, v5
	s_wait_alu 0xfffd
	s_delay_alu instid0(VALU_DEP_3) | instskip(SKIP_3) | instid1(VALU_DEP_2)
	v_add_co_ci_u32_e64 v6, null, s7, v6, vcc_lo
	global_store_b32 v[5:6], v9, off
	v_lshlrev_b64_e32 v[5:6], 2, v[0:1]
	v_dual_mov_b32 v9, 0x56a3b584 :: v_dual_add_nc_u32 v0, s0, v0
	v_add_co_u32 v5, vcc_lo, s6, v5
	s_wait_alu 0xfffd
	s_delay_alu instid0(VALU_DEP_3) | instskip(SKIP_3) | instid1(VALU_DEP_2)
	v_add_co_ci_u32_e64 v6, null, s7, v6, vcc_lo
	global_store_b32 v[5:6], v10, off
	v_lshlrev_b64_e32 v[5:6], 2, v[0:1]
	v_add_nc_u32_e32 v0, s0, v0
	v_add_co_u32 v5, vcc_lo, s6, v5
	s_wait_alu 0xfffd
	s_delay_alu instid0(VALU_DEP_3) | instskip(SKIP_2) | instid1(VALU_DEP_1)
	v_add_co_ci_u32_e64 v6, null, s7, v6, vcc_lo
	global_store_b32 v[5:6], v9, off
	v_mul_f32_e32 v5, 0xc4fb9bbc, v3
	v_mul_f32_e32 v6, 0x3fb8aa3b, v5
	v_cmp_ngt_f32_e32 vcc_lo, 0xc2ce8ed0, v5
	s_delay_alu instid0(VALU_DEP_2) | instskip(SKIP_1) | instid1(VALU_DEP_1)
	v_fma_f32 v9, 0x3fb8aa3b, v5, -v6
	v_rndne_f32_e32 v10, v6
	v_dual_fmac_f32 v9, 0x32a5705f, v5 :: v_dual_sub_f32 v6, v6, v10
	s_delay_alu instid0(VALU_DEP_1) | instskip(SKIP_1) | instid1(VALU_DEP_2)
	v_add_f32_e32 v6, v6, v9
	v_cvt_i32_f32_e32 v9, v10
	v_exp_f32_e32 v6, v6
	s_delay_alu instid0(TRANS32_DEP_1) | instskip(SKIP_1) | instid1(VALU_DEP_1)
	v_ldexp_f32 v6, v6, v9
	s_wait_alu 0xfffd
	v_cndmask_b32_e32 v6, 0, v6, vcc_lo
	v_cmp_nlt_f32_e32 vcc_lo, 0x42b17218, v5
	s_wait_alu 0xfffd
	s_delay_alu instid0(VALU_DEP_2) | instskip(NEXT) | instid1(VALU_DEP_1)
	v_cndmask_b32_e32 v5, 0x7f800000, v6, vcc_lo
	v_mul_f32_e32 v9, 0x559184e7, v5
	v_lshlrev_b64_e32 v[5:6], 2, v[0:1]
	v_add_nc_u32_e32 v0, s0, v0
	s_delay_alu instid0(VALU_DEP_2) | instskip(SKIP_1) | instid1(VALU_DEP_3)
	v_add_co_u32 v5, vcc_lo, s6, v5
	s_wait_alu 0xfffd
	v_add_co_ci_u32_e64 v6, null, s7, v6, vcc_lo
	global_store_b32 v[5:6], v9, off
	v_lshlrev_b64_e32 v[5:6], 2, v[0:1]
	v_add_nc_u32_e32 v0, s1, v0
	s_delay_alu instid0(VALU_DEP_2) | instskip(SKIP_1) | instid1(VALU_DEP_3)
	v_add_co_u32 v5, vcc_lo, s6, v5
	s_wait_alu 0xfffd
	v_add_co_ci_u32_e64 v6, null, s7, v6, vcc_lo
	global_store_b32 v[5:6], v9, off
	v_lshlrev_b64_e32 v[5:6], 2, v[0:1]
	v_dual_mov_b32 v9, 0x5202629a :: v_dual_add_nc_u32 v0, s0, v0
	s_delay_alu instid0(VALU_DEP_2) | instskip(SKIP_1) | instid1(VALU_DEP_3)
	v_add_co_u32 v5, vcc_lo, s6, v5
	s_wait_alu 0xfffd
	v_add_co_ci_u32_e64 v6, null, s7, v6, vcc_lo
	global_store_b32 v[5:6], v9, off
	v_lshlrev_b64_e32 v[5:6], 2, v[0:1]
	v_dual_mov_b32 v9, 0x50861c46 :: v_dual_add_nc_u32 v0, s0, v0
	s_delay_alu instid0(VALU_DEP_2) | instskip(SKIP_1) | instid1(VALU_DEP_3)
	v_add_co_u32 v5, vcc_lo, s6, v5
	s_wait_alu 0xfffd
	v_add_co_ci_u32_e64 v6, null, s7, v6, vcc_lo
	global_store_b32 v[5:6], v9, off
	s_wait_alu 0xfffe
	v_fmaak_f32 v5, s4, v2, 0x41edaf07
	s_delay_alu instid0(VALU_DEP_1) | instskip(NEXT) | instid1(VALU_DEP_1)
	v_fmamk_f32 v5, v3, 0xc72e7e8b, v5
	v_mul_f32_e32 v6, 0x3fb8aa3b, v5
	v_cmp_ngt_f32_e32 vcc_lo, 0xc2ce8ed0, v5
	s_delay_alu instid0(VALU_DEP_2) | instskip(SKIP_1) | instid1(VALU_DEP_1)
	v_fma_f32 v9, 0x3fb8aa3b, v5, -v6
	v_rndne_f32_e32 v10, v6
	v_dual_fmac_f32 v9, 0x32a5705f, v5 :: v_dual_sub_f32 v6, v6, v10
	s_delay_alu instid0(VALU_DEP_1) | instskip(SKIP_1) | instid1(VALU_DEP_2)
	v_add_f32_e32 v6, v6, v9
	v_cvt_i32_f32_e32 v9, v10
	v_exp_f32_e32 v6, v6
	s_delay_alu instid0(TRANS32_DEP_1) | instskip(SKIP_1) | instid1(VALU_DEP_1)
	v_ldexp_f32 v6, v6, v9
	s_wait_alu 0xfffd
	v_cndmask_b32_e32 v6, 0, v6, vcc_lo
	v_cmp_nlt_f32_e32 vcc_lo, 0x42b17218, v5
	s_wait_alu 0xfffd
	s_delay_alu instid0(VALU_DEP_2) | instskip(SKIP_2) | instid1(VALU_DEP_2)
	v_cndmask_b32_e32 v9, 0x7f800000, v6, vcc_lo
	v_lshlrev_b64_e32 v[5:6], 2, v[0:1]
	v_add_nc_u32_e32 v0, s0, v0
	v_add_co_u32 v5, vcc_lo, s6, v5
	s_wait_alu 0xfffd
	s_delay_alu instid0(VALU_DEP_3) | instskip(SKIP_3) | instid1(VALU_DEP_1)
	v_add_co_ci_u32_e64 v6, null, s7, v6, vcc_lo
	global_store_b32 v[5:6], v9, off
	v_fmaak_f32 v5, s2, v2, 0x41dda9f3
	s_mov_b32 s2, 0x3ff70a3d
	v_fmamk_f32 v5, v3, 0xc464f6ad, v5
	s_delay_alu instid0(VALU_DEP_1) | instskip(SKIP_1) | instid1(VALU_DEP_2)
	v_mul_f32_e32 v6, 0x3fb8aa3b, v5
	v_cmp_ngt_f32_e32 vcc_lo, 0xc2ce8ed0, v5
	v_fma_f32 v9, 0x3fb8aa3b, v5, -v6
	v_rndne_f32_e32 v10, v6
	s_delay_alu instid0(VALU_DEP_1) | instskip(NEXT) | instid1(VALU_DEP_1)
	v_dual_fmac_f32 v9, 0x32a5705f, v5 :: v_dual_sub_f32 v6, v6, v10
	v_add_f32_e32 v6, v6, v9
	v_cvt_i32_f32_e32 v9, v10
	s_delay_alu instid0(VALU_DEP_2) | instskip(NEXT) | instid1(TRANS32_DEP_1)
	v_exp_f32_e32 v6, v6
	v_ldexp_f32 v6, v6, v9
	s_wait_alu 0xfffd
	s_delay_alu instid0(VALU_DEP_1) | instskip(SKIP_2) | instid1(VALU_DEP_2)
	v_cndmask_b32_e32 v6, 0, v6, vcc_lo
	v_cmp_nlt_f32_e32 vcc_lo, 0x42b17218, v5
	s_wait_alu 0xfffd
	v_cndmask_b32_e32 v9, 0x7f800000, v6, vcc_lo
	v_lshlrev_b64_e32 v[5:6], 2, v[0:1]
	v_add_nc_u32_e32 v0, s0, v0
	s_delay_alu instid0(VALU_DEP_2) | instskip(SKIP_1) | instid1(VALU_DEP_3)
	v_add_co_u32 v5, vcc_lo, s6, v5
	s_wait_alu 0xfffd
	v_add_co_ci_u32_e64 v6, null, s7, v6, vcc_lo
	global_store_b32 v[5:6], v9, off
	s_wait_alu 0xfffe
	v_fmaak_f32 v5, s2, v2, 0x418dee76
	s_mov_b32 s2, 0x3ff47ae1
	s_delay_alu instid0(VALU_DEP_1) | instskip(NEXT) | instid1(VALU_DEP_1)
	v_fmamk_f32 v5, v3, 0xc5cba53f, v5
	v_mul_f32_e32 v6, 0x3fb8aa3b, v5
	v_cmp_ngt_f32_e32 vcc_lo, 0xc2ce8ed0, v5
	s_delay_alu instid0(VALU_DEP_2) | instskip(SKIP_1) | instid1(VALU_DEP_1)
	v_fma_f32 v9, 0x3fb8aa3b, v5, -v6
	v_rndne_f32_e32 v10, v6
	v_dual_fmac_f32 v9, 0x32a5705f, v5 :: v_dual_sub_f32 v6, v6, v10
	s_delay_alu instid0(VALU_DEP_1) | instskip(SKIP_1) | instid1(VALU_DEP_2)
	v_add_f32_e32 v6, v6, v9
	v_cvt_i32_f32_e32 v9, v10
	v_exp_f32_e32 v6, v6
	s_delay_alu instid0(TRANS32_DEP_1) | instskip(SKIP_1) | instid1(VALU_DEP_1)
	v_ldexp_f32 v6, v6, v9
	s_wait_alu 0xfffd
	v_cndmask_b32_e32 v6, 0, v6, vcc_lo
	v_cmp_nlt_f32_e32 vcc_lo, 0x42b17218, v5
	s_wait_alu 0xfffd
	s_delay_alu instid0(VALU_DEP_2) | instskip(SKIP_2) | instid1(VALU_DEP_2)
	v_cndmask_b32_e32 v9, 0x7f800000, v6, vcc_lo
	v_lshlrev_b64_e32 v[5:6], 2, v[0:1]
	v_add_nc_u32_e32 v0, s0, v0
	v_add_co_u32 v5, vcc_lo, s6, v5
	s_wait_alu 0xfffd
	s_delay_alu instid0(VALU_DEP_3) | instskip(SKIP_4) | instid1(VALU_DEP_1)
	v_add_co_ci_u32_e64 v6, null, s7, v6, vcc_lo
	global_store_b32 v[5:6], v9, off
	s_wait_alu 0xfffe
	v_fmaak_f32 v5, s2, v2, 0x41843ddc
	s_mov_b32 s2, 0xc6ef0726
	v_fmamk_f32 v5, v3, 0xc4eb40f9, v5
	s_delay_alu instid0(VALU_DEP_1) | instskip(SKIP_1) | instid1(VALU_DEP_2)
	v_mul_f32_e32 v6, 0x3fb8aa3b, v5
	v_cmp_ngt_f32_e32 vcc_lo, 0xc2ce8ed0, v5
	v_fma_f32 v9, 0x3fb8aa3b, v5, -v6
	v_rndne_f32_e32 v10, v6
	s_delay_alu instid0(VALU_DEP_1) | instskip(NEXT) | instid1(VALU_DEP_1)
	v_dual_fmac_f32 v9, 0x32a5705f, v5 :: v_dual_sub_f32 v6, v6, v10
	v_add_f32_e32 v6, v6, v9
	v_cvt_i32_f32_e32 v9, v10
	s_delay_alu instid0(VALU_DEP_2) | instskip(NEXT) | instid1(TRANS32_DEP_1)
	v_exp_f32_e32 v6, v6
	v_ldexp_f32 v6, v6, v9
	s_wait_alu 0xfffd
	s_delay_alu instid0(VALU_DEP_1) | instskip(SKIP_2) | instid1(VALU_DEP_2)
	v_cndmask_b32_e32 v6, 0, v6, vcc_lo
	v_cmp_nlt_f32_e32 vcc_lo, 0x42b17218, v5
	s_wait_alu 0xfffd
	v_cndmask_b32_e32 v9, 0x7f800000, v6, vcc_lo
	v_lshlrev_b64_e32 v[5:6], 2, v[0:1]
	v_add_nc_u32_e32 v0, s0, v0
	s_delay_alu instid0(VALU_DEP_2) | instskip(SKIP_1) | instid1(VALU_DEP_3)
	v_add_co_u32 v5, vcc_lo, s6, v5
	s_wait_alu 0xfffd
	v_add_co_ci_u32_e64 v6, null, s7, v6, vcc_lo
	global_store_b32 v[5:6], v9, off
	v_mul_f32_e32 v5, 0xc2dd6a53, v3
	s_delay_alu instid0(VALU_DEP_1) | instskip(NEXT) | instid1(VALU_DEP_1)
	v_fmamk_f32 v5, v2, 0x3fea3d71, v5
	v_mul_f32_e32 v6, 0x3fb8aa3b, v5
	v_cmp_ngt_f32_e32 vcc_lo, 0xc2ce8ed0, v5
	s_delay_alu instid0(VALU_DEP_2) | instskip(SKIP_1) | instid1(VALU_DEP_1)
	v_fma_f32 v9, 0x3fb8aa3b, v5, -v6
	v_rndne_f32_e32 v10, v6
	v_dual_fmac_f32 v9, 0x32a5705f, v5 :: v_dual_sub_f32 v6, v6, v10
	s_delay_alu instid0(VALU_DEP_1) | instskip(SKIP_1) | instid1(VALU_DEP_2)
	v_add_f32_e32 v6, v6, v9
	v_cvt_i32_f32_e32 v9, v10
	v_exp_f32_e32 v6, v6
	s_delay_alu instid0(TRANS32_DEP_1) | instskip(SKIP_1) | instid1(VALU_DEP_1)
	v_ldexp_f32 v6, v6, v9
	s_wait_alu 0xfffd
	v_cndmask_b32_e32 v6, 0, v6, vcc_lo
	v_cmp_nlt_f32_e32 vcc_lo, 0x42b17218, v5
	s_wait_alu 0xfffd
	s_delay_alu instid0(VALU_DEP_2) | instskip(SKIP_2) | instid1(VALU_DEP_3)
	v_cndmask_b32_e32 v9, 0x7f800000, v6, vcc_lo
	v_lshlrev_b64_e32 v[5:6], 2, v[0:1]
	v_add_nc_u32_e32 v0, s0, v0
	v_mul_f32_e32 v10, 0x4b927c00, v9
	v_mul_f32_e32 v9, 0x48bb8000, v9
	s_delay_alu instid0(VALU_DEP_4)
	v_add_co_u32 v5, vcc_lo, s6, v5
	s_wait_alu 0xfffd
	v_add_co_ci_u32_e64 v6, null, s7, v6, vcc_lo
	global_store_b32 v[5:6], v10, off
	v_lshlrev_b64_e32 v[5:6], 2, v[0:1]
	v_add_nc_u32_e32 v0, s0, v0
	s_delay_alu instid0(VALU_DEP_2) | instskip(SKIP_1) | instid1(VALU_DEP_3)
	v_add_co_u32 v5, vcc_lo, s6, v5
	s_wait_alu 0xfffd
	v_add_co_ci_u32_e64 v6, null, s7, v6, vcc_lo
	global_store_b32 v[5:6], v9, off
	v_fmaak_f32 v5, 2.0, v2, 0x41718b09
	s_delay_alu instid0(VALU_DEP_1) | instskip(NEXT) | instid1(VALU_DEP_1)
	v_fmamk_f32 v5, v3, 0xc49d4155, v5
	v_mul_f32_e32 v6, 0x3fb8aa3b, v5
	v_cmp_ngt_f32_e32 vcc_lo, 0xc2ce8ed0, v5
	s_delay_alu instid0(VALU_DEP_2) | instskip(SKIP_1) | instid1(VALU_DEP_1)
	v_fma_f32 v9, 0x3fb8aa3b, v5, -v6
	v_rndne_f32_e32 v10, v6
	v_dual_fmac_f32 v9, 0x32a5705f, v5 :: v_dual_sub_f32 v6, v6, v10
	s_delay_alu instid0(VALU_DEP_1) | instskip(SKIP_1) | instid1(VALU_DEP_2)
	v_add_f32_e32 v6, v6, v9
	v_cvt_i32_f32_e32 v9, v10
	v_exp_f32_e32 v6, v6
	s_delay_alu instid0(TRANS32_DEP_1) | instskip(SKIP_1) | instid1(VALU_DEP_1)
	v_ldexp_f32 v6, v6, v9
	s_wait_alu 0xfffd
	v_cndmask_b32_e32 v6, 0, v6, vcc_lo
	v_cmp_nlt_f32_e32 vcc_lo, 0x42b17218, v5
	s_wait_alu 0xfffd
	s_delay_alu instid0(VALU_DEP_2) | instskip(SKIP_2) | instid1(VALU_DEP_2)
	v_cndmask_b32_e32 v9, 0x7f800000, v6, vcc_lo
	v_lshlrev_b64_e32 v[5:6], 2, v[0:1]
	v_add_nc_u32_e32 v0, s0, v0
	v_add_co_u32 v5, vcc_lo, s6, v5
	s_wait_alu 0xfffd
	s_delay_alu instid0(VALU_DEP_3) | instskip(SKIP_4) | instid1(VALU_DEP_1)
	v_add_co_ci_u32_e64 v6, null, s7, v6, vcc_lo
	global_store_b32 v[5:6], v9, off
	s_wait_alu 0xfffe
	v_fmaak_f32 v5, s2, v3, 0x41fafccf
	s_mov_b32 s2, 0xc5dc2844
	v_mul_f32_e32 v6, 0x3fb8aa3b, v5
	v_cmp_ngt_f32_e32 vcc_lo, 0xc2ce8ed0, v5
	s_delay_alu instid0(VALU_DEP_2) | instskip(SKIP_1) | instid1(VALU_DEP_1)
	v_fma_f32 v9, 0x3fb8aa3b, v5, -v6
	v_rndne_f32_e32 v10, v6
	v_dual_fmac_f32 v9, 0x32a5705f, v5 :: v_dual_sub_f32 v6, v6, v10
	s_delay_alu instid0(VALU_DEP_1) | instskip(SKIP_1) | instid1(VALU_DEP_2)
	v_add_f32_e32 v6, v6, v9
	v_cvt_i32_f32_e32 v9, v10
	v_exp_f32_e32 v6, v6
	s_delay_alu instid0(TRANS32_DEP_1) | instskip(SKIP_1) | instid1(VALU_DEP_1)
	v_ldexp_f32 v6, v6, v9
	s_wait_alu 0xfffd
	v_cndmask_b32_e32 v6, 0, v6, vcc_lo
	v_cmp_nlt_f32_e32 vcc_lo, 0x42b17218, v5
	s_wait_alu 0xfffd
	s_delay_alu instid0(VALU_DEP_2) | instskip(SKIP_2) | instid1(VALU_DEP_2)
	v_cndmask_b32_e32 v9, 0x7f800000, v6, vcc_lo
	v_lshlrev_b64_e32 v[5:6], 2, v[0:1]
	v_add_nc_u32_e32 v0, s0, v0
	v_add_co_u32 v5, vcc_lo, s6, v5
	s_wait_alu 0xfffd
	s_delay_alu instid0(VALU_DEP_3) | instskip(SKIP_4) | instid1(VALU_DEP_1)
	v_add_co_ci_u32_e64 v6, null, s7, v6, vcc_lo
	global_store_b32 v[5:6], v9, off
	s_wait_alu 0xfffe
	v_fmaak_f32 v5, s2, v3, 0x41e297e6
	s_mov_b32 s2, 0xc5722c4b
	v_mul_f32_e32 v6, 0x3fb8aa3b, v5
	v_cmp_ngt_f32_e32 vcc_lo, 0xc2ce8ed0, v5
	s_delay_alu instid0(VALU_DEP_2) | instskip(SKIP_1) | instid1(VALU_DEP_1)
	v_fma_f32 v9, 0x3fb8aa3b, v5, -v6
	v_rndne_f32_e32 v10, v6
	v_dual_fmac_f32 v9, 0x32a5705f, v5 :: v_dual_sub_f32 v6, v6, v10
	s_delay_alu instid0(VALU_DEP_1) | instskip(SKIP_1) | instid1(VALU_DEP_2)
	v_add_f32_e32 v6, v6, v9
	v_cvt_i32_f32_e32 v9, v10
	v_exp_f32_e32 v6, v6
	s_delay_alu instid0(TRANS32_DEP_1) | instskip(SKIP_1) | instid1(VALU_DEP_1)
	v_ldexp_f32 v6, v6, v9
	s_wait_alu 0xfffd
	v_cndmask_b32_e32 v6, 0, v6, vcc_lo
	v_cmp_nlt_f32_e32 vcc_lo, 0x42b17218, v5
	s_wait_alu 0xfffd
	s_delay_alu instid0(VALU_DEP_2) | instskip(SKIP_2) | instid1(VALU_DEP_2)
	v_cndmask_b32_e32 v9, 0x7f800000, v6, vcc_lo
	v_lshlrev_b64_e32 v[5:6], 2, v[0:1]
	v_add_nc_u32_e32 v0, s0, v0
	v_add_co_u32 v5, vcc_lo, s6, v5
	s_wait_alu 0xfffd
	s_delay_alu instid0(VALU_DEP_3) | instskip(SKIP_3) | instid1(VALU_DEP_1)
	v_add_co_ci_u32_e64 v6, null, s7, v6, vcc_lo
	v_cmp_ngt_f32_e32 vcc_lo, 0xc2ce8ed0, v7
	global_store_b32 v[5:6], v9, off
	v_mul_f32_e32 v5, 0x3fb8aa3b, v7
	v_fma_f32 v6, 0x3fb8aa3b, v7, -v5
	v_rndne_f32_e32 v9, v5
	s_delay_alu instid0(VALU_DEP_1) | instskip(NEXT) | instid1(VALU_DEP_1)
	v_dual_fmac_f32 v6, 0x32a5705f, v7 :: v_dual_sub_f32 v5, v5, v9
	v_add_f32_e32 v5, v5, v6
	v_cvt_i32_f32_e32 v6, v9
	s_delay_alu instid0(VALU_DEP_2) | instskip(NEXT) | instid1(TRANS32_DEP_1)
	v_exp_f32_e32 v5, v5
	v_ldexp_f32 v5, v5, v6
	s_wait_alu 0xfffd
	s_delay_alu instid0(VALU_DEP_1) | instskip(SKIP_2) | instid1(VALU_DEP_2)
	v_cndmask_b32_e32 v5, 0, v5, vcc_lo
	v_cmp_nlt_f32_e32 vcc_lo, 0x42b17218, v7
	s_wait_alu 0xfffd
	v_cndmask_b32_e32 v7, 0x7f800000, v5, vcc_lo
	v_lshlrev_b64_e32 v[5:6], 2, v[0:1]
	v_add_nc_u32_e32 v0, s0, v0
	s_delay_alu instid0(VALU_DEP_2) | instskip(SKIP_1) | instid1(VALU_DEP_3)
	v_add_co_u32 v5, vcc_lo, s6, v5
	s_wait_alu 0xfffd
	v_add_co_ci_u32_e64 v6, null, s7, v6, vcc_lo
	global_store_b32 v[5:6], v7, off
	v_fmaak_f32 v5, s3, v3, 0x41f50397
	s_delay_alu instid0(VALU_DEP_1) | instskip(SKIP_1) | instid1(VALU_DEP_2)
	v_mul_f32_e32 v6, 0x3fb8aa3b, v5
	v_cmp_ngt_f32_e32 vcc_lo, 0xc2ce8ed0, v5
	v_fma_f32 v7, 0x3fb8aa3b, v5, -v6
	v_rndne_f32_e32 v9, v6
	s_delay_alu instid0(VALU_DEP_2) | instskip(NEXT) | instid1(VALU_DEP_2)
	v_fmac_f32_e32 v7, 0x32a5705f, v5
	v_sub_f32_e32 v6, v6, v9
	s_delay_alu instid0(VALU_DEP_1) | instskip(SKIP_1) | instid1(VALU_DEP_2)
	v_add_f32_e32 v6, v6, v7
	v_cvt_i32_f32_e32 v7, v9
	v_exp_f32_e32 v6, v6
	s_delay_alu instid0(TRANS32_DEP_1) | instskip(SKIP_1) | instid1(VALU_DEP_1)
	v_ldexp_f32 v6, v6, v7
	s_wait_alu 0xfffd
	v_cndmask_b32_e32 v6, 0, v6, vcc_lo
	v_cmp_nlt_f32_e32 vcc_lo, 0x42b17218, v5
	s_wait_alu 0xfffd
	s_delay_alu instid0(VALU_DEP_2) | instskip(SKIP_2) | instid1(VALU_DEP_2)
	v_cndmask_b32_e32 v7, 0x7f800000, v6, vcc_lo
	v_lshlrev_b64_e32 v[5:6], 2, v[0:1]
	v_add_nc_u32_e32 v0, s0, v0
	v_add_co_u32 v5, vcc_lo, s6, v5
	s_wait_alu 0xfffd
	s_delay_alu instid0(VALU_DEP_3) | instskip(SKIP_3) | instid1(VALU_DEP_2)
	v_add_co_ci_u32_e64 v6, null, s7, v6, vcc_lo
	global_store_b32 v[5:6], v7, off
	v_lshlrev_b64_e32 v[5:6], 2, v[0:1]
	v_add_nc_u32_e32 v0, s0, v0
	v_add_co_u32 v5, vcc_lo, s6, v5
	s_wait_alu 0xfffd
	s_delay_alu instid0(VALU_DEP_3) | instskip(SKIP_3) | instid1(VALU_DEP_2)
	v_add_co_ci_u32_e64 v6, null, s7, v6, vcc_lo
	global_store_b32 v[5:6], v4, off
	v_lshlrev_b64_e32 v[5:6], 2, v[0:1]
	v_add_nc_u32_e32 v0, s0, v0
	v_add_co_u32 v5, vcc_lo, s6, v5
	s_wait_alu 0xfffd
	s_delay_alu instid0(VALU_DEP_3) | instskip(SKIP_2) | instid1(VALU_DEP_1)
	v_add_co_ci_u32_e64 v6, null, s7, v6, vcc_lo
	global_store_b32 v[5:6], v4, off
	v_fmaak_f32 v4, 2.0, v2, 0x414552c3
	v_fmamk_f32 v4, v3, 0xc590acbf, v4
	s_delay_alu instid0(VALU_DEP_1) | instskip(SKIP_1) | instid1(VALU_DEP_2)
	v_mul_f32_e32 v5, 0x3fb8aa3b, v4
	v_cmp_ngt_f32_e32 vcc_lo, 0xc2ce8ed0, v4
	v_fma_f32 v6, 0x3fb8aa3b, v4, -v5
	v_rndne_f32_e32 v7, v5
	s_delay_alu instid0(VALU_DEP_1) | instskip(NEXT) | instid1(VALU_DEP_1)
	v_dual_fmac_f32 v6, 0x32a5705f, v4 :: v_dual_sub_f32 v5, v5, v7
	v_add_f32_e32 v5, v5, v6
	v_cvt_i32_f32_e32 v6, v7
	s_delay_alu instid0(VALU_DEP_2) | instskip(NEXT) | instid1(TRANS32_DEP_1)
	v_exp_f32_e32 v5, v5
	v_ldexp_f32 v5, v5, v6
	s_wait_alu 0xfffd
	s_delay_alu instid0(VALU_DEP_1) | instskip(SKIP_2) | instid1(VALU_DEP_2)
	v_cndmask_b32_e32 v5, 0, v5, vcc_lo
	v_cmp_nlt_f32_e32 vcc_lo, 0x42b17218, v4
	s_wait_alu 0xfffd
	v_cndmask_b32_e32 v6, 0x7f800000, v5, vcc_lo
	v_lshlrev_b64_e32 v[4:5], 2, v[0:1]
	v_add_nc_u32_e32 v0, s0, v0
	s_delay_alu instid0(VALU_DEP_2) | instskip(SKIP_1) | instid1(VALU_DEP_3)
	v_add_co_u32 v4, vcc_lo, s6, v4
	s_wait_alu 0xfffd
	v_add_co_ci_u32_e64 v5, null, s7, v5, vcc_lo
	global_store_b32 v[4:5], v6, off
	s_wait_alu 0xfffe
	v_fmaak_f32 v4, s2, v3, 0x41d42dca
	s_mov_b32 s2, 0xbf7d70a4
	s_delay_alu instid0(VALU_DEP_1) | instskip(SKIP_1) | instid1(VALU_DEP_2)
	v_mul_f32_e32 v5, 0x3fb8aa3b, v4
	v_cmp_ngt_f32_e32 vcc_lo, 0xc2ce8ed0, v4
	v_fma_f32 v6, 0x3fb8aa3b, v4, -v5
	v_rndne_f32_e32 v7, v5
	s_delay_alu instid0(VALU_DEP_1) | instskip(NEXT) | instid1(VALU_DEP_1)
	v_dual_fmac_f32 v6, 0x32a5705f, v4 :: v_dual_sub_f32 v5, v5, v7
	v_add_f32_e32 v5, v5, v6
	v_cvt_i32_f32_e32 v6, v7
	s_delay_alu instid0(VALU_DEP_2) | instskip(NEXT) | instid1(TRANS32_DEP_1)
	v_exp_f32_e32 v5, v5
	v_ldexp_f32 v5, v5, v6
	s_wait_alu 0xfffd
	s_delay_alu instid0(VALU_DEP_1) | instskip(SKIP_2) | instid1(VALU_DEP_2)
	v_cndmask_b32_e32 v5, 0, v5, vcc_lo
	v_cmp_nlt_f32_e32 vcc_lo, 0x42b17218, v4
	s_wait_alu 0xfffd
	v_cndmask_b32_e32 v6, 0x7f800000, v5, vcc_lo
	v_lshlrev_b64_e32 v[4:5], 2, v[0:1]
	v_add_nc_u32_e32 v0, s0, v0
	s_delay_alu instid0(VALU_DEP_2) | instskip(SKIP_1) | instid1(VALU_DEP_3)
	v_add_co_u32 v4, vcc_lo, s6, v4
	s_wait_alu 0xfffd
	v_add_co_ci_u32_e64 v5, null, s7, v5, vcc_lo
	global_store_b32 v[4:5], v6, off
	s_wait_alu 0xfffe
	v_fmaak_f32 v4, s2, v2, 0x42232d98
	s_mov_b32 s2, 0xc3f51107
	s_delay_alu instid0(VALU_DEP_1) | instskip(NEXT) | instid1(VALU_DEP_1)
	v_fmamk_f32 v4, v3, 0xc446c545, v4
	v_mul_f32_e32 v5, 0x3fb8aa3b, v4
	v_cmp_ngt_f32_e32 vcc_lo, 0xc2ce8ed0, v4
	s_delay_alu instid0(VALU_DEP_2) | instskip(SKIP_1) | instid1(VALU_DEP_1)
	v_fma_f32 v6, 0x3fb8aa3b, v4, -v5
	v_rndne_f32_e32 v7, v5
	v_dual_fmac_f32 v6, 0x32a5705f, v4 :: v_dual_sub_f32 v5, v5, v7
	s_delay_alu instid0(VALU_DEP_1) | instskip(SKIP_1) | instid1(VALU_DEP_2)
	v_add_f32_e32 v5, v5, v6
	v_cvt_i32_f32_e32 v6, v7
	v_exp_f32_e32 v5, v5
	s_delay_alu instid0(TRANS32_DEP_1) | instskip(SKIP_1) | instid1(VALU_DEP_1)
	v_ldexp_f32 v5, v5, v6
	s_wait_alu 0xfffd
	v_cndmask_b32_e32 v5, 0, v5, vcc_lo
	v_cmp_nlt_f32_e32 vcc_lo, 0x42b17218, v4
	s_wait_alu 0xfffd
	s_delay_alu instid0(VALU_DEP_2) | instskip(SKIP_2) | instid1(VALU_DEP_2)
	v_cndmask_b32_e32 v6, 0x7f800000, v5, vcc_lo
	v_lshlrev_b64_e32 v[4:5], 2, v[0:1]
	v_add_nc_u32_e32 v0, s0, v0
	v_add_co_u32 v4, vcc_lo, s6, v4
	s_wait_alu 0xfffd
	s_delay_alu instid0(VALU_DEP_3) | instskip(SKIP_4) | instid1(VALU_DEP_3)
	v_add_co_ci_u32_e64 v5, null, s7, v5, vcc_lo
	global_store_b32 v[4:5], v6, off
	v_lshlrev_b64_e32 v[4:5], 2, v[0:1]
	v_mov_b32_e32 v6, 0x53e8d4a5
	v_add_nc_u32_e32 v0, s0, v0
	v_add_co_u32 v4, vcc_lo, s6, v4
	s_wait_alu 0xfffd
	s_delay_alu instid0(VALU_DEP_4) | instskip(SKIP_4) | instid1(VALU_DEP_3)
	v_add_co_ci_u32_e64 v5, null, s7, v5, vcc_lo
	global_store_b32 v[4:5], v6, off
	v_lshlrev_b64_e32 v[4:5], 2, v[0:1]
	v_mov_b32_e32 v6, 0x556969a8
	v_add_nc_u32_e32 v0, s0, v0
	v_add_co_u32 v4, vcc_lo, s6, v4
	s_wait_alu 0xfffd
	s_delay_alu instid0(VALU_DEP_4) | instskip(SKIP_4) | instid1(VALU_DEP_3)
	;; [unrolled: 8-line block ×4, first 2 shown]
	v_add_co_ci_u32_e64 v5, null, s7, v5, vcc_lo
	global_store_b32 v[4:5], v6, off
	v_lshlrev_b64_e32 v[4:5], 2, v[0:1]
	v_mov_b32_e32 v6, 0x528bb2c9
	v_add_nc_u32_e32 v0, s0, v0
	v_add_co_u32 v4, vcc_lo, s6, v4
	s_wait_alu 0xfffd
	s_delay_alu instid0(VALU_DEP_4) | instskip(SKIP_3) | instid1(VALU_DEP_2)
	v_add_co_ci_u32_e64 v5, null, s7, v5, vcc_lo
	global_store_b32 v[4:5], v6, off
	v_lshlrev_b64_e32 v[4:5], 2, v[0:1]
	v_add_nc_u32_e32 v0, s0, v0
	v_add_co_u32 v4, vcc_lo, s6, v4
	s_wait_alu 0xfffd
	s_delay_alu instid0(VALU_DEP_3) | instskip(SKIP_3) | instid1(VALU_DEP_2)
	v_add_co_ci_u32_e64 v5, null, s7, v5, vcc_lo
	global_store_b32 v[4:5], v6, off
	v_lshlrev_b64_e32 v[4:5], 2, v[0:1]
	v_add_nc_u32_e32 v0, s0, v0
	v_add_co_u32 v6, vcc_lo, s6, v4
	s_wait_alu 0xfffd
	s_delay_alu instid0(VALU_DEP_3)
	v_add_co_ci_u32_e64 v7, null, s7, v5, vcc_lo
	v_mov_b32_e32 v4, 0x55ae9f7c
	s_wait_alu 0xfffe
	v_fmaak_f32 v5, s2, v3, 0x41b717bc
	s_mov_b32 s2, 0x3ff33333
	global_store_b32 v[6:7], v4, off
	v_mul_f32_e32 v6, 0x3fb8aa3b, v5
	v_cmp_ngt_f32_e32 vcc_lo, 0xc2ce8ed0, v5
	s_delay_alu instid0(VALU_DEP_2) | instskip(SKIP_1) | instid1(VALU_DEP_2)
	v_fma_f32 v7, 0x3fb8aa3b, v5, -v6
	v_rndne_f32_e32 v9, v6
	v_fmac_f32_e32 v7, 0x32a5705f, v5
	s_delay_alu instid0(VALU_DEP_2) | instskip(NEXT) | instid1(VALU_DEP_1)
	v_sub_f32_e32 v6, v6, v9
	v_add_f32_e32 v6, v6, v7
	v_cvt_i32_f32_e32 v7, v9
	s_delay_alu instid0(VALU_DEP_2) | instskip(NEXT) | instid1(TRANS32_DEP_1)
	v_exp_f32_e32 v6, v6
	v_ldexp_f32 v6, v6, v7
	s_wait_alu 0xfffd
	s_delay_alu instid0(VALU_DEP_1) | instskip(SKIP_2) | instid1(VALU_DEP_2)
	v_cndmask_b32_e32 v6, 0, v6, vcc_lo
	v_cmp_nlt_f32_e32 vcc_lo, 0x42b17218, v5
	s_wait_alu 0xfffd
	v_cndmask_b32_e32 v7, 0x7f800000, v6, vcc_lo
	v_lshlrev_b64_e32 v[5:6], 2, v[0:1]
	v_add_nc_u32_e32 v0, s0, v0
	s_delay_alu instid0(VALU_DEP_2) | instskip(SKIP_1) | instid1(VALU_DEP_3)
	v_add_co_u32 v5, vcc_lo, s6, v5
	s_wait_alu 0xfffd
	v_add_co_ci_u32_e64 v6, null, s7, v6, vcc_lo
	global_store_b32 v[5:6], v7, off
	v_lshlrev_b64_e32 v[5:6], 2, v[0:1]
	v_dual_mov_b32 v7, 0x56da475b :: v_dual_add_nc_u32 v0, s0, v0
	s_delay_alu instid0(VALU_DEP_2) | instskip(SKIP_1) | instid1(VALU_DEP_3)
	v_add_co_u32 v5, vcc_lo, s6, v5
	s_wait_alu 0xfffd
	v_add_co_ci_u32_e64 v6, null, s7, v6, vcc_lo
	global_store_b32 v[5:6], v7, off
	s_wait_alu 0xfffe
	v_fmaak_f32 v5, s2, v2, 0x41947bc9
	s_mov_b32 s2, 0x3ff5c28f
	s_delay_alu instid0(VALU_DEP_1) | instskip(NEXT) | instid1(VALU_DEP_1)
	v_fmamk_f32 v5, v3, 0xc56cd38b, v5
	v_mul_f32_e32 v6, 0x3fb8aa3b, v5
	v_cmp_ngt_f32_e32 vcc_lo, 0xc2ce8ed0, v5
	s_delay_alu instid0(VALU_DEP_2) | instskip(SKIP_1) | instid1(VALU_DEP_2)
	v_fma_f32 v7, 0x3fb8aa3b, v5, -v6
	v_rndne_f32_e32 v9, v6
	v_fmac_f32_e32 v7, 0x32a5705f, v5
	s_delay_alu instid0(VALU_DEP_2) | instskip(NEXT) | instid1(VALU_DEP_1)
	v_sub_f32_e32 v6, v6, v9
	v_add_f32_e32 v6, v6, v7
	v_cvt_i32_f32_e32 v7, v9
	s_delay_alu instid0(VALU_DEP_2) | instskip(NEXT) | instid1(TRANS32_DEP_1)
	v_exp_f32_e32 v6, v6
	v_ldexp_f32 v6, v6, v7
	s_wait_alu 0xfffd
	s_delay_alu instid0(VALU_DEP_1) | instskip(SKIP_2) | instid1(VALU_DEP_2)
	v_cndmask_b32_e32 v6, 0, v6, vcc_lo
	v_cmp_nlt_f32_e32 vcc_lo, 0x42b17218, v5
	s_wait_alu 0xfffd
	v_cndmask_b32_e32 v7, 0x7f800000, v6, vcc_lo
	v_lshlrev_b64_e32 v[5:6], 2, v[0:1]
	v_add_nc_u32_e32 v0, s0, v0
	s_delay_alu instid0(VALU_DEP_2) | instskip(SKIP_1) | instid1(VALU_DEP_3)
	v_add_co_u32 v5, vcc_lo, s6, v5
	s_wait_alu 0xfffd
	v_add_co_ci_u32_e64 v6, null, s7, v6, vcc_lo
	global_store_b32 v[5:6], v7, off
	s_wait_alu 0xfffe
	v_fmaak_f32 v5, s2, v2, 0x41928138
	s_mov_b32 s2, 0x4007ae14
	s_delay_alu instid0(VALU_DEP_1) | instskip(NEXT) | instid1(VALU_DEP_1)
	v_fmamk_f32 v5, v3, 0xc532f4d8, v5
	v_mul_f32_e32 v6, 0x3fb8aa3b, v5
	v_cmp_ngt_f32_e32 vcc_lo, 0xc2ce8ed0, v5
	s_delay_alu instid0(VALU_DEP_2) | instskip(SKIP_1) | instid1(VALU_DEP_2)
	v_fma_f32 v7, 0x3fb8aa3b, v5, -v6
	v_rndne_f32_e32 v9, v6
	v_fmac_f32_e32 v7, 0x32a5705f, v5
	s_delay_alu instid0(VALU_DEP_2) | instskip(NEXT) | instid1(VALU_DEP_1)
	v_sub_f32_e32 v6, v6, v9
	v_add_f32_e32 v6, v6, v7
	v_cvt_i32_f32_e32 v7, v9
	s_delay_alu instid0(VALU_DEP_2) | instskip(NEXT) | instid1(TRANS32_DEP_1)
	v_exp_f32_e32 v6, v6
	v_ldexp_f32 v6, v6, v7
	s_wait_alu 0xfffd
	s_delay_alu instid0(VALU_DEP_1) | instskip(SKIP_2) | instid1(VALU_DEP_2)
	v_cndmask_b32_e32 v6, 0, v6, vcc_lo
	v_cmp_nlt_f32_e32 vcc_lo, 0x42b17218, v5
	s_wait_alu 0xfffd
	v_cndmask_b32_e32 v7, 0x7f800000, v6, vcc_lo
	v_lshlrev_b64_e32 v[5:6], 2, v[0:1]
	v_add_nc_u32_e32 v0, s0, v0
	;; [unrolled: 31-line block ×3, first 2 shown]
	s_delay_alu instid0(VALU_DEP_2) | instskip(SKIP_1) | instid1(VALU_DEP_3)
	v_add_co_u32 v5, vcc_lo, s6, v5
	s_wait_alu 0xfffd
	v_add_co_ci_u32_e64 v6, null, s7, v6, vcc_lo
	global_store_b32 v[5:6], v7, off
	s_wait_alu 0xfffe
	v_fmaak_f32 v5, s2, v3, 0x41fa8f28
	s_mov_b32 s2, 0x3fdeb852
	s_delay_alu instid0(VALU_DEP_1) | instskip(SKIP_1) | instid1(VALU_DEP_2)
	v_mul_f32_e32 v6, 0x3fb8aa3b, v5
	v_cmp_ngt_f32_e32 vcc_lo, 0xc2ce8ed0, v5
	v_fma_f32 v7, 0x3fb8aa3b, v5, -v6
	v_rndne_f32_e32 v9, v6
	s_delay_alu instid0(VALU_DEP_2) | instskip(NEXT) | instid1(VALU_DEP_2)
	v_fmac_f32_e32 v7, 0x32a5705f, v5
	v_sub_f32_e32 v6, v6, v9
	s_delay_alu instid0(VALU_DEP_1) | instskip(SKIP_1) | instid1(VALU_DEP_2)
	v_add_f32_e32 v6, v6, v7
	v_cvt_i32_f32_e32 v7, v9
	v_exp_f32_e32 v6, v6
	s_delay_alu instid0(TRANS32_DEP_1) | instskip(SKIP_1) | instid1(VALU_DEP_1)
	v_ldexp_f32 v6, v6, v7
	s_wait_alu 0xfffd
	v_cndmask_b32_e32 v6, 0, v6, vcc_lo
	v_cmp_nlt_f32_e32 vcc_lo, 0x42b17218, v5
	s_wait_alu 0xfffd
	s_delay_alu instid0(VALU_DEP_2) | instskip(SKIP_2) | instid1(VALU_DEP_2)
	v_cndmask_b32_e32 v7, 0x7f800000, v6, vcc_lo
	v_lshlrev_b64_e32 v[5:6], 2, v[0:1]
	v_add_nc_u32_e32 v0, s0, v0
	v_add_co_u32 v5, vcc_lo, s6, v5
	s_wait_alu 0xfffd
	s_delay_alu instid0(VALU_DEP_3) | instskip(SKIP_3) | instid1(VALU_DEP_1)
	v_add_co_ci_u32_e64 v6, null, s7, v6, vcc_lo
	global_store_b32 v[5:6], v7, off
	s_wait_alu 0xfffe
	v_fmaak_f32 v5, s2, v2, 0x417a15da
	v_fmamk_f32 v5, v3, 0xc5a454ea, v5
	s_delay_alu instid0(VALU_DEP_1) | instskip(SKIP_1) | instid1(VALU_DEP_2)
	v_mul_f32_e32 v6, 0x3fb8aa3b, v5
	v_cmp_ngt_f32_e32 vcc_lo, 0xc2ce8ed0, v5
	v_fma_f32 v7, 0x3fb8aa3b, v5, -v6
	v_rndne_f32_e32 v9, v6
	s_delay_alu instid0(VALU_DEP_2) | instskip(NEXT) | instid1(VALU_DEP_2)
	v_fmac_f32_e32 v7, 0x32a5705f, v5
	v_sub_f32_e32 v6, v6, v9
	s_delay_alu instid0(VALU_DEP_1) | instskip(SKIP_1) | instid1(VALU_DEP_2)
	v_add_f32_e32 v6, v6, v7
	v_cvt_i32_f32_e32 v7, v9
	v_exp_f32_e32 v6, v6
	s_delay_alu instid0(TRANS32_DEP_1) | instskip(SKIP_1) | instid1(VALU_DEP_1)
	v_ldexp_f32 v6, v6, v7
	s_wait_alu 0xfffd
	v_cndmask_b32_e32 v6, 0, v6, vcc_lo
	v_cmp_nlt_f32_e32 vcc_lo, 0x42b17218, v5
	s_wait_alu 0xfffd
	s_delay_alu instid0(VALU_DEP_2) | instskip(SKIP_2) | instid1(VALU_DEP_2)
	v_cndmask_b32_e32 v7, 0x7f800000, v6, vcc_lo
	v_lshlrev_b64_e32 v[5:6], 2, v[0:1]
	v_add_nc_u32_e32 v0, s0, v0
	v_add_co_u32 v5, vcc_lo, s6, v5
	s_wait_alu 0xfffd
	s_delay_alu instid0(VALU_DEP_3) | instskip(SKIP_4) | instid1(VALU_DEP_2)
	v_add_co_ci_u32_e64 v6, null, s7, v6, vcc_lo
	global_store_b32 v[5:6], v7, off
	v_lshlrev_b64_e32 v[5:6], 2, v[0:1]
	v_dual_mov_b32 v7, 0x5735e621 :: v_dual_add_nc_u32 v0, s1, v0
	s_mov_b32 s1, 0xc4cd1ad6
	v_add_co_u32 v5, vcc_lo, s6, v5
	s_wait_alu 0xfffd
	s_delay_alu instid0(VALU_DEP_3) | instskip(SKIP_3) | instid1(VALU_DEP_2)
	v_add_co_ci_u32_e64 v6, null, s7, v6, vcc_lo
	global_store_b32 v[5:6], v7, off
	v_lshlrev_b64_e32 v[5:6], 2, v[0:1]
	v_dual_mov_b32 v7, 0x541ad517 :: v_dual_add_nc_u32 v0, s0, v0
	v_add_co_u32 v5, vcc_lo, s6, v5
	s_wait_alu 0xfffd
	s_delay_alu instid0(VALU_DEP_3) | instskip(SKIP_3) | instid1(VALU_DEP_2)
	v_add_co_ci_u32_e64 v6, null, s7, v6, vcc_lo
	global_store_b32 v[5:6], v7, off
	v_lshlrev_b64_e32 v[5:6], 2, v[0:1]
	v_dual_mov_b32 v7, 0x54c015d5 :: v_dual_add_nc_u32 v0, s0, v0
	v_add_co_u32 v5, vcc_lo, s6, v5
	s_wait_alu 0xfffd
	s_delay_alu instid0(VALU_DEP_3) | instskip(SKIP_3) | instid1(VALU_DEP_2)
	v_add_co_ci_u32_e64 v6, null, s7, v6, vcc_lo
	global_store_b32 v[5:6], v7, off
	v_lshlrev_b64_e32 v[5:6], 2, v[0:1]
	v_add_nc_u32_e32 v0, s0, v0
	v_add_co_u32 v5, vcc_lo, s6, v5
	s_wait_alu 0xfffd
	s_delay_alu instid0(VALU_DEP_3) | instskip(SKIP_4) | instid1(VALU_DEP_1)
	v_add_co_ci_u32_e64 v6, null, s7, v6, vcc_lo
	global_store_b32 v[5:6], v8, off
	s_wait_alu 0xfffe
	v_fmaak_f32 v5, s1, v3, 0x41f1c012
	s_mov_b32 s1, 0xc018f5c3
	v_mul_f32_e32 v6, 0x3fb8aa3b, v5
	v_cmp_ngt_f32_e32 vcc_lo, 0xc2ce8ed0, v5
	s_delay_alu instid0(VALU_DEP_2) | instskip(SKIP_1) | instid1(VALU_DEP_1)
	v_fma_f32 v7, 0x3fb8aa3b, v5, -v6
	v_rndne_f32_e32 v8, v6
	v_dual_fmac_f32 v7, 0x32a5705f, v5 :: v_dual_sub_f32 v6, v6, v8
	s_delay_alu instid0(VALU_DEP_1) | instskip(SKIP_1) | instid1(VALU_DEP_2)
	v_add_f32_e32 v6, v6, v7
	v_cvt_i32_f32_e32 v7, v8
	v_exp_f32_e32 v6, v6
	s_delay_alu instid0(TRANS32_DEP_1) | instskip(SKIP_1) | instid1(VALU_DEP_1)
	v_ldexp_f32 v6, v6, v7
	s_wait_alu 0xfffd
	v_cndmask_b32_e32 v6, 0, v6, vcc_lo
	v_cmp_nlt_f32_e32 vcc_lo, 0x42b17218, v5
	s_wait_alu 0xfffd
	s_delay_alu instid0(VALU_DEP_2) | instskip(SKIP_2) | instid1(VALU_DEP_2)
	v_cndmask_b32_e32 v7, 0x7f800000, v6, vcc_lo
	v_lshlrev_b64_e32 v[5:6], 2, v[0:1]
	v_add_nc_u32_e32 v0, s0, v0
	v_add_co_u32 v5, vcc_lo, s6, v5
	s_wait_alu 0xfffd
	s_delay_alu instid0(VALU_DEP_3) | instskip(SKIP_4) | instid1(VALU_DEP_1)
	v_add_co_ci_u32_e64 v6, null, s7, v6, vcc_lo
	global_store_b32 v[5:6], v7, off
	s_wait_alu 0xfffe
	v_fmaak_f32 v5, s1, v2, 0x424c81ec
	s_mov_b32 s1, 0x40200000
	v_fmamk_f32 v5, v3, 0xc5afcfb3, v5
	s_delay_alu instid0(VALU_DEP_1) | instskip(SKIP_1) | instid1(VALU_DEP_2)
	v_mul_f32_e32 v6, 0x3fb8aa3b, v5
	v_cmp_ngt_f32_e32 vcc_lo, 0xc2ce8ed0, v5
	v_fma_f32 v7, 0x3fb8aa3b, v5, -v6
	v_rndne_f32_e32 v8, v6
	s_delay_alu instid0(VALU_DEP_1) | instskip(NEXT) | instid1(VALU_DEP_1)
	v_dual_fmac_f32 v7, 0x32a5705f, v5 :: v_dual_sub_f32 v6, v6, v8
	v_add_f32_e32 v6, v6, v7
	v_cvt_i32_f32_e32 v7, v8
	s_delay_alu instid0(VALU_DEP_2) | instskip(NEXT) | instid1(TRANS32_DEP_1)
	v_exp_f32_e32 v6, v6
	v_ldexp_f32 v6, v6, v7
	s_wait_alu 0xfffd
	s_delay_alu instid0(VALU_DEP_1) | instskip(SKIP_2) | instid1(VALU_DEP_2)
	v_cndmask_b32_e32 v6, 0, v6, vcc_lo
	v_cmp_nlt_f32_e32 vcc_lo, 0x42b17218, v5
	s_wait_alu 0xfffd
	v_cndmask_b32_e32 v7, 0x7f800000, v6, vcc_lo
	v_lshlrev_b64_e32 v[5:6], 2, v[0:1]
	v_add_nc_u32_e32 v0, s0, v0
	s_delay_alu instid0(VALU_DEP_2) | instskip(SKIP_1) | instid1(VALU_DEP_3)
	v_add_co_u32 v5, vcc_lo, s6, v5
	s_wait_alu 0xfffd
	v_add_co_ci_u32_e64 v6, null, s7, v6, vcc_lo
	global_store_b32 v[5:6], v7, off
	s_wait_alu 0xfffe
	v_fmaak_f32 v5, s1, v2, 0x4140b265
	s_mov_b32 s1, 0x3fd33333
	s_delay_alu instid0(VALU_DEP_1) | instskip(NEXT) | instid1(VALU_DEP_1)
	v_fmamk_f32 v5, v3, 0xc49ca04e, v5
	v_mul_f32_e32 v6, 0x3fb8aa3b, v5
	v_cmp_ngt_f32_e32 vcc_lo, 0xc2ce8ed0, v5
	s_delay_alu instid0(VALU_DEP_2) | instskip(SKIP_1) | instid1(VALU_DEP_1)
	v_fma_f32 v7, 0x3fb8aa3b, v5, -v6
	v_rndne_f32_e32 v8, v6
	v_dual_fmac_f32 v7, 0x32a5705f, v5 :: v_dual_sub_f32 v6, v6, v8
	s_delay_alu instid0(VALU_DEP_1) | instskip(SKIP_1) | instid1(VALU_DEP_2)
	v_add_f32_e32 v6, v6, v7
	v_cvt_i32_f32_e32 v7, v8
	v_exp_f32_e32 v6, v6
	s_delay_alu instid0(TRANS32_DEP_1) | instskip(SKIP_1) | instid1(VALU_DEP_1)
	v_ldexp_f32 v6, v6, v7
	s_wait_alu 0xfffd
	v_cndmask_b32_e32 v6, 0, v6, vcc_lo
	v_cmp_nlt_f32_e32 vcc_lo, 0x42b17218, v5
	s_wait_alu 0xfffd
	s_delay_alu instid0(VALU_DEP_2) | instskip(SKIP_2) | instid1(VALU_DEP_2)
	v_cndmask_b32_e32 v7, 0x7f800000, v6, vcc_lo
	v_lshlrev_b64_e32 v[5:6], 2, v[0:1]
	v_add_nc_u32_e32 v0, s0, v0
	v_add_co_u32 v5, vcc_lo, s6, v5
	s_wait_alu 0xfffd
	s_delay_alu instid0(VALU_DEP_3) | instskip(SKIP_3) | instid1(VALU_DEP_1)
	v_add_co_ci_u32_e64 v6, null, s7, v6, vcc_lo
	global_store_b32 v[5:6], v7, off
	s_wait_alu 0xfffe
	v_fmaak_f32 v5, s1, v2, 0x4194d2f3
	v_fmamk_f32 v5, v3, 0xc3248d46, v5
	s_delay_alu instid0(VALU_DEP_1) | instskip(SKIP_1) | instid1(VALU_DEP_2)
	v_mul_f32_e32 v6, 0x3fb8aa3b, v5
	v_cmp_ngt_f32_e32 vcc_lo, 0xc2ce8ed0, v5
	v_fma_f32 v7, 0x3fb8aa3b, v5, -v6
	v_rndne_f32_e32 v8, v6
	s_delay_alu instid0(VALU_DEP_1) | instskip(NEXT) | instid1(VALU_DEP_1)
	v_dual_fmac_f32 v7, 0x32a5705f, v5 :: v_dual_sub_f32 v6, v6, v8
	v_add_f32_e32 v6, v6, v7
	v_cvt_i32_f32_e32 v7, v8
	s_delay_alu instid0(VALU_DEP_2) | instskip(NEXT) | instid1(TRANS32_DEP_1)
	v_exp_f32_e32 v6, v6
	v_ldexp_f32 v6, v6, v7
	s_wait_alu 0xfffd
	s_delay_alu instid0(VALU_DEP_1) | instskip(SKIP_2) | instid1(VALU_DEP_2)
	v_cndmask_b32_e32 v6, 0, v6, vcc_lo
	v_cmp_nlt_f32_e32 vcc_lo, 0x42b17218, v5
	s_wait_alu 0xfffd
	v_cndmask_b32_e32 v7, 0x7f800000, v6, vcc_lo
	v_lshlrev_b64_e32 v[5:6], 2, v[0:1]
	v_add_nc_u32_e32 v0, s0, v0
	s_delay_alu instid0(VALU_DEP_2) | instskip(SKIP_1) | instid1(VALU_DEP_3)
	v_add_co_u32 v5, vcc_lo, s6, v5
	s_wait_alu 0xfffd
	v_add_co_ci_u32_e64 v6, null, s7, v6, vcc_lo
	global_store_b32 v[5:6], v7, off
	v_fmaak_f32 v5, s1, v2, 0x418af785
	s_mov_b32 s1, 0x3f333333
	s_delay_alu instid0(VALU_DEP_1) | instskip(NEXT) | instid1(VALU_DEP_1)
	v_fmamk_f32 v5, v3, 0x43f49034, v5
	v_mul_f32_e32 v6, 0x3fb8aa3b, v5
	v_cmp_ngt_f32_e32 vcc_lo, 0xc2ce8ed0, v5
	s_delay_alu instid0(VALU_DEP_2) | instskip(SKIP_1) | instid1(VALU_DEP_1)
	v_fma_f32 v7, 0x3fb8aa3b, v5, -v6
	v_rndne_f32_e32 v8, v6
	v_dual_fmac_f32 v7, 0x32a5705f, v5 :: v_dual_sub_f32 v6, v6, v8
	s_delay_alu instid0(VALU_DEP_1) | instskip(SKIP_1) | instid1(VALU_DEP_2)
	v_add_f32_e32 v6, v6, v7
	v_cvt_i32_f32_e32 v7, v8
	v_exp_f32_e32 v6, v6
	s_delay_alu instid0(TRANS32_DEP_1) | instskip(SKIP_1) | instid1(VALU_DEP_1)
	v_ldexp_f32 v6, v6, v7
	s_wait_alu 0xfffd
	v_cndmask_b32_e32 v6, 0, v6, vcc_lo
	v_cmp_nlt_f32_e32 vcc_lo, 0x42b17218, v5
	s_wait_alu 0xfffd
	s_delay_alu instid0(VALU_DEP_2) | instskip(SKIP_2) | instid1(VALU_DEP_2)
	v_cndmask_b32_e32 v7, 0x7f800000, v6, vcc_lo
	v_lshlrev_b64_e32 v[5:6], 2, v[0:1]
	v_add_nc_u32_e32 v0, s0, v0
	v_add_co_u32 v5, vcc_lo, s6, v5
	s_wait_alu 0xfffd
	s_delay_alu instid0(VALU_DEP_3) | instskip(SKIP_4) | instid1(VALU_DEP_1)
	v_add_co_ci_u32_e64 v6, null, s7, v6, vcc_lo
	global_store_b32 v[5:6], v7, off
	s_wait_alu 0xfffe
	v_fmaak_f32 v5, s1, v2, 0x41cf546d
	s_mov_b32 s1, 0x40266666
	v_fmamk_f32 v5, v3, 0xc538eea0, v5
	s_delay_alu instid0(VALU_DEP_1) | instskip(SKIP_1) | instid1(VALU_DEP_2)
	v_mul_f32_e32 v6, 0x3fb8aa3b, v5
	v_cmp_ngt_f32_e32 vcc_lo, 0xc2ce8ed0, v5
	v_fma_f32 v7, 0x3fb8aa3b, v5, -v6
	v_rndne_f32_e32 v8, v6
	s_delay_alu instid0(VALU_DEP_1) | instskip(NEXT) | instid1(VALU_DEP_1)
	v_dual_fmac_f32 v7, 0x32a5705f, v5 :: v_dual_sub_f32 v6, v6, v8
	v_add_f32_e32 v6, v6, v7
	v_cvt_i32_f32_e32 v7, v8
	s_delay_alu instid0(VALU_DEP_2) | instskip(NEXT) | instid1(TRANS32_DEP_1)
	v_exp_f32_e32 v6, v6
	v_ldexp_f32 v6, v6, v7
	s_wait_alu 0xfffd
	s_delay_alu instid0(VALU_DEP_1) | instskip(SKIP_2) | instid1(VALU_DEP_2)
	v_cndmask_b32_e32 v6, 0, v6, vcc_lo
	v_cmp_nlt_f32_e32 vcc_lo, 0x42b17218, v5
	s_wait_alu 0xfffd
	v_cndmask_b32_e32 v7, 0x7f800000, v6, vcc_lo
	v_lshlrev_b64_e32 v[5:6], 2, v[0:1]
	v_add_nc_u32_e32 v0, s0, v0
	s_delay_alu instid0(VALU_DEP_2) | instskip(SKIP_1) | instid1(VALU_DEP_3)
	v_add_co_u32 v5, vcc_lo, s6, v5
	s_wait_alu 0xfffd
	v_add_co_ci_u32_e64 v6, null, s7, v6, vcc_lo
	global_store_b32 v[5:6], v7, off
	v_fmaak_f32 v5, 2.0, v2, 0x416f268e
	s_delay_alu instid0(VALU_DEP_1) | instskip(NEXT) | instid1(VALU_DEP_1)
	v_fmamk_f32 v5, v3, 0x4315f565, v5
	v_mul_f32_e32 v6, 0x3fb8aa3b, v5
	v_cmp_ngt_f32_e32 vcc_lo, 0xc2ce8ed0, v5
	s_delay_alu instid0(VALU_DEP_2) | instskip(SKIP_1) | instid1(VALU_DEP_1)
	v_fma_f32 v7, 0x3fb8aa3b, v5, -v6
	v_rndne_f32_e32 v8, v6
	v_dual_fmac_f32 v7, 0x32a5705f, v5 :: v_dual_sub_f32 v6, v6, v8
	s_delay_alu instid0(VALU_DEP_1) | instskip(SKIP_1) | instid1(VALU_DEP_2)
	v_add_f32_e32 v6, v6, v7
	v_cvt_i32_f32_e32 v7, v8
	v_exp_f32_e32 v6, v6
	s_delay_alu instid0(TRANS32_DEP_1) | instskip(SKIP_1) | instid1(VALU_DEP_1)
	v_ldexp_f32 v6, v6, v7
	s_wait_alu 0xfffd
	v_cndmask_b32_e32 v6, 0, v6, vcc_lo
	v_cmp_nlt_f32_e32 vcc_lo, 0x42b17218, v5
	s_wait_alu 0xfffd
	s_delay_alu instid0(VALU_DEP_2) | instskip(SKIP_2) | instid1(VALU_DEP_2)
	v_cndmask_b32_e32 v7, 0x7f800000, v6, vcc_lo
	v_lshlrev_b64_e32 v[5:6], 2, v[0:1]
	v_add_nc_u32_e32 v0, s0, v0
	v_add_co_u32 v5, vcc_lo, s6, v5
	s_wait_alu 0xfffd
	s_delay_alu instid0(VALU_DEP_3) | instskip(SKIP_4) | instid1(VALU_DEP_1)
	v_add_co_ci_u32_e64 v6, null, s7, v6, vcc_lo
	global_store_b32 v[5:6], v7, off
	s_wait_alu 0xfffe
	v_fmaak_f32 v5, s1, v2, 0x4112b659
	s_mov_b32 s1, 0x40600000
	v_fmamk_f32 v5, v3, 0xc5dabdf3, v5
	s_delay_alu instid0(VALU_DEP_1) | instskip(SKIP_1) | instid1(VALU_DEP_2)
	v_mul_f32_e32 v6, 0x3fb8aa3b, v5
	v_cmp_ngt_f32_e32 vcc_lo, 0xc2ce8ed0, v5
	v_fma_f32 v7, 0x3fb8aa3b, v5, -v6
	v_rndne_f32_e32 v8, v6
	s_delay_alu instid0(VALU_DEP_1) | instskip(NEXT) | instid1(VALU_DEP_1)
	v_dual_fmac_f32 v7, 0x32a5705f, v5 :: v_dual_sub_f32 v6, v6, v8
	v_add_f32_e32 v6, v6, v7
	v_cvt_i32_f32_e32 v7, v8
	s_delay_alu instid0(VALU_DEP_2) | instskip(NEXT) | instid1(TRANS32_DEP_1)
	v_exp_f32_e32 v6, v6
	v_ldexp_f32 v6, v6, v7
	s_wait_alu 0xfffd
	s_delay_alu instid0(VALU_DEP_1) | instskip(SKIP_2) | instid1(VALU_DEP_2)
	v_cndmask_b32_e32 v6, 0, v6, vcc_lo
	v_cmp_nlt_f32_e32 vcc_lo, 0x42b17218, v5
	s_wait_alu 0xfffd
	v_cndmask_b32_e32 v7, 0x7f800000, v6, vcc_lo
	v_lshlrev_b64_e32 v[5:6], 2, v[0:1]
	v_add_nc_u32_e32 v0, s0, v0
	s_delay_alu instid0(VALU_DEP_2) | instskip(SKIP_1) | instid1(VALU_DEP_3)
	v_add_co_u32 v5, vcc_lo, s6, v5
	s_wait_alu 0xfffd
	v_add_co_ci_u32_e64 v6, null, s7, v6, vcc_lo
	global_store_b32 v[5:6], v7, off
	s_wait_alu 0xfffe
	v_fmaak_f32 v5, s1, v2, 0x3f49d857
	s_mov_b32 s1, 0xc03ae148
	s_delay_alu instid0(VALU_DEP_1) | instskip(NEXT) | instid1(VALU_DEP_1)
	v_fmamk_f32 v5, v3, 0xc5327c13, v5
	v_mul_f32_e32 v6, 0x3fb8aa3b, v5
	v_cmp_ngt_f32_e32 vcc_lo, 0xc2ce8ed0, v5
	s_delay_alu instid0(VALU_DEP_2) | instskip(SKIP_1) | instid1(VALU_DEP_1)
	v_fma_f32 v7, 0x3fb8aa3b, v5, -v6
	v_rndne_f32_e32 v8, v6
	v_dual_fmac_f32 v7, 0x32a5705f, v5 :: v_dual_sub_f32 v6, v6, v8
	s_delay_alu instid0(VALU_DEP_1) | instskip(SKIP_1) | instid1(VALU_DEP_2)
	v_add_f32_e32 v6, v6, v7
	v_cvt_i32_f32_e32 v7, v8
	v_exp_f32_e32 v6, v6
	s_delay_alu instid0(TRANS32_DEP_1) | instskip(SKIP_1) | instid1(VALU_DEP_1)
	v_ldexp_f32 v6, v6, v7
	s_wait_alu 0xfffd
	v_cndmask_b32_e32 v6, 0, v6, vcc_lo
	v_cmp_nlt_f32_e32 vcc_lo, 0x42b17218, v5
	s_wait_alu 0xfffd
	s_delay_alu instid0(VALU_DEP_2) | instskip(SKIP_2) | instid1(VALU_DEP_2)
	v_cndmask_b32_e32 v7, 0x7f800000, v6, vcc_lo
	v_lshlrev_b64_e32 v[5:6], 2, v[0:1]
	v_add_nc_u32_e32 v0, s0, v0
	v_add_co_u32 v5, vcc_lo, s6, v5
	s_wait_alu 0xfffd
	s_delay_alu instid0(VALU_DEP_3)
	v_add_co_ci_u32_e64 v6, null, s7, v6, vcc_lo
	global_store_b32 v[5:6], v7, off
	s_wait_alu 0xfffe
	v_fmaak_f32 v5, s1, v2, 0x42624810
	s_mov_b32 s1, 0xc0a70a3d
	s_wait_alu 0xfffe
	v_fmaak_f32 v2, s1, v2, 0x42961660
	s_delay_alu instid0(VALU_DEP_2) | instskip(NEXT) | instid1(VALU_DEP_2)
	v_fmamk_f32 v5, v3, 0xc5c4a5cc, v5
	v_fmamk_f32 v2, v3, 0xc61b4414, v2
	s_delay_alu instid0(VALU_DEP_2) | instskip(SKIP_1) | instid1(VALU_DEP_3)
	v_mul_f32_e32 v6, 0x3fb8aa3b, v5
	v_cmp_ngt_f32_e32 vcc_lo, 0xc2ce8ed0, v5
	v_mul_f32_e32 v3, 0x3fb8aa3b, v2
	s_delay_alu instid0(VALU_DEP_3) | instskip(SKIP_1) | instid1(VALU_DEP_1)
	v_fma_f32 v7, 0x3fb8aa3b, v5, -v6
	v_rndne_f32_e32 v8, v6
	v_dual_fmac_f32 v7, 0x32a5705f, v5 :: v_dual_sub_f32 v6, v6, v8
	s_delay_alu instid0(VALU_DEP_1) | instskip(SKIP_1) | instid1(VALU_DEP_2)
	v_add_f32_e32 v6, v6, v7
	v_cvt_i32_f32_e32 v7, v8
	v_exp_f32_e32 v6, v6
	s_delay_alu instid0(TRANS32_DEP_1) | instskip(SKIP_1) | instid1(VALU_DEP_1)
	v_ldexp_f32 v6, v6, v7
	s_wait_alu 0xfffd
	v_cndmask_b32_e32 v6, 0, v6, vcc_lo
	v_cmp_nlt_f32_e32 vcc_lo, 0x42b17218, v5
	s_wait_alu 0xfffd
	s_delay_alu instid0(VALU_DEP_2) | instskip(SKIP_2) | instid1(VALU_DEP_2)
	v_cndmask_b32_e32 v7, 0x7f800000, v6, vcc_lo
	v_lshlrev_b64_e32 v[5:6], 2, v[0:1]
	v_add_nc_u32_e32 v0, s0, v0
	v_add_co_u32 v5, vcc_lo, s6, v5
	s_wait_alu 0xfffd
	s_delay_alu instid0(VALU_DEP_3) | instskip(SKIP_3) | instid1(VALU_DEP_2)
	v_add_co_ci_u32_e64 v6, null, s7, v6, vcc_lo
	global_store_b32 v[5:6], v7, off
	v_lshlrev_b64_e32 v[5:6], 2, v[0:1]
	v_dual_mov_b32 v7, 0x53d18c2e :: v_dual_add_nc_u32 v0, s0, v0
	v_add_co_u32 v5, vcc_lo, s6, v5
	s_wait_alu 0xfffd
	s_delay_alu instid0(VALU_DEP_3) | instskip(SKIP_3) | instid1(VALU_DEP_2)
	v_add_co_ci_u32_e64 v6, null, s7, v6, vcc_lo
	global_store_b32 v[5:6], v7, off
	v_lshlrev_b64_e32 v[5:6], 2, v[0:1]
	v_dual_mov_b32 v7, 0x56ae9f7c :: v_dual_add_nc_u32 v0, s0, v0
	;; [unrolled: 7-line block ×3, first 2 shown]
	v_add_co_u32 v5, vcc_lo, s6, v5
	s_wait_alu 0xfffd
	s_delay_alu instid0(VALU_DEP_3) | instskip(SKIP_3) | instid1(VALU_DEP_2)
	v_add_co_ci_u32_e64 v6, null, s7, v6, vcc_lo
	global_store_b32 v[5:6], v4, off
	v_lshlrev_b64_e32 v[5:6], 2, v[0:1]
	v_add_nc_u32_e32 v0, s0, v0
	v_add_co_u32 v5, vcc_lo, s6, v5
	s_wait_alu 0xfffd
	s_delay_alu instid0(VALU_DEP_3) | instskip(SKIP_3) | instid1(VALU_DEP_2)
	v_add_co_ci_u32_e64 v6, null, s7, v6, vcc_lo
	global_store_b32 v[5:6], v7, off
	v_lshlrev_b64_e32 v[5:6], 2, v[0:1]
	v_add_nc_u32_e32 v0, s0, v0
	v_add_co_u32 v5, vcc_lo, s6, v5
	s_wait_alu 0xfffd
	s_delay_alu instid0(VALU_DEP_3) | instskip(SKIP_4) | instid1(VALU_DEP_3)
	v_add_co_ci_u32_e64 v6, null, s7, v6, vcc_lo
	global_store_b32 v[5:6], v4, off
	v_lshlrev_b64_e32 v[4:5], 2, v[0:1]
	v_mov_b32_e32 v6, 0x55201231
	v_add_nc_u32_e32 v0, s0, v0
	v_add_co_u32 v4, vcc_lo, s6, v4
	s_wait_alu 0xfffd
	s_delay_alu instid0(VALU_DEP_4)
	v_add_co_ci_u32_e64 v5, null, s7, v5, vcc_lo
	v_cmp_ngt_f32_e32 vcc_lo, 0xc2ce8ed0, v2
	v_lshlrev_b64_e32 v[0:1], 2, v[0:1]
	global_store_b32 v[4:5], v6, off
	v_fma_f32 v4, 0x3fb8aa3b, v2, -v3
	v_rndne_f32_e32 v5, v3
	s_delay_alu instid0(VALU_DEP_1) | instskip(NEXT) | instid1(VALU_DEP_1)
	v_dual_fmac_f32 v4, 0x32a5705f, v2 :: v_dual_sub_f32 v3, v3, v5
	v_add_f32_e32 v3, v3, v4
	v_cvt_i32_f32_e32 v4, v5
	s_delay_alu instid0(VALU_DEP_2) | instskip(NEXT) | instid1(TRANS32_DEP_1)
	v_exp_f32_e32 v3, v3
	v_ldexp_f32 v3, v3, v4
	s_wait_alu 0xfffd
	s_delay_alu instid0(VALU_DEP_1) | instskip(SKIP_2) | instid1(VALU_DEP_2)
	v_cndmask_b32_e32 v3, 0, v3, vcc_lo
	v_cmp_nlt_f32_e32 vcc_lo, 0x42b17218, v2
	s_wait_alu 0xfffd
	v_cndmask_b32_e32 v2, 0x7f800000, v3, vcc_lo
	v_add_co_u32 v0, vcc_lo, s6, v0
	s_wait_alu 0xfffd
	v_add_co_ci_u32_e64 v1, null, s7, v1, vcc_lo
	global_store_b32 v[0:1], v2, off
	s_endpgm
	.section	.rodata,"a",@progbits
	.p2align	6, 0x0
	.amdhsa_kernel _Z11ratt_kernelIfEvPKT_PS0_S0_
		.amdhsa_group_segment_fixed_size 0
		.amdhsa_private_segment_fixed_size 0
		.amdhsa_kernarg_size 280
		.amdhsa_user_sgpr_count 2
		.amdhsa_user_sgpr_dispatch_ptr 0
		.amdhsa_user_sgpr_queue_ptr 0
		.amdhsa_user_sgpr_kernarg_segment_ptr 1
		.amdhsa_user_sgpr_dispatch_id 0
		.amdhsa_user_sgpr_private_segment_size 0
		.amdhsa_wavefront_size32 1
		.amdhsa_uses_dynamic_stack 0
		.amdhsa_enable_private_segment 0
		.amdhsa_system_sgpr_workgroup_id_x 1
		.amdhsa_system_sgpr_workgroup_id_y 0
		.amdhsa_system_sgpr_workgroup_id_z 0
		.amdhsa_system_sgpr_workgroup_info 0
		.amdhsa_system_vgpr_workitem_id 0
		.amdhsa_next_free_vgpr 15
		.amdhsa_next_free_sgpr 8
		.amdhsa_reserve_vcc 1
		.amdhsa_float_round_mode_32 0
		.amdhsa_float_round_mode_16_64 0
		.amdhsa_float_denorm_mode_32 3
		.amdhsa_float_denorm_mode_16_64 3
		.amdhsa_fp16_overflow 0
		.amdhsa_workgroup_processor_mode 1
		.amdhsa_memory_ordered 1
		.amdhsa_forward_progress 1
		.amdhsa_inst_pref_size 192
		.amdhsa_round_robin_scheduling 0
		.amdhsa_exception_fp_ieee_invalid_op 0
		.amdhsa_exception_fp_denorm_src 0
		.amdhsa_exception_fp_ieee_div_zero 0
		.amdhsa_exception_fp_ieee_overflow 0
		.amdhsa_exception_fp_ieee_underflow 0
		.amdhsa_exception_fp_ieee_inexact 0
		.amdhsa_exception_int_div_zero 0
	.end_amdhsa_kernel
	.section	.text._Z11ratt_kernelIfEvPKT_PS0_S0_,"axG",@progbits,_Z11ratt_kernelIfEvPKT_PS0_S0_,comdat
.Lfunc_end0:
	.size	_Z11ratt_kernelIfEvPKT_PS0_S0_, .Lfunc_end0-_Z11ratt_kernelIfEvPKT_PS0_S0_
                                        ; -- End function
	.set _Z11ratt_kernelIfEvPKT_PS0_S0_.num_vgpr, 15
	.set _Z11ratt_kernelIfEvPKT_PS0_S0_.num_agpr, 0
	.set _Z11ratt_kernelIfEvPKT_PS0_S0_.numbered_sgpr, 8
	.set _Z11ratt_kernelIfEvPKT_PS0_S0_.num_named_barrier, 0
	.set _Z11ratt_kernelIfEvPKT_PS0_S0_.private_seg_size, 0
	.set _Z11ratt_kernelIfEvPKT_PS0_S0_.uses_vcc, 1
	.set _Z11ratt_kernelIfEvPKT_PS0_S0_.uses_flat_scratch, 0
	.set _Z11ratt_kernelIfEvPKT_PS0_S0_.has_dyn_sized_stack, 0
	.set _Z11ratt_kernelIfEvPKT_PS0_S0_.has_recursion, 0
	.set _Z11ratt_kernelIfEvPKT_PS0_S0_.has_indirect_call, 0
	.section	.AMDGPU.csdata,"",@progbits
; Kernel info:
; codeLenInByte = 24480
; TotalNumSgprs: 10
; NumVgprs: 15
; ScratchSize: 0
; MemoryBound: 0
; FloatMode: 240
; IeeeMode: 1
; LDSByteSize: 0 bytes/workgroup (compile time only)
; SGPRBlocks: 0
; VGPRBlocks: 1
; NumSGPRsForWavesPerEU: 10
; NumVGPRsForWavesPerEU: 15
; Occupancy: 16
; WaveLimiterHint : 0
; COMPUTE_PGM_RSRC2:SCRATCH_EN: 0
; COMPUTE_PGM_RSRC2:USER_SGPR: 2
; COMPUTE_PGM_RSRC2:TRAP_HANDLER: 0
; COMPUTE_PGM_RSRC2:TGID_X_EN: 1
; COMPUTE_PGM_RSRC2:TGID_Y_EN: 0
; COMPUTE_PGM_RSRC2:TGID_Z_EN: 0
; COMPUTE_PGM_RSRC2:TIDIG_COMP_CNT: 0
	.section	.text._Z12rdsmh_kernelIfEvPKT_PS0_S0_,"axG",@progbits,_Z12rdsmh_kernelIfEvPKT_PS0_S0_,comdat
	.protected	_Z12rdsmh_kernelIfEvPKT_PS0_S0_ ; -- Begin function _Z12rdsmh_kernelIfEvPKT_PS0_S0_
	.globl	_Z12rdsmh_kernelIfEvPKT_PS0_S0_
	.p2align	8
	.type	_Z12rdsmh_kernelIfEvPKT_PS0_S0_,@function
_Z12rdsmh_kernelIfEvPKT_PS0_S0_:        ; @_Z12rdsmh_kernelIfEvPKT_PS0_S0_
; %bb.0:
	s_clause 0x3
	s_load_b32 s2, s[0:1], 0x24
	s_load_b128 s[4:7], s[0:1], 0x0
	s_load_b32 s3, s[0:1], 0x10
	s_load_b32 s1, s[0:1], 0x18
	s_wait_kmcnt 0x0
	s_and_b32 s2, s2, 0xffff
	s_delay_alu instid0(SALU_CYCLE_1) | instskip(SKIP_1) | instid1(VALU_DEP_1)
	v_mad_co_u64_u32 v[0:1], null, ttmp9, s2, v[0:1]
	v_mov_b32_e32 v1, 0
	v_lshlrev_b64_e32 v[2:3], 2, v[0:1]
	s_delay_alu instid0(VALU_DEP_1) | instskip(NEXT) | instid1(VALU_DEP_1)
	v_add_co_u32 v4, vcc_lo, s4, v2
	v_add_co_ci_u32_e64 v5, null, s5, v3, vcc_lo
	global_load_b32 v4, v[4:5], off
	s_wait_loadcnt 0x0
	v_mul_f32_e32 v6, s3, v4
	s_delay_alu instid0(VALU_DEP_1) | instskip(SKIP_4) | instid1(VALU_DEP_3)
	v_cmp_gt_f32_e32 vcc_lo, 0x800000, v6
	v_div_scale_f32 v4, null, v6, v6, 1.0
	v_div_scale_f32 v9, s0, 1.0, v6, 1.0
	s_wait_alu 0xfffd
	v_cndmask_b32_e64 v5, 0, 32, vcc_lo
	v_rcp_f32_e32 v7, v4
	s_delay_alu instid0(VALU_DEP_1) | instskip(NEXT) | instid1(VALU_DEP_1)
	v_ldexp_f32 v5, v6, v5
	v_log_f32_e32 v5, v5
	s_delay_alu instid0(TRANS32_DEP_2)
	v_fma_f32 v8, -v4, v7, 1.0
	s_delay_alu instid0(TRANS32_DEP_1) | instid1(VALU_DEP_1)
	v_dual_fmac_f32 v7, v8, v7 :: v_dual_mul_f32 v8, 0x3f317217, v5
	s_delay_alu instid0(VALU_DEP_1) | instskip(NEXT) | instid1(VALU_DEP_2)
	v_mul_f32_e32 v10, v9, v7
	v_fma_f32 v8, 0x3f317217, v5, -v8
	s_delay_alu instid0(VALU_DEP_2) | instskip(NEXT) | instid1(VALU_DEP_2)
	v_fma_f32 v11, -v4, v10, v9
	v_fmamk_f32 v8, v5, 0x3377d1cf, v8
	s_delay_alu instid0(VALU_DEP_1) | instskip(NEXT) | instid1(VALU_DEP_3)
	v_fmac_f32_e32 v8, 0x3f317217, v5
	v_fmac_f32_e32 v10, v11, v7
	v_cndmask_b32_e64 v11, 0, 0x41b17218, vcc_lo
	v_cmp_gt_f32_e64 vcc_lo, 0x7f800000, |v5|
	s_wait_alu 0xfffd
	v_cndmask_b32_e32 v5, v5, v8, vcc_lo
	v_fma_f32 v4, -v4, v10, v9
	s_mov_b32 vcc_lo, s0
	s_mul_i32 s0, s1, s2
	s_mov_b32 s1, exec_lo
	v_sub_f32_e32 v5, v5, v11
	s_wait_alu 0xfffe
	v_div_fmas_f32 v4, v4, v7, v10
                                        ; implicit-def: $vgpr10
                                        ; implicit-def: $vgpr11
	s_delay_alu instid0(VALU_DEP_2) | instskip(NEXT) | instid1(VALU_DEP_2)
	v_add_f32_e32 v7, -1.0, v5
	v_div_fixup_f32 v8, v4, v6, 1.0
	v_add_co_u32 v4, vcc_lo, s6, v2
	s_wait_alu 0xfffd
	v_add_co_ci_u32_e64 v5, null, s7, v3, vcc_lo
	s_delay_alu instid0(VALU_DEP_3)
	v_mul_f32_e32 v3, 0x46c70352, v8
	v_dual_mul_f32 v9, 0x40200000, v7 :: v_dual_add_nc_u32 v2, s0, v0
	v_cmpx_nlt_f32_e32 0x447a0000, v6
	s_xor_b32 s1, exec_lo, s1
	s_cbranch_execz .LBB1_2
; %bb.1:
	s_mov_b32 s2, 0xaacf9e87
	s_mov_b32 s3, 0x44657bda
	s_wait_alu 0xfffe
	v_fmaak_f32 v10, s2, v6, 0x30e6dd90
	s_mov_b32 s2, 0x9a604fda
	v_sub_f32_e32 v13, 0xbee4b39d, v3
	s_wait_alu 0xfffe
	v_fmaak_f32 v11, s2, v6, 0x20625c41
	v_dual_fmaak_f32 v12, s3, v8, 0x3f2ed9c2 :: v_dual_mov_b32 v3, v1
	s_delay_alu instid0(VALU_DEP_3) | instskip(NEXT) | instid1(VALU_DEP_3)
	v_dual_fmaak_f32 v10, v6, v10, 0xb659dc04 :: v_dual_add_f32 v13, v13, v9
	v_fmaak_f32 v11, v6, v11, 0xa5bfc2f5
	s_mov_b32 s2, 0xc6e38485
	s_mov_b32 s3, 0x29eddd45
	s_delay_alu instid0(VALU_DEP_2)
	v_fmaak_f32 v10, v6, v10, 0x3b82c0bb
	s_mov_b32 s4, 0x4484fe32
	v_fmaak_f32 v9, v6, v11, 0x2ac68896
	v_fmamk_f32 v12, v7, 0x40160985, v12
	s_wait_alu 0xfffe
	v_fmaak_f32 v19, s4, v8, 0x406a175c
	s_delay_alu instid0(VALU_DEP_3) | instskip(NEXT) | instid1(VALU_DEP_3)
	v_fmac_f32_e32 v13, v6, v9
	v_fmac_f32_e32 v12, v6, v10
	s_delay_alu instid0(VALU_DEP_1) | instskip(SKIP_1) | instid1(VALU_DEP_2)
	v_dual_mul_f32 v14, 0x3fb8aa3b, v13 :: v_dual_mul_f32 v11, 0x3fb8aa3b, v12
	v_cmp_ngt_f32_e32 vcc_lo, 0xc2ce8ed0, v12
	v_rndne_f32_e32 v18, v14
	v_fmaak_f32 v9, s2, v8, 0x400352e1
	s_delay_alu instid0(VALU_DEP_4) | instskip(SKIP_2) | instid1(VALU_DEP_3)
	v_rndne_f32_e32 v16, v11
	v_fma_f32 v17, 0x3fb8aa3b, v13, -v14
	s_mov_b32 s2, 0x2a369b0d
	v_dual_sub_f32 v14, v14, v18 :: v_dual_fmamk_f32 v15, v7, 0x404ac4e3, v9
	v_fma_f32 v9, 0x3fb8aa3b, v12, -v11
	v_sub_f32_e32 v11, v11, v16
	v_fmac_f32_e32 v17, 0x32a5705f, v13
	v_fmaak_f32 v10, s3, v6, 0xb00c5f5c
	v_cvt_i32_f32_e32 v16, v16
	v_fmac_f32_e32 v9, 0x32a5705f, v12
	v_cvt_i32_f32_e32 v18, v18
	s_mov_b32 s3, 0x463408d2
	s_delay_alu instid0(VALU_DEP_2) | instskip(NEXT) | instid1(VALU_DEP_1)
	v_add_f32_e32 v11, v11, v9
	v_exp_f32_e32 v11, v11
	s_delay_alu instid0(TRANS32_DEP_1) | instskip(SKIP_1) | instid1(VALU_DEP_1)
	v_ldexp_f32 v11, v11, v16
	s_wait_alu 0xfffd
	v_dual_fmaak_f32 v10, v6, v10, 0x35949a53 :: v_dual_cndmask_b32 v11, 0, v11
	v_cmp_ngt_f32_e32 vcc_lo, 0xc2ce8ed0, v13
	s_delay_alu instid0(VALU_DEP_2) | instskip(NEXT) | instid1(VALU_DEP_1)
	v_fmaak_f32 v10, v6, v10, 0xbad6e9d7
	v_fmac_f32_e32 v15, v6, v10
	v_lshlrev_b64_e32 v[9:10], 2, v[2:3]
	v_add_f32_e32 v3, v14, v17
	v_fmamk_f32 v17, v7, 0x407213c4, v19
	s_wait_alu 0xfffe
	v_fmaak_f32 v20, s2, v6, 0xb05dc3b7
	v_add_nc_u32_e32 v2, s0, v2
	s_mov_b32 s2, 0x299995ee
	v_exp_f32_e32 v3, v3
	s_delay_alu instid0(VALU_DEP_2) | instskip(NEXT) | instid1(VALU_DEP_1)
	v_fmaak_f32 v19, v6, v20, 0x35dc47c9
	v_fmaak_f32 v19, v6, v19, 0xbac464db
	s_delay_alu instid0(TRANS32_DEP_1) | instskip(NEXT) | instid1(VALU_DEP_2)
	v_ldexp_f32 v3, v3, v18
	v_fmac_f32_e32 v17, v6, v19
	s_wait_alu 0xfffd
	s_delay_alu instid0(VALU_DEP_2) | instskip(SKIP_1) | instid1(VALU_DEP_3)
	v_cndmask_b32_e32 v3, 0, v3, vcc_lo
	v_cmp_nlt_f32_e32 vcc_lo, 0x42b17218, v12
	v_mul_f32_e32 v12, 0x3fb8aa3b, v17
	s_wait_alu 0xfffd
	v_cndmask_b32_e32 v16, 0x7f800000, v11, vcc_lo
	v_mul_f32_e32 v14, 0x3fb8aa3b, v15
	v_cmp_nlt_f32_e32 vcc_lo, 0x42b17218, v13
	v_rndne_f32_e32 v18, v12
	global_store_b32 v[4:5], v16, off
	v_fma_f32 v20, 0x3fb8aa3b, v15, -v14
	v_rndne_f32_e32 v21, v14
	s_wait_alu 0xfffd
	v_cndmask_b32_e32 v13, 0x7f800000, v3, vcc_lo
	v_add_co_u32 v9, vcc_lo, s6, v9
	v_fmac_f32_e32 v20, 0x32a5705f, v15
	v_sub_f32_e32 v14, v14, v21
	v_cvt_i32_f32_e32 v3, v21
	s_wait_alu 0xfffd
	v_add_co_ci_u32_e64 v10, null, s7, v10, vcc_lo
	v_cmp_ngt_f32_e32 vcc_lo, 0xc2ce8ed0, v15
	v_dual_add_f32 v14, v14, v20 :: v_dual_sub_f32 v19, v12, v18
	v_cvt_i32_f32_e32 v4, v18
	s_wait_alu 0xfffe
	v_fmaak_f32 v21, s2, v6, 0xafb1ce6a
	s_mov_b32 s2, 0xc561f14a
	v_exp_f32_e32 v11, v14
	v_fma_f32 v14, 0x3fb8aa3b, v17, -v12
	global_store_b32 v[9:10], v13, off
	v_fmac_f32_e32 v14, 0x32a5705f, v17
	v_ldexp_f32 v11, v11, v3
	s_wait_alu 0xfffd
	s_delay_alu instid0(VALU_DEP_1) | instskip(NEXT) | instid1(VALU_DEP_1)
	v_dual_mov_b32 v3, v1 :: v_dual_cndmask_b32 v20, 0, v11
	v_lshlrev_b64_e32 v[11:12], 2, v[2:3]
	s_wait_alu 0xfffe
	v_dual_add_f32 v3, v19, v14 :: v_dual_fmaak_f32 v14, s2, v8, 0xbdd4d6df
	v_cmp_nlt_f32_e32 vcc_lo, 0x42b17218, v15
	s_mov_b32 s2, 0x29c781cb
	v_fmaak_f32 v19, v6, v21, 0x354e9a63
	s_delay_alu instid0(VALU_DEP_3)
	v_exp_f32_e32 v3, v3
	v_add_nc_u32_e32 v2, s0, v2
	s_wait_alu 0xfffd
	v_cndmask_b32_e32 v15, 0x7f800000, v20, vcc_lo
	v_add_co_u32 v11, vcc_lo, s6, v11
	s_wait_alu 0xfffd
	v_add_co_ci_u32_e64 v12, null, s7, v12, vcc_lo
	v_cmp_ngt_f32_e32 vcc_lo, 0xc2ce8ed0, v17
	s_delay_alu instid0(TRANS32_DEP_1)
	v_ldexp_f32 v4, v3, v4
	s_wait_alu 0xfffe
	v_fmaak_f32 v3, s2, v6, 0xaffb6b9a
	s_mov_b32 s2, 0x46ecab74
	global_store_b32 v[11:12], v15, off
	s_wait_alu 0xfffe
	v_fmaak_f32 v9, s2, v8, 0xbf595a2d
	s_mov_b32 s2, 0x2b02c6dd
	v_dual_fmaak_f32 v10, v6, v3, 0x3591dbe3 :: v_dual_mov_b32 v3, v1
	v_fmamk_f32 v14, v7, 0x407f7d2e, v14
	s_delay_alu instid0(VALU_DEP_3) | instskip(SKIP_1) | instid1(VALU_DEP_3)
	v_fmamk_f32 v15, v7, 0x40865b43, v9
	s_wait_alu 0xfffd
	v_dual_fmaak_f32 v9, v6, v10, 0xba8575b2 :: v_dual_cndmask_b32 v10, 0, v4
	v_cmp_nlt_f32_e32 vcc_lo, 0x42b17218, v17
	v_lshlrev_b64_e32 v[3:4], 2, v[2:3]
	s_wait_alu 0xfffd
	s_delay_alu instid0(VALU_DEP_3) | instskip(NEXT) | instid1(VALU_DEP_2)
	v_dual_fmac_f32 v15, v6, v9 :: v_dual_cndmask_b32 v16, 0x7f800000, v10
	v_add_co_u32 v3, vcc_lo, s6, v3
	s_delay_alu instid0(VALU_DEP_2) | instskip(SKIP_2) | instid1(VALU_DEP_2)
	v_mul_f32_e32 v9, 0x3fb8aa3b, v15
	s_wait_alu 0xfffd
	v_add_co_ci_u32_e64 v4, null, s7, v4, vcc_lo
	v_rndne_f32_e32 v13, v9
	v_fma_f32 v10, 0x3fb8aa3b, v15, -v9
	global_store_b32 v[3:4], v16, off
	v_sub_f32_e32 v17, v9, v13
	v_add_nc_u32_e32 v9, s0, v2
	v_fmaak_f32 v19, v6, v19, 0xba9d5f6c
	v_fmac_f32_e32 v10, 0x32a5705f, v15
	s_delay_alu instid0(VALU_DEP_2) | instskip(NEXT) | instid1(VALU_DEP_2)
	v_fmac_f32_e32 v14, v6, v19
	v_add_f32_e32 v2, v17, v10
	s_delay_alu instid0(VALU_DEP_2) | instskip(SKIP_1) | instid1(VALU_DEP_3)
	v_dual_mov_b32 v10, v1 :: v_dual_mul_f32 v5, 0x3fb8aa3b, v14
	v_cmp_ngt_f32_e32 vcc_lo, 0xc2ce8ed0, v14
	v_exp_f32_e32 v2, v2
	s_delay_alu instid0(VALU_DEP_2) | instskip(SKIP_1) | instid1(VALU_DEP_2)
	v_fma_f32 v11, 0x3fb8aa3b, v14, -v5
	v_rndne_f32_e32 v12, v5
	v_fmac_f32_e32 v11, 0x32a5705f, v14
	s_delay_alu instid0(VALU_DEP_2) | instskip(NEXT) | instid1(VALU_DEP_1)
	v_sub_f32_e32 v5, v5, v12
	v_add_f32_e32 v5, v5, v11
	v_cvt_i32_f32_e32 v11, v12
	s_wait_alu 0xfffe
	v_fmaak_f32 v12, s2, v6, 0xb10b0590
	s_mov_b32 s2, 0xc393676e
	v_exp_f32_e32 v5, v5
	s_delay_alu instid0(TRANS32_DEP_1) | instskip(SKIP_1) | instid1(VALU_DEP_1)
	v_ldexp_f32 v5, v5, v11
	s_wait_alu 0xfffd
	v_dual_fmaak_f32 v12, v6, v12, 0x366ca6c6 :: v_dual_cndmask_b32 v5, 0, v5
	s_delay_alu instid0(VALU_DEP_1)
	v_fmaak_f32 v11, v6, v12, 0xbb1b9e83
	s_wait_alu 0xfffe
	v_fmaak_f32 v18, s2, v8, 0x406dddcc
	s_mov_b32 s2, 0x2af2c263
	v_cvt_i32_f32_e32 v12, v13
	s_wait_alu 0xfffe
	v_fmaak_f32 v19, s2, v6, 0xb0f720ac
	s_mov_b32 s2, 0x468a4d2a
	v_fmamk_f32 v17, v7, 0x4089a854, v18
	s_wait_alu 0xfffe
	v_dual_mov_b32 v13, v1 :: v_dual_fmaak_f32 v20, s2, v8, 0x405bd7df
	v_fmaak_f32 v19, v6, v19, 0x363b296d
	v_cmp_nlt_f32_e32 vcc_lo, 0x42b17218, v14
	v_fmac_f32_e32 v17, v6, v11
	v_ldexp_f32 v2, v2, v12
	v_fmamk_f32 v20, v7, 0x4088d5ea, v20
	v_lshlrev_b64_e32 v[10:11], 2, v[9:10]
	v_fmaak_f32 v19, v6, v19, 0xb98e4c32
	s_wait_alu 0xfffd
	v_cndmask_b32_e32 v5, 0x7f800000, v5, vcc_lo
	v_mul_f32_e32 v14, 0x3fb8aa3b, v17
	v_add_nc_u32_e32 v12, s0, v9
	s_mov_b32 s2, 0xa99e4fce
	v_add_co_u32 v10, vcc_lo, s6, v10
	s_wait_alu 0xfffd
	v_add_co_ci_u32_e64 v11, null, s7, v11, vcc_lo
	v_cmp_ngt_f32_e32 vcc_lo, 0xc2ce8ed0, v15
	v_fmac_f32_e32 v20, v6, v19
	v_fma_f32 v9, 0x3fb8aa3b, v17, -v14
	v_rndne_f32_e32 v18, v14
	s_wait_alu 0xfffd
	v_cndmask_b32_e32 v2, 0, v2, vcc_lo
	v_cmp_nlt_f32_e32 vcc_lo, 0x42b17218, v15
	s_delay_alu instid0(VALU_DEP_3) | instskip(SKIP_3) | instid1(VALU_DEP_3)
	v_dual_mul_f32 v15, 0x3fb8aa3b, v20 :: v_dual_sub_f32 v14, v14, v18
	v_cvt_i32_f32_e32 v3, v18
	s_wait_alu 0xfffd
	v_cndmask_b32_e32 v2, 0x7f800000, v2, vcc_lo
	v_fma_f32 v4, 0x3fb8aa3b, v20, -v15
	s_delay_alu instid0(VALU_DEP_1) | instskip(NEXT) | instid1(VALU_DEP_1)
	v_dual_fmac_f32 v9, 0x32a5705f, v17 :: v_dual_fmac_f32 v4, 0x32a5705f, v20
	v_add_f32_e32 v9, v14, v9
	v_lshlrev_b64_e32 v[13:14], 2, v[12:13]
	s_delay_alu instid0(VALU_DEP_2) | instskip(NEXT) | instid1(VALU_DEP_1)
	v_exp_f32_e32 v9, v9
	v_add_co_u32 v13, vcc_lo, s6, v13
	s_wait_alu 0xfffd
	s_delay_alu instid0(VALU_DEP_2)
	v_add_co_ci_u32_e64 v14, null, s7, v14, vcc_lo
	s_clause 0x1
	global_store_b32 v[10:11], v5, off
	global_store_b32 v[13:14], v2, off
	v_cmp_ngt_f32_e32 vcc_lo, 0xc2ce8ed0, v17
	v_ldexp_f32 v5, v9, v3
	v_rndne_f32_e32 v9, v15
	s_wait_alu 0xfffe
	v_fmaak_f32 v2, s2, v6, 0x2f90de5c
	s_mov_b32 s2, 0xc78a46a6
	s_wait_alu 0xfffe
	v_dual_mov_b32 v3, v1 :: v_dual_fmaak_f32 v10, s2, v8, 0x40056070
	v_sub_f32_e32 v13, v15, v9
	v_fmaak_f32 v11, v6, v2, 0xb49720da
	v_cvt_i32_f32_e32 v9, v9
	s_mov_b32 s2, 0x29bdfc7d
	v_dual_fmamk_f32 v15, v7, 0x405f5928, v10 :: v_dual_add_nc_u32 v2, s0, v12
	s_delay_alu instid0(VALU_DEP_3) | instskip(NEXT) | instid1(VALU_DEP_2)
	v_dual_fmaak_f32 v10, v6, v11, 0x3929c878 :: v_dual_add_f32 v11, v13, v4
	v_lshlrev_b64_e32 v[3:4], 2, v[2:3]
	s_delay_alu instid0(VALU_DEP_2) | instskip(NEXT) | instid1(VALU_DEP_3)
	v_fmac_f32_e32 v15, v6, v10
	v_exp_f32_e32 v10, v11
	s_delay_alu instid0(TRANS32_DEP_1)
	v_ldexp_f32 v13, v10, v9
	s_wait_alu 0xfffe
	v_fmaak_f32 v9, s2, v6, 0xafb06bf8
	s_mov_b32 s2, 0xc733b40a
	v_mov_b32_e32 v10, v1
	s_wait_alu 0xfffe
	v_fmaak_f32 v16, s2, v8, 0x3fc8010b
	v_mul_f32_e32 v11, 0x3fb8aa3b, v15
	s_mov_b32 s2, 0x29dac769
	s_delay_alu instid0(VALU_DEP_2) | instskip(NEXT) | instid1(VALU_DEP_2)
	v_fmamk_f32 v16, v7, 0x4070cfba, v16
	v_fma_f32 v12, 0x3fb8aa3b, v15, -v11
	s_wait_alu 0xfffd
	v_cndmask_b32_e32 v5, 0, v5, vcc_lo
	v_cmp_nlt_f32_e32 vcc_lo, 0x42b17218, v17
	v_rndne_f32_e32 v14, v11
	v_fmaak_f32 v17, v6, v9, 0x34fa1552
	v_dual_fmac_f32 v12, 0x32a5705f, v15 :: v_dual_add_nc_u32 v9, s0, v2
	s_wait_alu 0xfffd
	v_cndmask_b32_e32 v5, 0x7f800000, v5, vcc_lo
	s_delay_alu instid0(VALU_DEP_3) | instskip(SKIP_3) | instid1(VALU_DEP_3)
	v_dual_sub_f32 v11, v11, v14 :: v_dual_fmaak_f32 v2, v6, v17, 0x39fdfbe9
	v_add_co_u32 v3, vcc_lo, s6, v3
	s_wait_alu 0xfffd
	v_add_co_ci_u32_e64 v4, null, s7, v4, vcc_lo
	v_add_f32_e32 v12, v11, v12
	v_fmac_f32_e32 v16, v6, v2
	v_cmp_ngt_f32_e32 vcc_lo, 0xc2ce8ed0, v20
	v_lshlrev_b64_e32 v[10:11], 2, v[9:10]
	global_store_b32 v[3:4], v5, off
	v_exp_f32_e32 v2, v12
	v_cvt_i32_f32_e32 v12, v14
	v_mul_f32_e32 v14, 0x3fb8aa3b, v16
	s_delay_alu instid0(VALU_DEP_1) | instskip(SKIP_4) | instid1(TRANS32_DEP_1)
	v_fma_f32 v18, 0x3fb8aa3b, v16, -v14
	s_wait_alu 0xfffd
	v_cndmask_b32_e32 v13, 0, v13, vcc_lo
	v_cmp_nlt_f32_e32 vcc_lo, 0x42b17218, v20
	v_rndne_f32_e32 v19, v14
	v_ldexp_f32 v2, v2, v12
	v_add_nc_u32_e32 v12, s0, v9
	v_fmac_f32_e32 v18, 0x32a5705f, v16
	s_wait_alu 0xfffd
	v_cndmask_b32_e32 v17, 0x7f800000, v13, vcc_lo
	s_wait_alu 0xfffe
	v_dual_mov_b32 v13, v1 :: v_dual_fmaak_f32 v20, s2, v6, 0xb01933c9
	s_mov_b32 s2, 0xc74540d1
	v_sub_f32_e32 v9, v14, v19
	v_cvt_i32_f32_e32 v3, v19
	v_add_co_u32 v10, vcc_lo, s6, v10
	s_delay_alu instid0(VALU_DEP_3)
	v_dual_fmaak_f32 v20, v6, v20, 0x35b82b12 :: v_dual_add_f32 v9, v9, v18
	s_wait_alu 0xfffd
	v_add_co_ci_u32_e64 v11, null, s7, v11, vcc_lo
	v_cmp_ngt_f32_e32 vcc_lo, 0xc2ce8ed0, v15
	s_wait_alu 0xfffe
	v_fmaak_f32 v18, s2, v8, 0xbf44e4fb
	v_exp_f32_e32 v9, v9
	s_mov_b32 s2, 0x2a0f34d9
	v_lshlrev_b64_e32 v[13:14], 2, v[12:13]
	s_wait_alu 0xfffd
	v_cndmask_b32_e32 v2, 0, v2, vcc_lo
	v_cmp_nlt_f32_e32 vcc_lo, 0x42b17218, v15
	global_store_b32 v[10:11], v17, off
	v_fmamk_f32 v15, v7, 0x40865af7, v18
	v_fmaak_f32 v18, v6, v20, 0xba9b1933
	s_wait_alu 0xfffd
	v_cndmask_b32_e32 v2, 0x7f800000, v2, vcc_lo
	v_ldexp_f32 v4, v9, v3
	s_wait_alu 0xfffe
	v_fmaak_f32 v3, s2, v6, 0xb01d64fe
	s_mov_b32 s2, 0xc68079ff
	v_add_co_u32 v13, vcc_lo, s6, v13
	s_wait_alu 0xfffe
	v_fmaak_f32 v9, s2, v8, 0x3fcd625d
	v_fmaak_f32 v10, v6, v3, 0x35802ecd
	s_wait_alu 0xfffd
	v_add_co_ci_u32_e64 v14, null, s7, v14, vcc_lo
	v_cmp_ngt_f32_e32 vcc_lo, 0xc2ce8ed0, v16
	v_fmamk_f32 v17, v7, 0x406b1c1b, v9
	v_fmaak_f32 v9, v6, v10, 0x3a83ca2c
	v_mov_b32_e32 v3, v1
	global_store_b32 v[13:14], v2, off
	s_wait_alu 0xfffd
	v_cndmask_b32_e32 v10, 0, v4, vcc_lo
	v_cmp_nlt_f32_e32 vcc_lo, 0x42b17218, v16
	v_dual_fmac_f32 v17, v6, v9 :: v_dual_add_nc_u32 v2, s0, v12
	s_mov_b32 s2, 0x2b6a99d4
	s_wait_alu 0xfffd
	v_cndmask_b32_e32 v16, 0x7f800000, v10, vcc_lo
	s_delay_alu instid0(VALU_DEP_2) | instskip(SKIP_1) | instid1(VALU_DEP_2)
	v_mul_f32_e32 v9, 0x3fb8aa3b, v17
	v_lshlrev_b64_e32 v[3:4], 2, v[2:3]
	v_fma_f32 v10, 0x3fb8aa3b, v17, -v9
	v_fmac_f32_e32 v15, v6, v18
	v_rndne_f32_e32 v13, v9
	s_delay_alu instid0(VALU_DEP_4) | instskip(NEXT) | instid1(VALU_DEP_4)
	v_add_co_u32 v3, vcc_lo, s6, v3
	v_fmac_f32_e32 v10, 0x32a5705f, v17
	s_delay_alu instid0(VALU_DEP_3) | instskip(SKIP_3) | instid1(VALU_DEP_3)
	v_dual_mul_f32 v5, 0x3fb8aa3b, v15 :: v_dual_sub_f32 v14, v9, v13
	s_wait_alu 0xfffd
	v_add_co_ci_u32_e64 v4, null, s7, v4, vcc_lo
	v_add_nc_u32_e32 v9, s0, v2
	v_fma_f32 v11, 0x3fb8aa3b, v15, -v5
	v_rndne_f32_e32 v12, v5
	v_add_f32_e32 v2, v14, v10
	v_cmp_ngt_f32_e32 vcc_lo, 0xc2ce8ed0, v15
	s_delay_alu instid0(VALU_DEP_4) | instskip(NEXT) | instid1(VALU_DEP_4)
	v_dual_mov_b32 v10, v1 :: v_dual_fmac_f32 v11, 0x32a5705f, v15
	v_sub_f32_e32 v5, v5, v12
	s_delay_alu instid0(VALU_DEP_4)
	v_exp_f32_e32 v2, v2
	global_store_b32 v[3:4], v16, off
	v_add_f32_e32 v5, v5, v11
	v_cvt_i32_f32_e32 v11, v12
	s_wait_alu 0xfffe
	v_fmaak_f32 v12, s2, v6, 0xb18acc0a
	s_mov_b32 s2, 0x46201a97
	v_exp_f32_e32 v5, v5
	s_wait_alu 0xfffe
	v_fmaak_f32 v18, s2, v8, 0xc094858f
	v_fmaak_f32 v12, v6, v12, 0x37098475
	s_mov_b32 s2, 0xa94ba886
	s_wait_alu 0xfffe
	v_fmaak_f32 v19, s2, v6, 0x2ea635e9
	s_mov_b32 s2, 0x46602058
	s_wait_alu 0xfffe
	v_fmaak_f32 v20, s2, v8, 0x406089c7
	s_mov_b32 s2, 0xa8016edc
	v_ldexp_f32 v5, v5, v11
	v_fmamk_f32 v18, v7, 0x40a4cbc9, v18
	v_fmaak_f32 v11, v6, v12, 0xbbdffc3e
	v_cvt_i32_f32_e32 v12, v13
	v_mov_b32_e32 v13, v1
	s_wait_alu 0xfffd
	v_cndmask_b32_e32 v5, 0, v5, vcc_lo
	v_cmp_nlt_f32_e32 vcc_lo, 0x42b17218, v15
	v_fmac_f32_e32 v18, v6, v11
	v_lshlrev_b64_e32 v[10:11], 2, v[9:10]
	v_ldexp_f32 v2, v2, v12
	v_add_nc_u32_e32 v12, s0, v9
	s_wait_alu 0xfffd
	v_cndmask_b32_e32 v5, 0x7f800000, v5, vcc_lo
	v_mul_f32_e32 v14, 0x3fb8aa3b, v18
	v_fmaak_f32 v19, v6, v19, 0x3435f74d
	v_add_co_u32 v10, vcc_lo, s6, v10
	s_wait_alu 0xfffd
	v_add_co_ci_u32_e64 v11, null, s7, v11, vcc_lo
	v_fma_f32 v9, 0x3fb8aa3b, v18, -v14
	v_rndne_f32_e32 v15, v14
	v_cmp_ngt_f32_e32 vcc_lo, 0xc2ce8ed0, v17
	v_fmamk_f32 v20, v7, 0x40651714, v20
	v_fmaak_f32 v19, v6, v19, 0xb9a00024
	s_delay_alu instid0(VALU_DEP_4)
	v_dual_fmac_f32 v9, 0x32a5705f, v18 :: v_dual_sub_f32 v14, v14, v15
	s_wait_alu 0xfffd
	v_cndmask_b32_e32 v2, 0, v2, vcc_lo
	v_cmp_nlt_f32_e32 vcc_lo, 0x42b17218, v17
	v_cvt_i32_f32_e32 v3, v15
	v_add_f32_e32 v9, v14, v9
	v_lshlrev_b64_e32 v[13:14], 2, v[12:13]
	s_wait_alu 0xfffd
	v_cndmask_b32_e32 v2, 0x7f800000, v2, vcc_lo
	s_delay_alu instid0(VALU_DEP_3) | instskip(NEXT) | instid1(VALU_DEP_2)
	v_exp_f32_e32 v9, v9
	v_add_co_u32 v13, vcc_lo, s6, v13
	s_wait_alu 0xfffd
	v_add_co_ci_u32_e64 v14, null, s7, v14, vcc_lo
	s_clause 0x1
	global_store_b32 v[10:11], v5, off
	global_store_b32 v[13:14], v2, off
	s_wait_alu 0xfffe
	v_fmaak_f32 v2, s2, v6, 0x2f615360
	v_ldexp_f32 v5, v9, v3
	v_dual_mov_b32 v3, v1 :: v_dual_fmac_f32 v20, v6, v19
	s_mov_b32 s2, 0x473cf3f8
	s_delay_alu instid0(VALU_DEP_3)
	v_fmaak_f32 v11, v6, v2, 0xb59f59f5
	s_wait_alu 0xfffe
	v_fmaak_f32 v10, s2, v8, 0x411e6ab6
	v_cmp_ngt_f32_e32 vcc_lo, 0xc2ce8ed0, v18
	v_mul_f32_e32 v17, 0x3fb8aa3b, v20
	s_mov_b32 s2, 0x2a7430af
	s_delay_alu instid0(VALU_DEP_3)
	v_dual_fmamk_f32 v15, v7, 0x4016d561, v10 :: v_dual_add_nc_u32 v2, s0, v12
	s_wait_alu 0xfffd
	v_dual_fmaak_f32 v10, v6, v11, 0x3b933421 :: v_dual_cndmask_b32 v5, 0, v5
	v_fma_f32 v4, 0x3fb8aa3b, v20, -v17
	v_rndne_f32_e32 v9, v17
	v_cmp_nlt_f32_e32 vcc_lo, 0x42b17218, v18
	s_delay_alu instid0(VALU_DEP_3) | instskip(NEXT) | instid1(VALU_DEP_3)
	v_dual_fmac_f32 v15, v6, v10 :: v_dual_fmac_f32 v4, 0x32a5705f, v20
	v_sub_f32_e32 v13, v17, v9
	v_cvt_i32_f32_e32 v9, v9
	s_wait_alu 0xfffd
	v_cndmask_b32_e32 v5, 0x7f800000, v5, vcc_lo
	s_delay_alu instid0(VALU_DEP_3) | instskip(SKIP_1) | instid1(VALU_DEP_2)
	v_add_f32_e32 v11, v13, v4
	v_lshlrev_b64_e32 v[3:4], 2, v[2:3]
	v_exp_f32_e32 v10, v11
	s_delay_alu instid0(VALU_DEP_1) | instskip(SKIP_1) | instid1(VALU_DEP_2)
	v_add_co_u32 v3, vcc_lo, s6, v3
	s_wait_alu 0xfffd
	v_add_co_ci_u32_e64 v4, null, s7, v4, vcc_lo
	v_cmp_ngt_f32_e32 vcc_lo, 0xc2ce8ed0, v20
	global_store_b32 v[3:4], v5, off
	v_ldexp_f32 v13, v10, v9
	s_wait_alu 0xfffe
	v_fmaak_f32 v9, s2, v6, 0xb0987e43
	s_mov_b32 s2, 0xc56ff90a
	v_mov_b32_e32 v10, v1
	s_wait_alu 0xfffe
	v_fmaak_f32 v16, s2, v8, 0x40593d66
	v_mul_f32_e32 v11, 0x3fb8aa3b, v15
	v_fmaak_f32 v17, v6, v9, 0x361a2046
	v_add_nc_u32_e32 v9, s0, v2
	s_mov_b32 s2, 0x2b39741a
	v_fmamk_f32 v16, v7, 0x408713f4, v16
	v_fma_f32 v12, 0x3fb8aa3b, v15, -v11
	v_rndne_f32_e32 v14, v11
	v_fmaak_f32 v2, v6, v17, 0xbad49809
	s_delay_alu instid0(VALU_DEP_2) | instskip(NEXT) | instid1(VALU_DEP_2)
	v_dual_fmac_f32 v12, 0x32a5705f, v15 :: v_dual_sub_f32 v11, v11, v14
	v_fmac_f32_e32 v16, v6, v2
	s_delay_alu instid0(VALU_DEP_2) | instskip(SKIP_1) | instid1(VALU_DEP_2)
	v_add_f32_e32 v12, v11, v12
	v_lshlrev_b64_e32 v[10:11], 2, v[9:10]
	v_exp_f32_e32 v2, v12
	v_cvt_i32_f32_e32 v12, v14
	v_mul_f32_e32 v14, 0x3fb8aa3b, v16
	s_delay_alu instid0(VALU_DEP_1) | instskip(SKIP_3) | instid1(TRANS32_DEP_1)
	v_fma_f32 v18, 0x3fb8aa3b, v16, -v14
	v_rndne_f32_e32 v19, v14
	s_wait_alu 0xfffd
	v_cndmask_b32_e32 v13, 0, v13, vcc_lo
	v_ldexp_f32 v2, v2, v12
	v_add_nc_u32_e32 v12, s0, v9
	v_dual_fmac_f32 v18, 0x32a5705f, v16 :: v_dual_sub_f32 v9, v14, v19
	v_cmp_nlt_f32_e32 vcc_lo, 0x42b17218, v20
	s_wait_alu 0xfffe
	v_fmaak_f32 v20, s2, v6, 0xb15933cf
	v_cvt_i32_f32_e32 v3, v19
	s_mov_b32 s2, 0x465f93d4
	v_add_f32_e32 v9, v9, v18
	s_wait_alu 0xfffd
	v_cndmask_b32_e32 v17, 0x7f800000, v13, vcc_lo
	v_add_co_u32 v10, vcc_lo, s6, v10
	s_wait_alu 0xfffe
	v_fmaak_f32 v18, s2, v8, 0x3f1a51f2
	v_exp_f32_e32 v9, v9
	s_mov_b32 s2, 0x29e9b163
	s_wait_alu 0xfffd
	v_add_co_ci_u32_e64 v11, null, s7, v11, vcc_lo
	v_cmp_ngt_f32_e32 vcc_lo, 0xc2ce8ed0, v15
	v_dual_fmaak_f32 v20, v6, v20, 0x36d0b842 :: v_dual_mov_b32 v13, v1
	global_store_b32 v[10:11], v17, off
	s_wait_alu 0xfffd
	v_cndmask_b32_e32 v2, 0, v2, vcc_lo
	v_ldexp_f32 v4, v9, v3
	s_wait_alu 0xfffe
	v_fmaak_f32 v3, s2, v6, 0xb028feea
	s_mov_b32 s2, 0xc474a678
	v_cmp_nlt_f32_e32 vcc_lo, 0x42b17218, v15
	s_wait_alu 0xfffe
	v_fmaak_f32 v9, s2, v8, 0x41526f51
	v_lshlrev_b64_e32 v[13:14], 2, v[12:13]
	v_dual_fmaak_f32 v10, v6, v3, 0x356ed6d5 :: v_dual_mov_b32 v3, v1
	v_fmamk_f32 v15, v7, 0x4099662e, v18
	v_fmaak_f32 v18, v6, v20, 0xbba25690
	v_fmamk_f32 v17, v7, 0x4006cc0c, v9
	s_delay_alu instid0(VALU_DEP_4) | instskip(SKIP_1) | instid1(VALU_DEP_1)
	v_fmaak_f32 v9, v6, v10, 0x3b6c7930
	s_mov_b32 s2, 0xaaef4637
	v_fmac_f32_e32 v17, v6, v9
	v_fmac_f32_e32 v15, v6, v18
	s_delay_alu instid0(VALU_DEP_1)
	v_mul_f32_e32 v5, 0x3fb8aa3b, v15
	s_wait_alu 0xfffd
	v_cndmask_b32_e32 v2, 0x7f800000, v2, vcc_lo
	v_add_co_u32 v13, vcc_lo, s6, v13
	s_wait_alu 0xfffd
	v_add_co_ci_u32_e64 v14, null, s7, v14, vcc_lo
	v_cmp_ngt_f32_e32 vcc_lo, 0xc2ce8ed0, v16
	global_store_b32 v[13:14], v2, off
	v_add_nc_u32_e32 v2, s0, v12
	s_wait_alu 0xfffd
	v_cndmask_b32_e32 v10, 0, v4, vcc_lo
	v_cmp_nlt_f32_e32 vcc_lo, 0x42b17218, v16
	v_rndne_f32_e32 v12, v5
	v_lshlrev_b64_e32 v[3:4], 2, v[2:3]
	s_wait_alu 0xfffd
	v_cndmask_b32_e32 v16, 0x7f800000, v10, vcc_lo
	v_mul_f32_e32 v9, 0x3fb8aa3b, v17
	s_delay_alu instid0(VALU_DEP_3) | instskip(NEXT) | instid1(VALU_DEP_2)
	v_add_co_u32 v3, vcc_lo, s6, v3
	v_fma_f32 v10, 0x3fb8aa3b, v17, -v9
	v_rndne_f32_e32 v13, v9
	s_wait_alu 0xfffd
	v_add_co_ci_u32_e64 v4, null, s7, v4, vcc_lo
	s_delay_alu instid0(VALU_DEP_3) | instskip(SKIP_4) | instid1(VALU_DEP_4)
	v_fmac_f32_e32 v10, 0x32a5705f, v17
	v_fma_f32 v11, 0x3fb8aa3b, v15, -v5
	v_sub_f32_e32 v5, v5, v12
	v_dual_sub_f32 v14, v9, v13 :: v_dual_add_nc_u32 v9, s0, v2
	v_cmp_ngt_f32_e32 vcc_lo, 0xc2ce8ed0, v15
	v_fmac_f32_e32 v11, 0x32a5705f, v15
	global_store_b32 v[3:4], v16, off
	v_add_f32_e32 v2, v14, v10
	v_mov_b32_e32 v10, v1
	v_add_f32_e32 v5, v5, v11
	v_cvt_i32_f32_e32 v11, v12
	s_wait_alu 0xfffe
	v_fmaak_f32 v12, s2, v6, 0x31206ec8
	s_mov_b32 s2, 0xc6ce79f6
	v_exp_f32_e32 v2, v2
	v_exp_f32_e32 v5, v5
	s_wait_alu 0xfffe
	v_fmaak_f32 v18, s2, v8, 0x415f0908
	v_fmaak_f32 v12, v6, v12, 0xb6c6a061
	s_mov_b32 s2, 0x295d1a6b
	s_wait_alu 0xfffe
	v_fmaak_f32 v19, s2, v6, 0xaeddd0e9
	v_fmamk_f32 v18, v7, 0x3f4f05b9, v18
	s_mov_b32 s2, 0xc73dedcb
	s_wait_alu 0xfffe
	v_fmaak_f32 v20, s2, v8, 0x40bd73d8
	v_ldexp_f32 v5, v5, v11
	v_fmaak_f32 v11, v6, v12, 0x3c3f60c0
	v_cvt_i32_f32_e32 v12, v13
	v_mov_b32_e32 v13, v1
	v_fmaak_f32 v19, v6, v19, 0xb4d573ff
	s_wait_alu 0xfffd
	v_dual_cndmask_b32 v5, 0, v5 :: v_dual_fmac_f32 v18, v6, v11
	v_lshlrev_b64_e32 v[10:11], 2, v[9:10]
	v_cmp_nlt_f32_e32 vcc_lo, 0x42b17218, v15
	v_ldexp_f32 v2, v2, v12
	v_add_nc_u32_e32 v12, s0, v9
	v_mul_f32_e32 v14, 0x3fb8aa3b, v18
	v_fmamk_f32 v20, v7, 0x405204e3, v20
	s_wait_alu 0xfffd
	v_cndmask_b32_e32 v5, 0x7f800000, v5, vcc_lo
	v_add_co_u32 v10, vcc_lo, s6, v10
	v_fma_f32 v9, 0x3fb8aa3b, v18, -v14
	v_rndne_f32_e32 v15, v14
	s_wait_alu 0xfffd
	v_add_co_ci_u32_e64 v11, null, s7, v11, vcc_lo
	v_cmp_ngt_f32_e32 vcc_lo, 0xc2ce8ed0, v17
	s_delay_alu instid0(VALU_DEP_3)
	v_dual_fmac_f32 v9, 0x32a5705f, v18 :: v_dual_sub_f32 v14, v14, v15
	v_fmaak_f32 v19, v6, v19, 0x3b649af3
	s_mov_b32 s2, 0x2b4f18b0
	s_wait_alu 0xfffd
	v_cndmask_b32_e32 v2, 0, v2, vcc_lo
	v_cmp_nlt_f32_e32 vcc_lo, 0x42b17218, v17
	v_add_f32_e32 v9, v14, v9
	v_lshlrev_b64_e32 v[13:14], 2, v[12:13]
	v_fmac_f32_e32 v20, v6, v19
	v_cvt_i32_f32_e32 v3, v15
	s_wait_alu 0xfffd
	v_cndmask_b32_e32 v2, 0x7f800000, v2, vcc_lo
	v_exp_f32_e32 v9, v9
	v_add_co_u32 v13, vcc_lo, s6, v13
	s_wait_alu 0xfffd
	v_add_co_ci_u32_e64 v14, null, s7, v14, vcc_lo
	v_mul_f32_e32 v17, 0x3fb8aa3b, v20
	s_clause 0x1
	global_store_b32 v[10:11], v5, off
	global_store_b32 v[13:14], v2, off
	s_wait_alu 0xfffe
	v_fmaak_f32 v2, s2, v6, 0xb14cd132
	s_mov_b32 s2, 0xc7082bd9
	v_fma_f32 v4, 0x3fb8aa3b, v20, -v17
	v_ldexp_f32 v5, v9, v3
	v_rndne_f32_e32 v9, v17
	s_wait_alu 0xfffe
	v_fmaak_f32 v10, s2, v8, 0x41082b2c
	v_fmaak_f32 v11, v6, v2, 0x3690f5dd
	v_fmac_f32_e32 v4, 0x32a5705f, v20
	v_dual_sub_f32 v13, v17, v9 :: v_dual_add_nc_u32 v2, s0, v12
	v_cmp_ngt_f32_e32 vcc_lo, 0xc2ce8ed0, v18
	v_fmamk_f32 v12, v7, 0x404d990d, v10
	v_dual_fmaak_f32 v10, v6, v11, 0x3a468bf9 :: v_dual_mov_b32 v3, v1
	s_delay_alu instid0(VALU_DEP_4)
	v_add_f32_e32 v11, v13, v4
	s_wait_alu 0xfffd
	v_cndmask_b32_e32 v5, 0, v5, vcc_lo
	v_cvt_i32_f32_e32 v9, v9
	v_fmac_f32_e32 v12, v6, v10
	v_lshlrev_b64_e32 v[3:4], 2, v[2:3]
	v_exp_f32_e32 v10, v11
	v_cmp_nlt_f32_e32 vcc_lo, 0x42b17218, v18
	s_mov_b32 s2, 0x2bbdea0c
	v_mul_f32_e32 v11, 0x3fb8aa3b, v12
	s_wait_alu 0xfffe
	v_fmaak_f32 v16, s2, v6, 0xb1c605fe
	s_mov_b32 s2, 0xc59f0e35
	s_wait_alu 0xfffd
	v_cndmask_b32_e32 v5, 0x7f800000, v5, vcc_lo
	v_add_co_u32 v3, vcc_lo, s6, v3
	v_fma_f32 v13, 0x3fb8aa3b, v12, -v11
	v_rndne_f32_e32 v14, v11
	v_ldexp_f32 v15, v10, v9
	v_dual_mov_b32 v10, v1 :: v_dual_add_nc_u32 v9, s0, v2
	s_delay_alu instid0(VALU_DEP_3)
	v_dual_fmac_f32 v13, 0x32a5705f, v12 :: v_dual_sub_f32 v2, v11, v14
	s_wait_alu 0xfffd
	v_add_co_ci_u32_e64 v4, null, s7, v4, vcc_lo
	v_cmp_ngt_f32_e32 vcc_lo, 0xc2ce8ed0, v20
	v_lshlrev_b64_e32 v[10:11], 2, v[9:10]
	s_wait_alu 0xfffe
	v_dual_add_f32 v2, v2, v13 :: v_dual_fmaak_f32 v13, s2, v8, 0x40831d56
	s_mov_b32 s2, 0x2ba234d0
	s_wait_alu 0xfffd
	v_dual_cndmask_b32 v15, 0, v15 :: v_dual_fmaak_f32 v16, v6, v16, 0x371fa914
	s_delay_alu instid0(VALU_DEP_2)
	v_exp_f32_e32 v2, v2
	v_cmp_nlt_f32_e32 vcc_lo, 0x42b17218, v20
	global_store_b32 v[3:4], v5, off
	v_cvt_i32_f32_e32 v3, v14
	s_wait_alu 0xfffe
	v_fmaak_f32 v4, s2, v6, 0xb1ab8c72
	s_mov_b32 s2, 0xc648a682
	s_wait_alu 0xfffd
	v_cndmask_b32_e32 v15, 0x7f800000, v15, vcc_lo
	v_add_co_u32 v10, vcc_lo, s6, v10
	s_wait_alu 0xfffd
	v_add_co_ci_u32_e64 v11, null, s7, v11, vcc_lo
	v_ldexp_f32 v2, v2, v3
	s_wait_alu 0xfffe
	v_fmaak_f32 v3, s2, v8, 0x4096a175
	v_fmaak_f32 v4, v6, v4, 0x370b02de
	v_cmp_ngt_f32_e32 vcc_lo, 0xc2ce8ed0, v12
	global_store_b32 v[10:11], v15, off
	v_fmamk_f32 v13, v7, 0x407d638f, v13
	v_fmamk_f32 v15, v7, 0x4089ce91, v3
	v_fmaak_f32 v4, v6, v4, 0xbb092fa7
	s_wait_alu 0xfffd
	v_cndmask_b32_e32 v10, 0, v2, vcc_lo
	v_dual_mov_b32 v3, v1 :: v_dual_add_nc_u32 v2, s0, v9
	v_cmp_nlt_f32_e32 vcc_lo, 0x42b17218, v12
	v_fmac_f32_e32 v15, v6, v4
	v_fmaak_f32 v16, v6, v16, 0xbb781225
	s_mov_b32 s2, 0x2bbd1220
	v_lshlrev_b64_e32 v[3:4], 2, v[2:3]
	s_wait_alu 0xfffd
	v_cndmask_b32_e32 v9, 0x7f800000, v10, vcc_lo
	v_mul_f32_e32 v10, 0x3fb8aa3b, v15
	v_fmaak_f32 v12, s3, v8, 0x402aad3b
	v_add_nc_u32_e32 v2, s0, v2
	v_add_co_u32 v3, vcc_lo, s6, v3
	s_wait_alu 0xfffd
	v_add_co_ci_u32_e64 v4, null, s7, v4, vcc_lo
	v_rndne_f32_e32 v17, v10
	global_store_b32 v[3:4], v9, off
	v_mov_b32_e32 v3, v1
	v_fmac_f32_e32 v13, v6, v16
	v_fma_f32 v16, 0x3fb8aa3b, v15, -v10
	v_sub_f32_e32 v4, v10, v17
	s_delay_alu instid0(VALU_DEP_3) | instskip(NEXT) | instid1(VALU_DEP_3)
	v_mul_f32_e32 v5, 0x3fb8aa3b, v13
	v_fmac_f32_e32 v16, 0x32a5705f, v15
	v_fmamk_f32 v18, v7, 0x4089535a, v12
	v_cmp_ngt_f32_e32 vcc_lo, 0xc2ce8ed0, v13
	s_delay_alu instid0(VALU_DEP_4) | instskip(SKIP_3) | instid1(VALU_DEP_4)
	v_fma_f32 v11, 0x3fb8aa3b, v13, -v5
	v_rndne_f32_e32 v14, v5
	v_add_f32_e32 v9, v4, v16
	v_lshlrev_b64_e32 v[3:4], 2, v[2:3]
	v_fmac_f32_e32 v11, 0x32a5705f, v13
	s_delay_alu instid0(VALU_DEP_4) | instskip(SKIP_2) | instid1(VALU_DEP_2)
	v_sub_f32_e32 v5, v5, v14
	v_cvt_i32_f32_e32 v12, v14
	v_exp_f32_e32 v9, v9
	v_add_f32_e32 v5, v5, v11
	s_wait_alu 0xfffe
	v_fmaak_f32 v11, s2, v6, 0xb1cadb21
	s_mov_b32 s2, 0xaa8e9bd8
	s_delay_alu instid0(VALU_DEP_2) | instskip(NEXT) | instid1(VALU_DEP_1)
	v_exp_f32_e32 v5, v5
	v_fmaak_f32 v11, v6, v11, 0x37279d77
	s_delay_alu instid0(VALU_DEP_1) | instskip(NEXT) | instid1(TRANS32_DEP_1)
	v_fmaak_f32 v11, v6, v11, 0xbb344649
	v_ldexp_f32 v5, v5, v12
	s_wait_alu 0xfffd
	s_delay_alu instid0(VALU_DEP_1) | instskip(NEXT) | instid1(VALU_DEP_1)
	v_dual_fmac_f32 v18, v6, v11 :: v_dual_cndmask_b32 v5, 0, v5
	v_mul_f32_e32 v10, 0x3fb8aa3b, v18
	v_cmp_nlt_f32_e32 vcc_lo, 0x42b17218, v13
	v_cvt_i32_f32_e32 v13, v17
	s_delay_alu instid0(VALU_DEP_3) | instskip(SKIP_4) | instid1(VALU_DEP_3)
	v_fma_f32 v11, 0x3fb8aa3b, v18, -v10
	v_rndne_f32_e32 v12, v10
	s_wait_alu 0xfffd
	v_cndmask_b32_e32 v5, 0x7f800000, v5, vcc_lo
	v_add_co_u32 v3, vcc_lo, s6, v3
	v_dual_fmac_f32 v11, 0x32a5705f, v18 :: v_dual_sub_f32 v14, v10, v12
	s_wait_alu 0xfffd
	v_add_co_ci_u32_e64 v4, null, s7, v4, vcc_lo
	v_ldexp_f32 v13, v9, v13
	s_delay_alu instid0(VALU_DEP_3)
	v_dual_add_f32 v2, v14, v11 :: v_dual_add_nc_u32 v9, s0, v2
	v_cmp_ngt_f32_e32 vcc_lo, 0xc2ce8ed0, v15
	s_wait_alu 0xfffe
	v_fmaak_f32 v14, s2, v6, 0x30c5dd10
	s_mov_b32 s2, 0xc69cb6e6
	v_mov_b32_e32 v10, v1
	s_wait_alu 0xfffe
	v_fmaak_f32 v16, s2, v8, 0x4147d8bf
	s_wait_alu 0xfffd
	v_dual_cndmask_b32 v13, 0, v13 :: v_dual_fmaak_f32 v14, v6, v14, 0xb684b3e7
	v_cmp_nlt_f32_e32 vcc_lo, 0x42b17218, v15
	s_mov_b32 s2, 0xa9e2d234
	v_exp_f32_e32 v2, v2
	v_fmamk_f32 v16, v7, 0x40101c34, v16
	v_lshlrev_b64_e32 v[10:11], 2, v[9:10]
	s_wait_alu 0xfffd
	v_cndmask_b32_e32 v15, 0x7f800000, v13, vcc_lo
	v_fmaak_f32 v13, v6, v14, 0x3c10a143
	s_wait_alu 0xfffe
	v_fmaak_f32 v14, s2, v6, 0x305609a7
	s_mov_b32 s2, 0x45dc1758
	v_cvt_i32_f32_e32 v12, v12
	s_wait_alu 0xfffe
	v_dual_fmaak_f32 v17, s2, v8, 0x4143734b :: v_dual_fmac_f32 v16, v6, v13
	v_fmaak_f32 v19, v6, v14, 0xb6428e95
	v_add_co_u32 v10, vcc_lo, s6, v10
	s_delay_alu instid0(VALU_DEP_3)
	v_fmamk_f32 v17, v7, 0x4008b18b, v17
	s_wait_alu 0xfffd
	v_add_co_ci_u32_e64 v11, null, s7, v11, vcc_lo
	v_fmaak_f32 v19, v6, v19, 0x3c146e07
	v_ldexp_f32 v2, v2, v12
	v_add_nc_u32_e32 v12, s0, v9
	v_cmp_ngt_f32_e32 vcc_lo, 0xc2ce8ed0, v18
	v_mov_b32_e32 v13, v1
	v_fmac_f32_e32 v17, v6, v19
	v_mul_f32_e32 v9, 0x3fb8aa3b, v16
	s_mov_b32 s2, 0x2a216b60
	s_wait_alu 0xfffd
	v_cndmask_b32_e32 v2, 0, v2, vcc_lo
	v_cmp_nlt_f32_e32 vcc_lo, 0x42b17218, v18
	v_mul_f32_e32 v18, 0x3fb8aa3b, v17
	v_fma_f32 v20, 0x3fb8aa3b, v16, -v9
	v_rndne_f32_e32 v21, v9
	v_lshlrev_b64_e32 v[13:14], 2, v[12:13]
	s_wait_alu 0xfffd
	v_cndmask_b32_e32 v2, 0x7f800000, v2, vcc_lo
	s_delay_alu instid0(VALU_DEP_3) | instskip(NEXT) | instid1(VALU_DEP_3)
	v_dual_fmac_f32 v20, 0x32a5705f, v16 :: v_dual_sub_f32 v9, v9, v21
	v_add_co_u32 v13, vcc_lo, s6, v13
	s_wait_alu 0xfffd
	v_add_co_ci_u32_e64 v14, null, s7, v14, vcc_lo
	s_delay_alu instid0(VALU_DEP_3)
	v_add_f32_e32 v9, v9, v20
	s_clause 0x2
	global_store_b32 v[3:4], v5, off
	global_store_b32 v[10:11], v15, off
	;; [unrolled: 1-line block ×3, first 2 shown]
	v_fma_f32 v3, 0x3fb8aa3b, v17, -v18
	v_rndne_f32_e32 v5, v18
	v_cvt_i32_f32_e32 v4, v21
	v_exp_f32_e32 v2, v9
	s_wait_alu 0xfffe
	v_fmaak_f32 v9, s2, v6, 0x3023fa60
	s_mov_b32 s2, 0xc4be2f40
	s_wait_alu 0xfffe
	v_dual_sub_f32 v10, v18, v5 :: v_dual_fmaak_f32 v11, s2, v8, 0x411924ac
	v_cmp_ngt_f32_e32 vcc_lo, 0xc2ce8ed0, v16
	v_fmaak_f32 v9, v6, v9, 0x34a93f75
	v_cvt_i32_f32_e32 v5, v5
	s_mov_b32 s2, 0x2b9a5394
	v_fmamk_f32 v11, v7, 0x405a2e14, v11
	v_ldexp_f32 v4, v2, v4
	v_dual_fmaak_f32 v9, v6, v9, 0x3baff0d8 :: v_dual_add_nc_u32 v2, s0, v12
	s_wait_alu 0xfffd
	s_delay_alu instid0(VALU_DEP_1) | instskip(SKIP_1) | instid1(VALU_DEP_3)
	v_dual_cndmask_b32 v12, 0, v4 :: v_dual_fmac_f32 v11, v6, v9
	v_cmp_nlt_f32_e32 vcc_lo, 0x42b17218, v16
	v_add_nc_u32_e32 v9, s0, v2
	s_delay_alu instid0(VALU_DEP_3) | instskip(NEXT) | instid1(VALU_DEP_1)
	v_mul_f32_e32 v13, 0x3fb8aa3b, v11
	v_fma_f32 v14, 0x3fb8aa3b, v11, -v13
	v_fmac_f32_e32 v3, 0x32a5705f, v17
	v_rndne_f32_e32 v15, v13
	s_delay_alu instid0(VALU_DEP_3) | instskip(NEXT) | instid1(VALU_DEP_3)
	v_fmac_f32_e32 v14, 0x32a5705f, v11
	v_dual_add_f32 v10, v10, v3 :: v_dual_mov_b32 v3, v1
	s_wait_alu 0xfffd
	s_delay_alu instid0(VALU_DEP_3) | instskip(NEXT) | instid1(VALU_DEP_2)
	v_dual_sub_f32 v13, v13, v15 :: v_dual_cndmask_b32 v12, 0x7f800000, v12
	v_exp_f32_e32 v10, v10
	s_delay_alu instid0(VALU_DEP_2) | instskip(NEXT) | instid1(VALU_DEP_1)
	v_lshlrev_b64_e32 v[3:4], 2, v[2:3]
	v_add_co_u32 v3, vcc_lo, s6, v3
	s_wait_alu 0xfffd
	s_delay_alu instid0(VALU_DEP_2) | instskip(NEXT) | instid1(TRANS32_DEP_1)
	v_add_co_ci_u32_e64 v4, null, s7, v4, vcc_lo
	v_ldexp_f32 v5, v10, v5
	v_mov_b32_e32 v10, v1
	v_cmp_ngt_f32_e32 vcc_lo, 0xc2ce8ed0, v17
	global_store_b32 v[3:4], v12, off
	v_lshlrev_b64_e32 v[2:3], 2, v[9:10]
	s_wait_alu 0xfffe
	v_fmaak_f32 v10, s2, v6, 0xb1a4859b
	s_wait_alu 0xfffd
	v_cndmask_b32_e32 v5, 0, v5, vcc_lo
	v_cmp_nlt_f32_e32 vcc_lo, 0x42b17218, v17
	s_mov_b32 s2, 0x46a889c2
	s_wait_alu 0xfffe
	v_fmaak_f32 v12, s2, v8, 0x40834be8
	s_mov_b32 s2, 0x2b5f054a
	s_wait_alu 0xfffd
	v_dual_cndmask_b32 v4, 0x7f800000, v5 :: v_dual_add_f32 v5, v13, v14
	v_add_co_u32 v2, vcc_lo, s6, v2
	s_wait_alu 0xfffd
	v_add_co_ci_u32_e64 v3, null, s7, v3, vcc_lo
	s_delay_alu instid0(VALU_DEP_3)
	v_exp_f32_e32 v5, v5
	v_fmamk_f32 v12, v7, 0x409757bb, v12
	v_cmp_ngt_f32_e32 vcc_lo, 0xc2ce8ed0, v11
	global_store_b32 v[2:3], v4, off
	v_fmaak_f32 v2, v6, v10, 0x3704ead2
	v_cvt_i32_f32_e32 v3, v15
	s_wait_alu 0xfffe
	v_fmaak_f32 v4, s2, v6, 0xb13f03c3
	s_mov_b32 s2, 0xc6965b42
	v_fmaak_f32 v2, v6, v2, 0xbad14672
	v_ldexp_f32 v3, v5, v3
	s_wait_alu 0xfffe
	v_fmaak_f32 v5, s2, v8, 0x418962be
	v_fmaak_f32 v4, v6, v4, 0x360bc6fa
	s_mov_b32 s2, 0x2ac97be1
	v_fmac_f32_e32 v12, v6, v2
	s_wait_alu 0xfffd
	v_dual_cndmask_b32 v2, 0, v3 :: v_dual_fmamk_f32 v5, v7, 0x3fae7ccc, v5
	v_fmaak_f32 v3, v6, v4, 0x3c225098
	v_cmp_nlt_f32_e32 vcc_lo, 0x42b17218, v11
	s_delay_alu instid0(VALU_DEP_2) | instskip(SKIP_3) | instid1(VALU_DEP_2)
	v_dual_mul_f32 v4, 0x3fb8aa3b, v12 :: v_dual_fmac_f32 v5, v6, v3
	s_wait_alu 0xfffe
	v_fmaak_f32 v3, s2, v6, 0xb0bf2504
	s_mov_b32 s2, 0xc4865a6f
	v_rndne_f32_e32 v10, v4
	s_wait_alu 0xfffe
	v_fmaak_f32 v13, s2, v8, 0x418129a8
	v_mul_f32_e32 v11, 0x3fb8aa3b, v5
	v_fmaak_f32 v3, v6, v3, 0x3548bc5b
	s_mov_b32 s2, 0xc6212162
	s_delay_alu instid0(VALU_DEP_3) | instskip(NEXT) | instid1(VALU_DEP_3)
	v_fmamk_f32 v17, v7, 0x3fbf24af, v13
	v_fma_f32 v14, 0x3fb8aa3b, v5, -v11
	s_delay_alu instid0(VALU_DEP_3)
	v_fmaak_f32 v13, v6, v3, 0x3c2b6b48
	s_wait_alu 0xfffd
	v_cndmask_b32_e32 v16, 0x7f800000, v2, vcc_lo
	v_rndne_f32_e32 v15, v11
	v_add_nc_u32_e32 v2, s0, v9
	v_fma_f32 v9, 0x3fb8aa3b, v12, -v4
	v_fmac_f32_e32 v17, v6, v13
	s_delay_alu instid0(VALU_DEP_4) | instskip(SKIP_1) | instid1(VALU_DEP_3)
	v_dual_fmac_f32 v14, 0x32a5705f, v5 :: v_dual_sub_f32 v11, v11, v15
	v_dual_sub_f32 v4, v4, v10 :: v_dual_mov_b32 v3, v1
	v_mul_f32_e32 v13, 0x3fb8aa3b, v17
	v_cvt_i32_f32_e32 v10, v10
	s_delay_alu instid0(VALU_DEP_4) | instskip(SKIP_1) | instid1(VALU_DEP_4)
	v_add_f32_e32 v11, v11, v14
	v_cvt_i32_f32_e32 v15, v15
	v_fma_f32 v14, 0x3fb8aa3b, v17, -v13
	v_fmac_f32_e32 v9, 0x32a5705f, v12
	v_rndne_f32_e32 v18, v13
	v_exp_f32_e32 v11, v11
	s_delay_alu instid0(VALU_DEP_3) | instskip(NEXT) | instid1(VALU_DEP_3)
	v_fmac_f32_e32 v14, 0x32a5705f, v17
	v_add_f32_e32 v9, v4, v9
	v_lshlrev_b64_e32 v[3:4], 2, v[2:3]
	v_sub_f32_e32 v13, v13, v18
	s_delay_alu instid0(VALU_DEP_3) | instskip(NEXT) | instid1(VALU_DEP_2)
	v_exp_f32_e32 v9, v9
	v_add_co_u32 v3, vcc_lo, s6, v3
	s_wait_alu 0xfffd
	s_delay_alu instid0(VALU_DEP_3) | instskip(SKIP_1) | instid1(TRANS32_DEP_1)
	v_add_co_ci_u32_e64 v4, null, s7, v4, vcc_lo
	v_cmp_ngt_f32_e32 vcc_lo, 0xc2ce8ed0, v12
	v_ldexp_f32 v9, v9, v10
	s_wait_alu 0xfffd
	s_delay_alu instid0(VALU_DEP_1) | instskip(SKIP_4) | instid1(VALU_DEP_4)
	v_dual_mov_b32 v10, v1 :: v_dual_cndmask_b32 v19, 0, v9
	v_add_nc_u32_e32 v9, s0, v2
	v_cmp_nlt_f32_e32 vcc_lo, 0x42b17218, v12
	v_add_f32_e32 v2, v13, v14
	v_ldexp_f32 v13, v11, v15
	v_lshlrev_b64_e32 v[10:11], 2, v[9:10]
	s_wait_alu 0xfffd
	v_cndmask_b32_e32 v19, 0x7f800000, v19, vcc_lo
	v_cmp_ngt_f32_e32 vcc_lo, 0xc2ce8ed0, v5
	v_exp_f32_e32 v2, v2
	v_add_nc_u32_e32 v12, s0, v9
	v_cvt_i32_f32_e32 v9, v18
	s_wait_alu 0xfffd
	v_cndmask_b32_e32 v20, 0, v13, vcc_lo
	v_add_co_u32 v14, vcc_lo, s6, v10
	v_mov_b32_e32 v13, v1
	s_wait_alu 0xfffd
	v_add_co_ci_u32_e64 v15, null, s7, v11, vcc_lo
	v_cmp_nlt_f32_e32 vcc_lo, 0x42b17218, v5
	v_ldexp_f32 v2, v2, v9
	v_lshlrev_b64_e32 v[9:10], 2, v[12:13]
	v_dual_mov_b32 v12, v1 :: v_dual_add_nc_u32 v11, s0, v12
	s_wait_alu 0xfffd
	v_cndmask_b32_e32 v5, 0x7f800000, v20, vcc_lo
	v_cmp_ngt_f32_e32 vcc_lo, 0xc2ce8ed0, v17
	s_wait_alu 0xfffd
	v_cndmask_b32_e32 v13, 0, v2, vcc_lo
	v_add_co_u32 v1, vcc_lo, s6, v9
	s_wait_alu 0xfffd
	v_add_co_ci_u32_e64 v2, null, s7, v10, vcc_lo
	v_lshlrev_b64_e32 v[9:10], 2, v[11:12]
	v_cmp_nlt_f32_e32 vcc_lo, 0x42b17218, v17
	s_wait_alu 0xfffe
	v_fmaak_f32 v11, s2, v8, 0x41a91699
	s_mov_b32 s2, 0x2b03e643
	s_wait_alu 0xfffd
	v_cndmask_b32_e32 v12, 0x7f800000, v13, vcc_lo
	v_add_co_u32 v8, vcc_lo, s6, v9
	s_wait_alu 0xfffd
	v_add_co_ci_u32_e64 v9, null, s7, v10, vcc_lo
	v_fmamk_f32 v10, v7, 0x3f86497a, v11
	s_wait_alu 0xfffe
	v_fmaak_f32 v11, s2, v6, 0xb0e06d89
	s_clause 0x3
	global_store_b32 v[3:4], v16, off
	global_store_b32 v[14:15], v19, off
	;; [unrolled: 1-line block ×4, first 2 shown]
                                        ; implicit-def: $vgpr8
                                        ; implicit-def: $vgpr7
                                        ; implicit-def: $vgpr4_vgpr5
                                        ; implicit-def: $vgpr3
                                        ; implicit-def: $vgpr9
                                        ; implicit-def: $vgpr2
.LBB1_2:
	s_wait_alu 0xfffe
	s_or_saveexec_b32 s1, s1
	v_dual_mov_b32 v12, 0x3c5510c5 :: v_dual_mov_b32 v1, s0
	v_mov_b32_e32 v13, 0x34d2a7a5
	s_wait_alu 0xfffe
	s_xor_b32 exec_lo, exec_lo, s1
	s_cbranch_execz .LBB1_4
; %bb.3:
	s_mov_b32 s3, 0x19f0e9d8
	v_sub_f32_e32 v3, 0xbee4b39f, v3
	s_wait_alu 0xfffe
	v_fmaak_f32 v10, s3, v6, 0xa0e8edaa
	s_mov_b32 s2, 0x26904c99
	s_mov_b32 s3, 0x248d9e1b
	s_wait_alu 0xfffe
	v_dual_fmaak_f32 v1, s2, v6, 0xad839fa2 :: v_dual_add_f32 v12, v3, v9
	v_dual_mov_b32 v3, 0 :: v_dual_fmaak_f32 v10, v6, v10, 0x27420788
	s_mov_b32 s2, 0x446d8a2c
	s_delay_alu instid0(VALU_DEP_2) | instskip(NEXT) | instid1(VALU_DEP_2)
	v_fmaak_f32 v1, v6, v1, 0x33b2c336
	v_fmaak_f32 v9, v6, v10, 0xad4b0d37
	s_wait_alu 0xfffe
	v_fmaak_f32 v11, s2, v8, 0xc04d1f1a
	s_delay_alu instid0(VALU_DEP_3) | instskip(SKIP_1) | instid1(VALU_DEP_2)
	v_fmaak_f32 v1, v6, v1, 0xb7cf3580
	s_mov_b32 s2, 0xc6e44328
	v_dual_fmac_f32 v12, v6, v9 :: v_dual_fmamk_f32 v11, v7, 0x405595fb, v11
	s_delay_alu instid0(VALU_DEP_1) | instskip(NEXT) | instid1(VALU_DEP_1)
	v_mul_f32_e32 v13, 0x3fb8aa3b, v12
	v_fma_f32 v16, 0x3fb8aa3b, v12, -v13
	v_rndne_f32_e32 v17, v13
	s_delay_alu instid0(VALU_DEP_4)
	v_fmac_f32_e32 v11, v6, v1
	s_wait_alu 0xfffe
	v_fmaak_f32 v1, s2, v8, 0x4099194d
	s_mov_b32 s2, 0x44880ea6
	v_fmac_f32_e32 v16, 0x32a5705f, v12
	s_wait_alu 0xfffe
	v_dual_fmaak_f32 v18, s2, v8, 0x40ae80df :: v_dual_sub_f32 v13, v13, v17
	v_fmamk_f32 v1, v7, 0x40247164, v1
	v_cvt_i32_f32_e32 v17, v17
	v_cmp_ngt_f32_e32 vcc_lo, 0xc2ce8ed0, v11
	s_delay_alu instid0(VALU_DEP_4)
	v_fmamk_f32 v18, v7, 0x4052151a, v18
	v_fmaak_f32 v9, s3, v6, 0xab6afac3
	s_mov_b32 s3, 0xa69c2960
	s_wait_alu 0xfffe
	v_dual_add_f32 v13, v13, v16 :: v_dual_fmaak_f32 v16, s3, v6, 0x2d998b25
	s_mov_b32 s2, 0x26293585
	s_mov_b32 s3, 0xc734b79b
	s_delay_alu instid0(VALU_DEP_1) | instskip(NEXT) | instid1(VALU_DEP_1)
	v_exp_f32_e32 v13, v13
	v_fmaak_f32 v16, v6, v16, 0xb407a4b7
	s_delay_alu instid0(VALU_DEP_1) | instskip(NEXT) | instid1(TRANS32_DEP_1)
	v_fmaak_f32 v16, v6, v16, 0x3a426429
	v_ldexp_f32 v13, v13, v17
	s_delay_alu instid0(VALU_DEP_2) | instskip(SKIP_1) | instid1(VALU_DEP_1)
	v_fmac_f32_e32 v18, v6, v16
	v_fmaak_f32 v9, v6, v9, 0x31f03917
	v_fmaak_f32 v9, v6, v9, 0xb8344d00
	s_delay_alu instid0(VALU_DEP_1) | instskip(NEXT) | instid1(VALU_DEP_1)
	v_dual_mul_f32 v10, 0x3fb8aa3b, v11 :: v_dual_fmac_f32 v1, v6, v9
	v_fma_f32 v14, 0x3fb8aa3b, v11, -v10
	v_rndne_f32_e32 v15, v10
	s_delay_alu instid0(VALU_DEP_1) | instskip(SKIP_1) | instid1(VALU_DEP_2)
	v_dual_mul_f32 v19, 0x3fb8aa3b, v1 :: v_dual_sub_f32 v10, v10, v15
	v_cvt_i32_f32_e32 v15, v15
	v_rndne_f32_e32 v21, v19
	v_fmac_f32_e32 v14, 0x32a5705f, v11
	v_fma_f32 v20, 0x3fb8aa3b, v1, -v19
	s_delay_alu instid0(VALU_DEP_2) | instskip(SKIP_2) | instid1(VALU_DEP_3)
	v_add_f32_e32 v14, v10, v14
	v_lshlrev_b64_e32 v[9:10], 2, v[2:3]
	v_add_nc_u32_e32 v2, s0, v2
	v_exp_f32_e32 v14, v14
	s_delay_alu instid0(TRANS32_DEP_1) | instskip(SKIP_1) | instid1(VALU_DEP_1)
	v_ldexp_f32 v14, v14, v15
	s_wait_alu 0xfffd
	v_dual_sub_f32 v15, v19, v21 :: v_dual_cndmask_b32 v14, 0, v14
	v_cmp_ngt_f32_e32 vcc_lo, 0xc2ce8ed0, v12
	s_wait_alu 0xfffd
	v_cndmask_b32_e32 v13, 0, v13, vcc_lo
	v_cmp_nlt_f32_e32 vcc_lo, 0x42b17218, v11
	s_wait_alu 0xfffd
	v_cndmask_b32_e32 v11, 0x7f800000, v14, vcc_lo
	v_cmp_nlt_f32_e32 vcc_lo, 0x42b17218, v12
	v_cvt_i32_f32_e32 v14, v21
	global_store_b32 v[4:5], v11, off
	s_wait_alu 0xfffd
	v_cndmask_b32_e32 v12, 0x7f800000, v13, vcc_lo
	v_add_co_u32 v9, vcc_lo, s6, v9
	s_wait_alu 0xfffd
	v_add_co_ci_u32_e64 v10, null, s7, v10, vcc_lo
	v_mul_f32_e32 v4, 0x3fb8aa3b, v18
	v_cmp_ngt_f32_e32 vcc_lo, 0xc2ce8ed0, v1
	global_store_b32 v[9:10], v12, off
	s_wait_alu 0xfffe
	v_fmaak_f32 v9, s2, v6, 0xad00ee31
	s_mov_b32 s2, 0xc5712a83
	v_fma_f32 v10, 0x3fb8aa3b, v18, -v4
	s_wait_alu 0xfffe
	v_fmaak_f32 v12, s2, v8, 0x408f4118
	v_rndne_f32_e32 v11, v4
	v_fmaak_f32 v9, v6, v9, 0x32b51ca8
	s_mov_b32 s2, 0x26726737
	v_fmac_f32_e32 v10, 0x32a5705f, v18
	v_fmamk_f32 v12, v7, 0x4045f1df, v12
	s_delay_alu instid0(VALU_DEP_3) | instskip(SKIP_1) | instid1(VALU_DEP_2)
	v_dual_sub_f32 v4, v4, v11 :: v_dual_fmaak_f32 v9, v6, v9, 0x398fc47f
	v_cvt_i32_f32_e32 v11, v11
	v_add_f32_e32 v10, v4, v10
	s_delay_alu instid0(VALU_DEP_3)
	v_fmac_f32_e32 v12, v6, v9
	v_fmac_f32_e32 v20, 0x32a5705f, v1
	s_wait_alu 0xfffe
	v_fmaak_f32 v9, s2, v6, 0xad0e43db
	s_mov_b32 s2, 0x46ea6898
	v_exp_f32_e32 v10, v10
	v_add_f32_e32 v15, v15, v20
	s_delay_alu instid0(VALU_DEP_2) | instskip(NEXT) | instid1(VALU_DEP_2)
	v_fmaak_f32 v9, v6, v9, 0xb2eae537
	v_exp_f32_e32 v13, v15
	s_delay_alu instid0(VALU_DEP_1) | instskip(NEXT) | instid1(TRANS32_DEP_1)
	v_fmaak_f32 v9, v6, v9, 0x3a8eaaa0
	v_ldexp_f32 v5, v13, v14
	s_wait_alu 0xfffe
	v_fmaak_f32 v14, s2, v8, 0x409eefc8
	s_mov_b32 s2, 0xa61b8339
	s_wait_alu 0xfffd
	v_cndmask_b32_e32 v5, 0, v5, vcc_lo
	v_cmp_nlt_f32_e32 vcc_lo, 0x42b17218, v1
	v_fmamk_f32 v14, v7, 0x40422cef, v14
	v_mul_f32_e32 v13, 0x3fb8aa3b, v12
	s_wait_alu 0xfffd
	v_cndmask_b32_e32 v1, 0x7f800000, v5, vcc_lo
	v_lshlrev_b64_e32 v[4:5], 2, v[2:3]
	v_fmac_f32_e32 v14, v6, v9
	v_fma_f32 v15, 0x3fb8aa3b, v12, -v13
	v_rndne_f32_e32 v16, v13
	v_add_nc_u32_e32 v2, s0, v2
	v_add_co_u32 v4, vcc_lo, s6, v4
	s_wait_alu 0xfffd
	v_add_co_ci_u32_e64 v5, null, s7, v5, vcc_lo
	v_fmac_f32_e32 v15, 0x32a5705f, v12
	v_mul_f32_e32 v9, 0x3fb8aa3b, v14
	v_cmp_ngt_f32_e32 vcc_lo, 0xc2ce8ed0, v18
	global_store_b32 v[4:5], v1, off
	v_sub_f32_e32 v4, v13, v16
	v_ldexp_f32 v1, v10, v11
	v_fma_f32 v11, 0x3fb8aa3b, v14, -v9
	v_rndne_f32_e32 v13, v9
	s_delay_alu instid0(VALU_DEP_4) | instskip(SKIP_1) | instid1(VALU_DEP_4)
	v_add_f32_e32 v10, v4, v15
	v_cvt_i32_f32_e32 v15, v16
	v_fmac_f32_e32 v11, 0x32a5705f, v14
	s_delay_alu instid0(VALU_DEP_4)
	v_sub_f32_e32 v9, v9, v13
	v_lshlrev_b64_e32 v[4:5], 2, v[2:3]
	v_exp_f32_e32 v10, v10
	s_wait_alu 0xfffd
	v_cndmask_b32_e32 v1, 0, v1, vcc_lo
	v_cmp_nlt_f32_e32 vcc_lo, 0x42b17218, v18
	v_add_f32_e32 v9, v9, v11
	s_wait_alu 0xfffe
	v_fmaak_f32 v11, s2, v6, 0x2d277ca9
	s_mov_b32 s2, 0xc2dfb6a3
	v_add_nc_u32_e32 v2, s0, v2
	s_wait_alu 0xfffd
	v_cndmask_b32_e32 v1, 0x7f800000, v1, vcc_lo
	v_add_co_u32 v4, vcc_lo, s6, v4
	v_ldexp_f32 v10, v10, v15
	v_exp_f32_e32 v15, v9
	s_wait_alu 0xfffe
	v_fmaak_f32 v9, s2, v8, 0x40723f1d
	v_fmaak_f32 v11, v6, v11, 0xb3e2cb8b
	s_wait_alu 0xfffd
	v_add_co_ci_u32_e64 v5, null, s7, v5, vcc_lo
	v_cmp_ngt_f32_e32 vcc_lo, 0xc2ce8ed0, v12
	v_fmamk_f32 v17, v7, 0x40808cfe, v9
	v_fmaak_f32 v11, v6, v11, 0x3a92c9f2
	v_cvt_i32_f32_e32 v13, v13
	s_mov_b32 s2, 0xa6cf75b5
	s_wait_alu 0xfffd
	v_cndmask_b32_e32 v16, 0, v10, vcc_lo
	v_lshlrev_b64_e32 v[9:10], 2, v[2:3]
	v_fmac_f32_e32 v17, v6, v11
	v_cmp_nlt_f32_e32 vcc_lo, 0x42b17218, v12
	v_ldexp_f32 v12, v15, v13
	s_delay_alu instid0(VALU_DEP_3)
	v_dual_mul_f32 v11, 0x3fb8aa3b, v17 :: v_dual_add_nc_u32 v2, s0, v2
	s_wait_alu 0xfffd
	v_cndmask_b32_e32 v16, 0x7f800000, v16, vcc_lo
	v_add_co_u32 v9, vcc_lo, s6, v9
	s_wait_alu 0xfffd
	v_add_co_ci_u32_e64 v10, null, s7, v10, vcc_lo
	v_fma_f32 v15, 0x3fb8aa3b, v17, -v11
	v_rndne_f32_e32 v18, v11
	v_cmp_ngt_f32_e32 vcc_lo, 0xc2ce8ed0, v14
	s_clause 0x1
	global_store_b32 v[4:5], v1, off
	global_store_b32 v[9:10], v16, off
	v_dual_fmac_f32 v15, 0x32a5705f, v17 :: v_dual_sub_f32 v20, v11, v18
	s_wait_alu 0xfffd
	v_cndmask_b32_e32 v13, 0, v12, vcc_lo
	v_cmp_nlt_f32_e32 vcc_lo, 0x42b17218, v14
	s_wait_alu 0xfffe
	v_fmaak_f32 v12, s2, v6, 0x2e080a86
	v_cvt_i32_f32_e32 v5, v18
	v_add_f32_e32 v14, v20, v15
	s_mov_b32 s2, 0x468b8b93
	s_wait_alu 0xfffd
	v_cndmask_b32_e32 v13, 0x7f800000, v13, vcc_lo
	s_wait_alu 0xfffe
	v_fmaak_f32 v19, s2, v8, 0x403aa24f
	s_mov_b32 s2, 0x267dc1d4
	v_exp_f32_e32 v1, v14
	s_wait_alu 0xfffe
	v_fmaak_f32 v9, s2, v6, 0xad3f9725
	s_mov_b32 s2, 0xc78ab238
	v_fmamk_f32 v19, v7, 0x408547b4, v19
	v_fmaak_f32 v14, s3, v8, 0x40c57a6a
	s_mov_b32 s3, 0xc2ffaa40
	v_fmaak_f32 v9, v6, v9, 0x32cecbe4
	s_delay_alu instid0(VALU_DEP_2) | instskip(NEXT) | instid1(TRANS32_DEP_1)
	v_fmamk_f32 v14, v7, 0x4037f146, v14
	v_ldexp_f32 v1, v1, v5
	v_fmaak_f32 v12, v6, v12, 0xb4aa223a
	s_delay_alu instid0(VALU_DEP_4) | instskip(NEXT) | instid1(VALU_DEP_2)
	v_fmaak_f32 v5, v6, v9, 0x39fe84ea
	v_fmaak_f32 v21, v6, v12, 0x3b20d5f2
	v_lshlrev_b64_e32 v[11:12], 2, v[2:3]
	s_delay_alu instid0(VALU_DEP_2) | instskip(NEXT) | instid1(VALU_DEP_2)
	v_dual_fmac_f32 v19, v6, v21 :: v_dual_add_nc_u32 v2, s0, v2
	v_add_co_u32 v11, vcc_lo, s6, v11
	s_wait_alu 0xfffd
	s_delay_alu instid0(VALU_DEP_3) | instskip(NEXT) | instid1(VALU_DEP_3)
	v_add_co_ci_u32_e64 v12, null, s7, v12, vcc_lo
	v_mul_f32_e32 v4, 0x3fb8aa3b, v19
	v_cmp_ngt_f32_e32 vcc_lo, 0xc2ce8ed0, v17
	global_store_b32 v[11:12], v13, off
	s_wait_alu 0xfffe
	v_fmaak_f32 v12, s2, v8, 0x40af84f5
	v_fma_f32 v10, 0x3fb8aa3b, v19, -v4
	v_rndne_f32_e32 v11, v4
	s_mov_b32 s2, 0xa68745a0
	s_wait_alu 0xfffd
	v_dual_cndmask_b32 v1, 0, v1 :: v_dual_fmamk_f32 v12, v7, 0x403838c4, v12
	v_fmac_f32_e32 v10, 0x32a5705f, v19
	s_wait_alu 0xfffe
	v_dual_sub_f32 v4, v4, v11 :: v_dual_fmaak_f32 v13, s2, v6, 0x2dbeb6b0
	v_cmp_nlt_f32_e32 vcc_lo, 0x42b17218, v17
	v_fmac_f32_e32 v12, v6, v5
	v_cvt_i32_f32_e32 v11, v11
	s_delay_alu instid0(VALU_DEP_4)
	v_add_f32_e32 v9, v4, v10
	v_lshlrev_b64_e32 v[4:5], 2, v[2:3]
	v_fmaak_f32 v13, v6, v13, 0xb47c2405
	v_mul_f32_e32 v10, 0x3fb8aa3b, v12
	s_wait_alu 0xfffd
	v_cndmask_b32_e32 v1, 0x7f800000, v1, vcc_lo
	v_exp_f32_e32 v9, v9
	s_mov_b32 s2, 0xa6f4ca9c
	v_add_co_u32 v4, vcc_lo, s6, v4
	s_wait_alu 0xfffd
	v_add_co_ci_u32_e64 v5, null, s7, v5, vcc_lo
	v_fma_f32 v15, 0x3fb8aa3b, v12, -v10
	v_rndne_f32_e32 v16, v10
	v_fmaak_f32 v13, v6, v13, 0x3aefa018
	global_store_b32 v[4:5], v1, off
	v_ldexp_f32 v1, v9, v11
	v_fmac_f32_e32 v15, 0x32a5705f, v12
	v_sub_f32_e32 v4, v10, v16
	v_fmac_f32_e32 v14, v6, v13
	v_add_nc_u32_e32 v2, s0, v2
	v_cmp_ngt_f32_e32 vcc_lo, 0xc2ce8ed0, v19
	s_delay_alu instid0(VALU_DEP_3)
	v_dual_add_f32 v9, v4, v15 :: v_dual_mul_f32 v10, 0x3fb8aa3b, v14
	v_cvt_i32_f32_e32 v15, v16
	s_wait_alu 0xfffe
	v_fmaak_f32 v16, s2, v6, 0x2e192a07
	s_mov_b32 s2, 0xc746ee00
	v_exp_f32_e32 v9, v9
	v_fma_f32 v11, 0x3fb8aa3b, v14, -v10
	v_rndne_f32_e32 v13, v10
	s_wait_alu 0xfffe
	v_fmaak_f32 v17, s2, v8, 0x410a0627
	v_fmaak_f32 v16, v6, v16, 0xb4b40605
	v_lshlrev_b64_e32 v[4:5], 2, v[2:3]
	v_dual_fmac_f32 v11, 0x32a5705f, v14 :: v_dual_sub_f32 v10, v10, v13
	s_wait_alu 0xfffd
	v_cndmask_b32_e32 v1, 0, v1, vcc_lo
	v_cmp_nlt_f32_e32 vcc_lo, 0x42b17218, v19
	v_ldexp_f32 v9, v9, v15
	v_dual_fmamk_f32 v15, v7, 0x4012b0c2, v17 :: v_dual_add_f32 v10, v10, v11
	v_fmaak_f32 v11, v6, v16, 0x3b189068
	s_wait_alu 0xfffd
	v_cndmask_b32_e32 v1, 0x7f800000, v1, vcc_lo
	v_add_co_u32 v4, vcc_lo, s6, v4
	s_wait_alu 0xfffd
	v_add_co_ci_u32_e64 v5, null, s7, v5, vcc_lo
	v_cmp_ngt_f32_e32 vcc_lo, 0xc2ce8ed0, v12
	v_exp_f32_e32 v17, v10
	v_dual_fmac_f32 v15, v6, v11 :: v_dual_add_nc_u32 v2, s0, v2
	v_cvt_i32_f32_e32 v11, v13
	s_wait_alu 0xfffd
	v_cndmask_b32_e32 v16, 0, v9, vcc_lo
	v_cmp_nlt_f32_e32 vcc_lo, 0x42b17218, v12
	v_mul_f32_e32 v12, 0x3fb8aa3b, v15
	s_mov_b32 s2, 0xa7284f63
	v_lshlrev_b64_e32 v[9:10], 2, v[2:3]
	s_wait_alu 0xfffe
	v_fmaak_f32 v18, s2, v6, 0x2e5a521b
	v_ldexp_f32 v11, v17, v11
	v_fma_f32 v13, 0x3fb8aa3b, v15, -v12
	v_rndne_f32_e32 v17, v12
	s_mov_b32 s2, 0xc6830f2b
	s_wait_alu 0xfffd
	v_cndmask_b32_e32 v16, 0x7f800000, v16, vcc_lo
	v_add_co_u32 v9, vcc_lo, s6, v9
	s_wait_alu 0xfffe
	v_fmaak_f32 v19, s2, v8, 0x4107ae60
	v_fmaak_f32 v18, v6, v18, 0xb505a47d
	s_wait_alu 0xfffd
	v_add_co_ci_u32_e64 v10, null, s7, v10, vcc_lo
	v_dual_fmac_f32 v13, 0x32a5705f, v15 :: v_dual_add_nc_u32 v2, s0, v2
	v_sub_f32_e32 v12, v12, v17
	v_cmp_ngt_f32_e32 vcc_lo, 0xc2ce8ed0, v14
	v_fmamk_f32 v19, v7, 0x40124933, v19
	v_fmaak_f32 v18, v6, v18, 0x3b6d3cb0
	s_mov_b32 s2, 0xa7b769fd
	s_wait_alu 0xfffd
	v_dual_add_f32 v13, v12, v13 :: v_dual_cndmask_b32 v20, 0, v11
	v_lshlrev_b64_e32 v[11:12], 2, v[2:3]
	v_cmp_nlt_f32_e32 vcc_lo, 0x42b17218, v14
	v_fmac_f32_e32 v19, v6, v18
	global_store_b32 v[4:5], v1, off
	s_wait_alu 0xfffe
	v_fmaak_f32 v5, s2, v6, 0x2ee01a7b
	v_exp_f32_e32 v13, v13
	s_wait_alu 0xfffd
	v_cndmask_b32_e32 v14, 0x7f800000, v20, vcc_lo
	v_add_co_u32 v11, vcc_lo, s6, v11
	s_wait_alu 0xfffd
	v_add_co_ci_u32_e64 v12, null, s7, v12, vcc_lo
	v_mul_f32_e32 v4, 0x3fb8aa3b, v19
	s_mov_b32 s2, 0x4613f161
	s_clause 0x1
	global_store_b32 v[9:10], v16, off
	global_store_b32 v[11:12], v14, off
	s_wait_alu 0xfffe
	v_fmaak_f32 v11, s2, v8, 0x41937fa1
	v_fma_f32 v9, 0x3fb8aa3b, v19, -v4
	v_rndne_f32_e32 v10, v4
	v_fmaak_f32 v5, v6, v5, 0xb5803deb
	v_cvt_i32_f32_e32 v1, v17
	s_mov_b32 s2, 0xa692be5f
	s_delay_alu instid0(VALU_DEP_3)
	v_dual_fmac_f32 v9, 0x32a5705f, v19 :: v_dual_sub_f32 v4, v4, v10
	v_fmamk_f32 v11, v7, 0x3d994bbe, v11
	v_fmaak_f32 v5, v6, v5, 0x3bdb65b4
	s_wait_alu 0xfffe
	v_fmaak_f32 v12, s2, v6, 0x2da8a172
	v_add_nc_u32_e32 v2, s0, v2
	v_ldexp_f32 v1, v13, v1
	v_cmp_ngt_f32_e32 vcc_lo, 0xc2ce8ed0, v15
	s_mov_b32 s2, 0x465d1f7d
	v_add_f32_e32 v9, v4, v9
	s_wait_alu 0xfffe
	v_dual_fmac_f32 v11, v6, v5 :: v_dual_fmaak_f32 v14, s2, v8, 0x40fa32b1
	v_fmaak_f32 v12, v6, v12, 0xb432bf31
	v_lshlrev_b64_e32 v[4:5], 2, v[2:3]
	s_wait_alu 0xfffd
	v_cndmask_b32_e32 v1, 0, v1, vcc_lo
	v_cmp_nlt_f32_e32 vcc_lo, 0x42b17218, v15
	v_exp_f32_e32 v9, v9
	v_mul_f32_e32 v13, 0x3fb8aa3b, v11
	v_fmamk_f32 v14, v7, 0x402dc59a, v14
	v_fmaak_f32 v12, v6, v12, 0x3a872b78
	s_wait_alu 0xfffd
	v_cndmask_b32_e32 v1, 0x7f800000, v1, vcc_lo
	v_add_co_u32 v4, vcc_lo, s6, v4
	s_wait_alu 0xfffd
	v_add_co_ci_u32_e64 v5, null, s7, v5, vcc_lo
	v_cvt_i32_f32_e32 v10, v10
	v_fma_f32 v15, 0x3fb8aa3b, v11, -v13
	v_rndne_f32_e32 v16, v13
	v_fmac_f32_e32 v14, v6, v12
	global_store_b32 v[4:5], v1, off
	v_ldexp_f32 v1, v9, v10
	v_dual_fmac_f32 v15, 0x32a5705f, v11 :: v_dual_sub_f32 v4, v13, v16
	v_mul_f32_e32 v9, 0x3fb8aa3b, v14
	v_add_nc_u32_e32 v2, s0, v2
	v_cmp_ngt_f32_e32 vcc_lo, 0xc2ce8ed0, v19
	s_mov_b32 s2, 0xa72a1614
	v_add_f32_e32 v10, v4, v15
	v_fma_f32 v12, 0x3fb8aa3b, v14, -v9
	v_rndne_f32_e32 v13, v9
	v_lshlrev_b64_e32 v[4:5], 2, v[2:3]
	s_wait_alu 0xfffd
	v_cndmask_b32_e32 v1, 0, v1, vcc_lo
	v_exp_f32_e32 v10, v10
	v_dual_fmac_f32 v12, 0x32a5705f, v14 :: v_dual_sub_f32 v9, v9, v13
	v_cmp_nlt_f32_e32 vcc_lo, 0x42b17218, v19
	v_cvt_i32_f32_e32 v15, v16
	v_add_nc_u32_e32 v2, s0, v2
	v_cvt_i32_f32_e32 v13, v13
	s_wait_alu 0xfffe
	v_dual_add_f32 v9, v9, v12 :: v_dual_fmaak_f32 v12, s2, v6, 0x2e3fdc76
	s_wait_alu 0xfffd
	v_cndmask_b32_e32 v1, 0x7f800000, v1, vcc_lo
	v_add_co_u32 v4, vcc_lo, s6, v4
	s_mov_b32 s2, 0x473e772a
	s_wait_alu 0xfffd
	v_add_co_ci_u32_e64 v5, null, s7, v5, vcc_lo
	v_ldexp_f32 v10, v10, v15
	v_exp_f32_e32 v15, v9
	s_wait_alu 0xfffe
	v_fmaak_f32 v9, s2, v8, 0x40116285
	v_cmp_ngt_f32_e32 vcc_lo, 0xc2ce8ed0, v11
	v_fmaak_f32 v12, v6, v12, 0xb4c62d9f
	s_mov_b32 s2, 0xa740377e
	s_wait_alu 0xfffd
	v_dual_fmamk_f32 v17, v7, 0x4076e0a1, v9 :: v_dual_cndmask_b32 v16, 0, v10
	v_lshlrev_b64_e32 v[9:10], 2, v[2:3]
	v_fmaak_f32 v12, v6, v12, 0x3b10a66c
	v_cmp_nlt_f32_e32 vcc_lo, 0x42b17218, v11
	v_ldexp_f32 v11, v15, v13
	s_delay_alu instid0(VALU_DEP_3)
	v_dual_fmac_f32 v17, v6, v12 :: v_dual_add_nc_u32 v2, s0, v2
	s_wait_alu 0xfffd
	v_cndmask_b32_e32 v16, 0x7f800000, v16, vcc_lo
	v_add_co_u32 v9, vcc_lo, s6, v9
	s_wait_alu 0xfffd
	v_add_co_ci_u32_e64 v10, null, s7, v10, vcc_lo
	v_cmp_ngt_f32_e32 vcc_lo, 0xc2ce8ed0, v14
	v_mul_f32_e32 v12, 0x3fb8aa3b, v17
	s_clause 0x1
	global_store_b32 v[4:5], v1, off
	global_store_b32 v[9:10], v16, off
	s_wait_alu 0xfffd
	v_cndmask_b32_e32 v13, 0, v11, vcc_lo
	s_wait_alu 0xfffe
	v_fmaak_f32 v11, s2, v6, 0x2e57ee19
	v_fma_f32 v15, 0x3fb8aa3b, v17, -v12
	s_mov_b32 s2, 0xc57abeb1
	v_rndne_f32_e32 v18, v12
	s_wait_alu 0xfffe
	v_fmaak_f32 v19, s2, v8, 0x411cc605
	v_fmaak_f32 v11, v6, v11, 0xb4de4e2d
	v_fmac_f32_e32 v15, 0x32a5705f, v17
	v_cmp_nlt_f32_e32 vcc_lo, 0x42b17218, v14
	s_delay_alu instid0(VALU_DEP_4) | instskip(NEXT) | instid1(VALU_DEP_4)
	v_dual_sub_f32 v20, v12, v18 :: v_dual_fmamk_f32 v19, v7, 0x40316b4e, v19
	v_fmaak_f32 v21, v6, v11, 0x3b226df4
	v_lshlrev_b64_e32 v[11:12], 2, v[2:3]
	s_wait_alu 0xfffd
	s_delay_alu instid0(VALU_DEP_3)
	v_dual_cndmask_b32 v13, 0x7f800000, v13 :: v_dual_add_f32 v14, v20, v15
	s_mov_b32 s2, 0xa79f38a6
	v_fmac_f32_e32 v19, v6, v21
	s_wait_alu 0xfffe
	v_fmaak_f32 v9, s2, v6, 0x2eb86d4e
	v_add_co_u32 v11, vcc_lo, s6, v11
	s_wait_alu 0xfffd
	v_add_co_ci_u32_e64 v12, null, s7, v12, vcc_lo
	v_exp_f32_e32 v1, v14
	v_mul_f32_e32 v4, 0x3fb8aa3b, v19
	s_mov_b32 s2, 0x465aaf54
	global_store_b32 v[11:12], v13, off
	v_cvt_i32_f32_e32 v5, v18
	s_wait_alu 0xfffe
	v_fmaak_f32 v12, s2, v8, 0x415a804d
	v_fmaak_f32 v9, v6, v9, 0xb545dcfe
	v_fma_f32 v10, 0x3fb8aa3b, v19, -v4
	v_rndne_f32_e32 v11, v4
	v_add_nc_u32_e32 v2, s0, v2
	v_ldexp_f32 v1, v1, v5
	v_fmamk_f32 v12, v7, 0x3fe15e4b, v12
	v_fmaak_f32 v5, v6, v9, 0x3b96bb9a
	v_fmac_f32_e32 v10, 0x32a5705f, v19
	v_sub_f32_e32 v4, v4, v11
	v_cmp_ngt_f32_e32 vcc_lo, 0xc2ce8ed0, v17
	s_mov_b32 s2, 0xa6983ae3
	s_wait_alu 0xfffe
	v_dual_fmac_f32 v12, v6, v5 :: v_dual_fmaak_f32 v13, s2, v6, 0x2e10909f
	v_add_f32_e32 v9, v4, v10
	v_lshlrev_b64_e32 v[4:5], 2, v[2:3]
	s_wait_alu 0xfffd
	v_cndmask_b32_e32 v1, 0, v1, vcc_lo
	v_cmp_nlt_f32_e32 vcc_lo, 0x42b17218, v17
	v_mul_f32_e32 v10, 0x3fb8aa3b, v12
	v_fmaak_f32 v14, s3, v8, 0x403b7e28
	v_fmaak_f32 v13, v6, v13, 0xb4edb071
	v_exp_f32_e32 v9, v9
	s_wait_alu 0xfffd
	v_cndmask_b32_e32 v1, 0x7f800000, v1, vcc_lo
	v_add_co_u32 v4, vcc_lo, s6, v4
	s_wait_alu 0xfffd
	v_add_co_ci_u32_e64 v5, null, s7, v5, vcc_lo
	v_fma_f32 v15, 0x3fb8aa3b, v12, -v10
	v_rndne_f32_e32 v16, v10
	v_fmamk_f32 v14, v7, 0x407154c5, v14
	v_fmaak_f32 v13, v6, v13, 0x3b80f774
	v_cvt_i32_f32_e32 v11, v11
	global_store_b32 v[4:5], v1, off
	v_fmac_f32_e32 v15, 0x32a5705f, v12
	v_sub_f32_e32 v4, v10, v16
	v_fmac_f32_e32 v14, v6, v13
	v_ldexp_f32 v1, v9, v11
	s_mov_b32 s2, 0xa7022611
	s_delay_alu instid0(VALU_DEP_3) | instskip(NEXT) | instid1(VALU_DEP_3)
	v_dual_add_f32 v9, v4, v15 :: v_dual_add_nc_u32 v2, s0, v2
	v_mul_f32_e32 v10, 0x3fb8aa3b, v14
	v_cvt_i32_f32_e32 v15, v16
	s_wait_alu 0xfffe
	v_fmaak_f32 v16, s2, v6, 0x2e2b4ef2
	v_cmp_ngt_f32_e32 vcc_lo, 0xc2ce8ed0, v19
	v_exp_f32_e32 v9, v9
	v_fma_f32 v11, 0x3fb8aa3b, v14, -v10
	v_rndne_f32_e32 v13, v10
	s_mov_b32 s2, 0xc6caa000
	v_fmaak_f32 v16, v6, v16, 0xb4d453ed
	s_wait_alu 0xfffe
	v_fmaak_f32 v17, s2, v8, 0xbf9d79db
	v_dual_fmac_f32 v11, 0x32a5705f, v14 :: v_dual_sub_f32 v10, v10, v13
	v_lshlrev_b64_e32 v[4:5], 2, v[2:3]
	s_wait_alu 0xfffd
	v_cndmask_b32_e32 v1, 0, v1, vcc_lo
	v_cmp_nlt_f32_e32 vcc_lo, 0x42b17218, v19
	v_ldexp_f32 v9, v9, v15
	v_dual_add_f32 v10, v10, v11 :: v_dual_fmamk_f32 v15, v7, 0x4084b8e4, v17
	v_fmaak_f32 v11, v6, v16, 0x3b435a16
	s_wait_alu 0xfffd
	v_cndmask_b32_e32 v1, 0x7f800000, v1, vcc_lo
	v_add_co_u32 v4, vcc_lo, s6, v4
	s_wait_alu 0xfffd
	v_add_co_ci_u32_e64 v5, null, s7, v5, vcc_lo
	v_cmp_ngt_f32_e32 vcc_lo, 0xc2ce8ed0, v12
	v_exp_f32_e32 v17, v10
	v_fmac_f32_e32 v15, v6, v11
	s_mov_b32 s2, 0xa656890b
	v_add_nc_u32_e32 v2, s0, v2
	s_wait_alu 0xfffe
	v_fmaak_f32 v18, s2, v6, 0x2dbaa4f4
	s_wait_alu 0xfffd
	v_cndmask_b32_e32 v16, 0, v9, vcc_lo
	v_cmp_nlt_f32_e32 vcc_lo, 0x42b17218, v12
	v_cvt_i32_f32_e32 v11, v13
	v_mul_f32_e32 v12, 0x3fb8aa3b, v15
	s_mov_b32 s2, 0xc73cbcb0
	v_lshlrev_b64_e32 v[9:10], 2, v[2:3]
	s_wait_alu 0xfffe
	v_fmaak_f32 v19, s2, v8, 0x3f23e693
	v_fmaak_f32 v18, v6, v18, 0xb491dbe5
	v_ldexp_f32 v11, v17, v11
	v_fma_f32 v13, 0x3fb8aa3b, v15, -v12
	v_rndne_f32_e32 v17, v12
	s_wait_alu 0xfffd
	v_cndmask_b32_e32 v16, 0x7f800000, v16, vcc_lo
	v_add_co_u32 v9, vcc_lo, s6, v9
	v_fmamk_f32 v19, v7, 0x4088e5a8, v19
	v_fmaak_f32 v18, v6, v18, 0x3b1bda92
	s_wait_alu 0xfffd
	v_add_co_ci_u32_e64 v10, null, s7, v10, vcc_lo
	v_dual_fmac_f32 v13, 0x32a5705f, v15 :: v_dual_add_nc_u32 v2, s0, v2
	v_sub_f32_e32 v12, v12, v17
	v_cmp_ngt_f32_e32 vcc_lo, 0xc2ce8ed0, v14
	v_fmac_f32_e32 v19, v6, v18
	s_mov_b32 s2, 0xa79b64ba
	s_clause 0x1
	global_store_b32 v[4:5], v1, off
	global_store_b32 v[9:10], v16, off
	s_wait_alu 0xfffd
	v_dual_add_f32 v13, v12, v13 :: v_dual_cndmask_b32 v20, 0, v11
	v_lshlrev_b64_e32 v[11:12], 2, v[2:3]
	v_cmp_nlt_f32_e32 vcc_lo, 0x42b17218, v14
	v_mul_f32_e32 v18, 0x3fb8aa3b, v19
	s_wait_alu 0xfffe
	v_fmaak_f32 v5, s2, v6, 0x2eba7bb3
	s_mov_b32 s2, 0xc70734e0
	v_exp_f32_e32 v13, v13
	s_wait_alu 0xfffd
	v_cndmask_b32_e32 v14, 0x7f800000, v20, vcc_lo
	v_add_co_u32 v11, vcc_lo, s6, v11
	s_wait_alu 0xfffd
	v_add_co_ci_u32_e64 v12, null, s7, v12, vcc_lo
	v_fma_f32 v4, 0x3fb8aa3b, v19, -v18
	v_rndne_f32_e32 v9, v18
	v_fmaak_f32 v5, v6, v5, 0xb5516aa0
	global_store_b32 v[11:12], v14, off
	s_wait_alu 0xfffe
	v_fmaak_f32 v11, s2, v8, 0x40f931c2
	v_fmac_f32_e32 v4, 0x32a5705f, v19
	v_sub_f32_e32 v10, v18, v9
	v_fmaak_f32 v12, v6, v5, 0x3ba9401f
	s_mov_b32 s2, 0xa7e273b0
	v_fmamk_f32 v11, v7, 0x40411202, v11
	v_cvt_i32_f32_e32 v1, v17
	v_add_f32_e32 v10, v10, v4
	v_add_nc_u32_e32 v2, s0, v2
	v_cmp_ngt_f32_e32 vcc_lo, 0xc2ce8ed0, v15
	s_wait_alu 0xfffe
	v_dual_fmac_f32 v11, v6, v12 :: v_dual_fmaak_f32 v12, s2, v6, 0x2f06e4f9
	v_exp_f32_e32 v10, v10
	v_ldexp_f32 v1, v13, v1
	v_cvt_i32_f32_e32 v9, v9
	s_delay_alu instid0(VALU_DEP_3)
	v_mul_f32_e32 v13, 0x3fb8aa3b, v11
	v_fmaak_f32 v12, v6, v12, 0xb5961e1a
	s_mov_b32 s2, 0xc59a5f17
	v_lshlrev_b64_e32 v[4:5], 2, v[2:3]
	s_wait_alu 0xfffe
	v_fmaak_f32 v14, s2, v8, 0x4124e2cb
	s_wait_alu 0xfffd
	v_cndmask_b32_e32 v1, 0, v1, vcc_lo
	v_cmp_nlt_f32_e32 vcc_lo, 0x42b17218, v15
	v_ldexp_f32 v9, v10, v9
	v_fma_f32 v15, 0x3fb8aa3b, v11, -v13
	v_fmaak_f32 v10, v6, v12, 0x3beff353
	v_rndne_f32_e32 v12, v13
	v_fmamk_f32 v14, v7, 0x40024fa5, v14
	s_wait_alu 0xfffd
	v_cndmask_b32_e32 v1, 0x7f800000, v1, vcc_lo
	v_add_co_u32 v4, vcc_lo, s6, v4
	v_fmac_f32_e32 v15, 0x32a5705f, v11
	v_sub_f32_e32 v13, v13, v12
	s_wait_alu 0xfffd
	v_add_co_ci_u32_e64 v5, null, s7, v5, vcc_lo
	v_cmp_ngt_f32_e32 vcc_lo, 0xc2ce8ed0, v19
	s_mov_b32 s2, 0xa806c900
	v_dual_fmac_f32 v14, v6, v10 :: v_dual_add_f32 v13, v13, v15
	s_wait_alu 0xfffe
	v_fmaak_f32 v15, s2, v6, 0x2f208b7f
	s_wait_alu 0xfffd
	v_dual_cndmask_b32 v9, 0, v9 :: v_dual_add_nc_u32 v2, s0, v2
	v_cmp_nlt_f32_e32 vcc_lo, 0x42b17218, v19
	s_mov_b32 s2, 0xc648e614
	v_mul_f32_e32 v17, 0x3fb8aa3b, v14
	s_wait_alu 0xfffe
	v_fmaak_f32 v20, s2, v8, 0x41576622
	v_fmaak_f32 v15, v6, v15, 0xb5b28e4a
	s_wait_alu 0xfffd
	v_cndmask_b32_e32 v16, 0x7f800000, v9, vcc_lo
	v_lshlrev_b64_e32 v[9:10], 2, v[2:3]
	v_fma_f32 v18, 0x3fb8aa3b, v14, -v17
	v_rndne_f32_e32 v19, v17
	v_fmamk_f32 v20, v7, 0x3ffa322e, v20
	v_fmaak_f32 v15, v6, v15, 0x3c0e84b9
	v_exp_f32_e32 v13, v13
	v_add_co_u32 v9, vcc_lo, s6, v9
	v_dual_fmac_f32 v18, 0x32a5705f, v14 :: v_dual_sub_f32 v17, v17, v19
	s_wait_alu 0xfffd
	v_add_co_ci_u32_e64 v10, null, s7, v10, vcc_lo
	v_fmac_f32_e32 v20, v6, v15
	v_cvt_i32_f32_e32 v12, v12
	global_store_b32 v[4:5], v1, off
	v_add_f32_e32 v1, v17, v18
	global_store_b32 v[9:10], v16, off
	v_mul_f32_e32 v9, 0x3fb8aa3b, v20
	v_ldexp_f32 v4, v13, v12
	v_add_nc_u32_e32 v2, s0, v2
	v_cmp_ngt_f32_e32 vcc_lo, 0xc2ce8ed0, v11
	v_exp_f32_e32 v1, v1
	v_fma_f32 v13, 0x3fb8aa3b, v20, -v9
	v_rndne_f32_e32 v15, v9
	v_cvt_i32_f32_e32 v12, v19
	s_wait_alu 0xfffd
	v_cndmask_b32_e32 v10, 0, v4, vcc_lo
	v_lshlrev_b64_e32 v[4:5], 2, v[2:3]
	v_cmp_nlt_f32_e32 vcc_lo, 0x42b17218, v11
	v_fmac_f32_e32 v13, 0x32a5705f, v20
	v_dual_sub_f32 v9, v9, v15 :: v_dual_add_nc_u32 v2, s0, v2
	s_mov_b32 s2, 0xa82b23af
	s_wait_alu 0xfffd
	v_cndmask_b32_e32 v11, 0x7f800000, v10, vcc_lo
	v_add_co_u32 v4, vcc_lo, s6, v4
	v_ldexp_f32 v1, v1, v12
	s_wait_alu 0xfffd
	v_add_co_ci_u32_e64 v5, null, s7, v5, vcc_lo
	v_cmp_ngt_f32_e32 vcc_lo, 0xc2ce8ed0, v14
	s_wait_alu 0xfffe
	v_dual_add_f32 v12, v9, v13 :: v_dual_fmaak_f32 v13, s2, v6, 0x2f4adef3
	v_lshlrev_b64_e32 v[9:10], 2, v[2:3]
	s_mov_b32 s2, 0x46328993
	s_wait_alu 0xfffd
	v_cndmask_b32_e32 v1, 0, v1, vcc_lo
	v_cmp_nlt_f32_e32 vcc_lo, 0x42b17218, v14
	s_wait_alu 0xfffe
	v_fmaak_f32 v14, s2, v8, 0x4171d98b
	v_fmaak_f32 v13, v6, v13, 0xb5e044df
	s_mov_b32 s2, 0xa68bd922
	v_exp_f32_e32 v12, v12
	s_wait_alu 0xfffd
	v_cndmask_b32_e32 v1, 0x7f800000, v1, vcc_lo
	v_add_co_u32 v9, vcc_lo, s6, v9
	v_fmamk_f32 v14, v7, 0x3f89336a, v14
	v_fmaak_f32 v13, v6, v13, 0x3c31a54e
	s_wait_alu 0xfffd
	v_add_co_ci_u32_e64 v10, null, s7, v10, vcc_lo
	s_clause 0x1
	global_store_b32 v[4:5], v11, off
	global_store_b32 v[9:10], v1, off
	v_fmac_f32_e32 v14, v6, v13
	s_wait_alu 0xfffe
	v_fmaak_f32 v4, s2, v6, 0x2dd1d4c8
	s_mov_b32 s2, 0xc696fe6e
	v_cvt_i32_f32_e32 v15, v15
	s_wait_alu 0xfffe
	v_fmaak_f32 v9, s2, v8, 0xc07b895f
	v_mul_f32_e32 v5, 0x3fb8aa3b, v14
	v_fmaak_f32 v4, v6, v4, 0xb48e9475
	s_mov_b32 s2, 0xa78f2f71
	v_ldexp_f32 v1, v12, v15
	v_fmamk_f32 v12, v7, 0x40b41a43, v9
	v_fma_f32 v10, 0x3fb8aa3b, v14, -v5
	v_rndne_f32_e32 v11, v5
	v_fmaak_f32 v4, v6, v4, 0x3b05de51
	s_wait_alu 0xfffe
	v_fmaak_f32 v9, s2, v6, 0x2ea93476
	s_mov_b32 s2, 0x45ebf86d
	v_dual_fmac_f32 v10, 0x32a5705f, v14 :: v_dual_sub_f32 v5, v5, v11
	v_fmac_f32_e32 v12, v6, v4
	s_wait_alu 0xfffe
	v_fmaak_f32 v4, s2, v8, 0x3f21daf4
	v_dual_fmaak_f32 v9, v6, v9, 0xb53a891f :: v_dual_add_nc_u32 v2, s0, v2
	v_cmp_ngt_f32_e32 vcc_lo, 0xc2ce8ed0, v20
	v_dual_add_f32 v10, v5, v10 :: v_dual_mul_f32 v13, 0x3fb8aa3b, v12
	s_delay_alu instid0(VALU_DEP_4) | instskip(NEXT) | instid1(VALU_DEP_4)
	v_fmamk_f32 v15, v7, 0x40905c8c, v4
	v_fmaak_f32 v9, v6, v9, 0x3b9383d3
	v_lshlrev_b64_e32 v[4:5], 2, v[2:3]
	s_wait_alu 0xfffd
	v_cndmask_b32_e32 v1, 0, v1, vcc_lo
	v_cmp_nlt_f32_e32 vcc_lo, 0x42b17218, v20
	v_exp_f32_e32 v10, v10
	v_fma_f32 v16, 0x3fb8aa3b, v12, -v13
	v_rndne_f32_e32 v17, v13
	v_fmac_f32_e32 v15, v6, v9
	s_wait_alu 0xfffd
	v_cndmask_b32_e32 v1, 0x7f800000, v1, vcc_lo
	v_add_co_u32 v4, vcc_lo, s6, v4
	s_wait_alu 0xfffd
	v_add_co_ci_u32_e64 v5, null, s7, v5, vcc_lo
	v_cvt_i32_f32_e32 v9, v11
	v_dual_fmac_f32 v16, 0x32a5705f, v12 :: v_dual_sub_f32 v11, v13, v17
	v_mul_f32_e32 v13, 0x3fb8aa3b, v15
	global_store_b32 v[4:5], v1, off
	v_ldexp_f32 v1, v10, v9
	v_add_nc_u32_e32 v2, s0, v2
	v_add_f32_e32 v4, v11, v16
	v_fma_f32 v9, 0x3fb8aa3b, v15, -v13
	v_rndne_f32_e32 v11, v13
	v_cmp_ngt_f32_e32 vcc_lo, 0xc2ce8ed0, v14
	s_mov_b32 s2, 0xa69ccc6e
	v_exp_f32_e32 v10, v4
	v_fmac_f32_e32 v9, 0x32a5705f, v15
	v_sub_f32_e32 v13, v13, v11
	v_lshlrev_b64_e32 v[4:5], 2, v[2:3]
	s_wait_alu 0xfffd
	v_cndmask_b32_e32 v1, 0, v1, vcc_lo
	v_cmp_nlt_f32_e32 vcc_lo, 0x42b17218, v14
	v_cvt_i32_f32_e32 v14, v17
	s_wait_alu 0xfffe
	v_dual_add_f32 v9, v13, v9 :: v_dual_fmaak_f32 v16, s2, v6, 0x2e152da0
	v_add_nc_u32_e32 v2, s0, v2
	s_wait_alu 0xfffd
	v_cndmask_b32_e32 v1, 0x7f800000, v1, vcc_lo
	v_add_co_u32 v4, vcc_lo, s6, v4
	s_wait_alu 0xfffd
	v_add_co_ci_u32_e64 v5, null, s7, v5, vcc_lo
	v_ldexp_f32 v10, v10, v14
	v_exp_f32_e32 v13, v9
	v_cmp_ngt_f32_e32 vcc_lo, 0xc2ce8ed0, v12
	s_mov_b32 s2, 0xc3f52930
	v_cvt_i32_f32_e32 v11, v11
	s_wait_alu 0xfffe
	v_fmaak_f32 v17, s2, v8, 0xc0a106dd
	v_fmaak_f32 v16, v6, v16, 0xb4f57ed0
	s_wait_alu 0xfffd
	v_cndmask_b32_e32 v14, 0, v10, vcc_lo
	v_cmp_nlt_f32_e32 vcc_lo, 0x42b17218, v12
	v_lshlrev_b64_e32 v[9:10], 2, v[2:3]
	s_mov_b32 s2, 0xa713a9dd
	v_ldexp_f32 v11, v13, v11
	v_fmamk_f32 v13, v7, 0x40bf38b0, v17
	s_wait_alu 0xfffd
	v_cndmask_b32_e32 v12, 0x7f800000, v14, vcc_lo
	v_fmaak_f32 v14, v6, v16, 0x3b85362c
	v_add_co_u32 v9, vcc_lo, s6, v9
	s_wait_alu 0xfffd
	v_add_co_ci_u32_e64 v10, null, s7, v10, vcc_lo
	s_delay_alu instid0(VALU_DEP_3)
	v_fmac_f32_e32 v13, v6, v14
	v_cmp_ngt_f32_e32 vcc_lo, 0xc2ce8ed0, v15
	s_clause 0x1
	global_store_b32 v[4:5], v1, off
	global_store_b32 v[9:10], v12, off
	v_add_nc_u32_e32 v2, s0, v2
	s_wait_alu 0xfffe
	v_fmaak_f32 v4, s2, v6, 0x2e7a9672
	v_mul_f32_e32 v1, 0x3fb8aa3b, v13
	s_wait_alu 0xfffd
	v_cndmask_b32_e32 v11, 0, v11, vcc_lo
	v_cmp_nlt_f32_e32 vcc_lo, 0x42b17218, v15
	s_mov_b32 s2, 0x46b0823e
	v_fmaak_f32 v14, v6, v4, 0xb53d1503
	v_fma_f32 v10, 0x3fb8aa3b, v13, -v1
	v_lshlrev_b64_e32 v[4:5], 2, v[2:3]
	s_wait_alu 0xfffd
	v_cndmask_b32_e32 v9, 0x7f800000, v11, vcc_lo
	v_rndne_f32_e32 v11, v1
	s_wait_alu 0xfffe
	v_fmaak_f32 v12, s2, v8, 0xc05ec54b
	v_fmac_f32_e32 v10, 0x32a5705f, v13
	s_mov_b32 s2, 0xa7a2c8fd
	v_add_co_u32 v4, vcc_lo, s6, v4
	s_delay_alu instid0(VALU_DEP_3) | instskip(SKIP_3) | instid1(VALU_DEP_3)
	v_dual_sub_f32 v1, v1, v11 :: v_dual_fmamk_f32 v12, v7, 0x40acee7a, v12
	v_fmaak_f32 v14, v6, v14, 0x3bc01213
	s_wait_alu 0xfffd
	v_add_co_ci_u32_e64 v5, null, s7, v5, vcc_lo
	v_add_f32_e32 v1, v1, v10
	s_wait_alu 0xfffe
	v_fmaak_f32 v10, s2, v6, 0x2ecb0ece
	s_mov_b32 s2, 0xc68894e6
	v_fmac_f32_e32 v12, v6, v14
	global_store_b32 v[4:5], v9, off
	s_wait_alu 0xfffe
	v_fmaak_f32 v4, s2, v8, 0xc133e388
	v_fmaak_f32 v5, v6, v10, 0xb57e0967
	v_cvt_i32_f32_e32 v10, v11
	v_mul_f32_e32 v9, 0x3fb8aa3b, v12
	s_mov_b32 s2, 0xa707b11a
	v_fmamk_f32 v11, v7, 0x40d00674, v4
	v_fmaak_f32 v4, v6, v5, 0x3beab247
	v_exp_f32_e32 v1, v1
	v_fma_f32 v5, 0x3fb8aa3b, v12, -v9
	s_wait_alu 0xfffe
	v_fmaak_f32 v14, s2, v6, 0x2e842965
	v_rndne_f32_e32 v15, v9
	v_fmac_f32_e32 v11, v6, v4
	s_mov_b32 s2, 0x4466e480
	v_fmac_f32_e32 v5, 0x32a5705f, v12
	s_wait_alu 0xfffe
	v_fmaak_f32 v4, s2, v8, 0xc155037b
	v_dual_fmaak_f32 v14, v6, v14, 0xb55d7469 :: v_dual_sub_f32 v9, v9, v15
	v_mul_f32_e32 v16, 0x3fb8aa3b, v11
	v_ldexp_f32 v1, v1, v10
	s_delay_alu instid0(VALU_DEP_4) | instskip(NEXT) | instid1(VALU_DEP_4)
	v_fmamk_f32 v18, v7, 0x40d76ea6, v4
	v_dual_fmaak_f32 v4, v6, v14, 0x3bf4421c :: v_dual_add_f32 v5, v9, v5
	s_delay_alu instid0(VALU_DEP_4) | instskip(SKIP_2) | instid1(VALU_DEP_4)
	v_fma_f32 v9, 0x3fb8aa3b, v11, -v16
	v_rndne_f32_e32 v10, v16
	v_cmp_ngt_f32_e32 vcc_lo, 0xc2ce8ed0, v13
	v_fmac_f32_e32 v18, v6, v4
	s_delay_alu instid0(VALU_DEP_4) | instskip(SKIP_4) | instid1(VALU_DEP_2)
	v_dual_fmac_f32 v9, 0x32a5705f, v11 :: v_dual_add_nc_u32 v2, s0, v2
	s_wait_alu 0xfffd
	v_dual_sub_f32 v4, v16, v10 :: v_dual_cndmask_b32 v1, 0, v1
	v_exp_f32_e32 v14, v5
	v_cmp_nlt_f32_e32 vcc_lo, 0x42b17218, v13
	v_dual_mul_f32 v16, 0x3fb8aa3b, v18 :: v_dual_add_f32 v9, v4, v9
	v_lshlrev_b64_e32 v[4:5], 2, v[2:3]
	v_cvt_i32_f32_e32 v10, v10
	s_wait_alu 0xfffd
	v_cndmask_b32_e32 v19, 0x7f800000, v1, vcc_lo
	v_cvt_i32_f32_e32 v1, v15
	v_fma_f32 v13, 0x3fb8aa3b, v18, -v16
	v_rndne_f32_e32 v15, v16
	v_add_co_u32 v4, vcc_lo, s6, v4
	v_exp_f32_e32 v9, v9
	v_ldexp_f32 v1, v14, v1
	s_wait_alu 0xfffd
	v_add_co_ci_u32_e64 v5, null, s7, v5, vcc_lo
	v_cmp_ngt_f32_e32 vcc_lo, 0xc2ce8ed0, v12
	v_dual_fmac_f32 v13, 0x32a5705f, v18 :: v_dual_sub_f32 v14, v16, v15
	v_add_nc_u32_e32 v2, s0, v2
	s_mov_b32 s2, 0xc5f941ca
	s_wait_alu 0xfffd
	v_cndmask_b32_e32 v1, 0, v1, vcc_lo
	v_cmp_nlt_f32_e32 vcc_lo, 0x42b17218, v12
	v_add_f32_e32 v13, v14, v13
	v_ldexp_f32 v14, v9, v10
	v_lshlrev_b64_e32 v[9:10], 2, v[2:3]
	v_add_nc_u32_e32 v2, s0, v2
	s_wait_alu 0xfffd
	v_cndmask_b32_e32 v20, 0x7f800000, v1, vcc_lo
	v_cmp_ngt_f32_e32 vcc_lo, 0xc2ce8ed0, v11
	v_exp_f32_e32 v1, v13
	v_cvt_i32_f32_e32 v13, v15
	s_wait_alu 0xfffd
	v_cndmask_b32_e32 v12, 0, v14, vcc_lo
	v_add_co_u32 v14, vcc_lo, s6, v9
	s_wait_alu 0xfffd
	v_add_co_ci_u32_e64 v15, null, s7, v10, vcc_lo
	v_cmp_nlt_f32_e32 vcc_lo, 0x42b17218, v11
	v_lshlrev_b64_e32 v[9:10], 2, v[2:3]
	s_delay_alu instid0(TRANS32_DEP_1)
	v_ldexp_f32 v1, v1, v13
	v_dual_mov_b32 v13, 0xb56bddc9 :: v_dual_add_nc_u32 v2, s0, v2
	s_wait_alu 0xfffd
	v_cndmask_b32_e32 v21, 0x7f800000, v12, vcc_lo
	v_cmp_ngt_f32_e32 vcc_lo, 0xc2ce8ed0, v18
	s_wait_alu 0xfffd
	v_dual_mov_b32 v12, 0x3c035476 :: v_dual_cndmask_b32 v11, 0, v1
	v_add_co_u32 v16, vcc_lo, s6, v9
	v_lshlrev_b64_e32 v[1:2], 2, v[2:3]
	s_wait_alu 0xfffd
	v_add_co_ci_u32_e64 v17, null, s7, v10, vcc_lo
	v_cmp_nlt_f32_e32 vcc_lo, 0x42b17218, v18
	s_wait_alu 0xfffe
	v_fmaak_f32 v10, s2, v8, 0xc1783ea8
	s_mov_b32 s2, 0xa70c0488
	s_wait_alu 0xfffd
	v_cndmask_b32_e32 v3, 0x7f800000, v11, vcc_lo
	v_add_co_u32 v8, vcc_lo, s6, v1
	v_fmamk_f32 v10, v7, 0x40f6b641, v10
	s_wait_alu 0xfffe
	v_fmaak_f32 v11, s2, v6, 0x2e8b111f
	v_mov_b32_e32 v1, s0
	s_wait_alu 0xfffd
	v_add_co_ci_u32_e64 v9, null, s7, v2, vcc_lo
	s_clause 0x3
	global_store_b32 v[4:5], v19, off
	global_store_b32 v[14:15], v20, off
	;; [unrolled: 1-line block ×4, first 2 shown]
.LBB1_4:
	s_or_b32 exec_lo, exec_lo, s1
	v_fmac_f32_e32 v13, v6, v11
	v_mad_co_u64_u32 v[0:1], null, v1, 30, v[0:1]
	s_delay_alu instid0(VALU_DEP_2) | instskip(NEXT) | instid1(VALU_DEP_1)
	v_dual_mov_b32 v1, 0 :: v_dual_fmac_f32 v12, v6, v13
	v_lshlrev_b64_e32 v[0:1], 2, v[0:1]
	s_delay_alu instid0(VALU_DEP_2) | instskip(NEXT) | instid1(VALU_DEP_1)
	v_fmac_f32_e32 v10, v6, v12
	v_mul_f32_e32 v2, 0x3fb8aa3b, v10
	v_cmp_ngt_f32_e32 vcc_lo, 0xc2ce8ed0, v10
	s_delay_alu instid0(VALU_DEP_2) | instskip(SKIP_1) | instid1(VALU_DEP_2)
	v_fma_f32 v3, 0x3fb8aa3b, v10, -v2
	v_rndne_f32_e32 v4, v2
	v_fmamk_f32 v3, v10, 0x32a5705f, v3
	s_delay_alu instid0(VALU_DEP_2) | instskip(NEXT) | instid1(VALU_DEP_1)
	v_sub_f32_e32 v2, v2, v4
	v_add_f32_e32 v2, v2, v3
	v_cvt_i32_f32_e32 v3, v4
	s_delay_alu instid0(VALU_DEP_2) | instskip(NEXT) | instid1(TRANS32_DEP_1)
	v_exp_f32_e32 v2, v2
	v_ldexp_f32 v2, v2, v3
	s_wait_alu 0xfffd
	s_delay_alu instid0(VALU_DEP_1) | instskip(SKIP_2) | instid1(VALU_DEP_2)
	v_cndmask_b32_e32 v2, 0, v2, vcc_lo
	v_cmp_nlt_f32_e32 vcc_lo, 0x42b17218, v10
	s_wait_alu 0xfffd
	v_cndmask_b32_e32 v2, 0x7f800000, v2, vcc_lo
	v_add_co_u32 v0, vcc_lo, s6, v0
	s_wait_alu 0xfffd
	v_add_co_ci_u32_e64 v1, null, s7, v1, vcc_lo
	global_store_b32 v[0:1], v2, off
	s_endpgm
	.section	.rodata,"a",@progbits
	.p2align	6, 0x0
	.amdhsa_kernel _Z12rdsmh_kernelIfEvPKT_PS0_S0_
		.amdhsa_group_segment_fixed_size 0
		.amdhsa_private_segment_fixed_size 0
		.amdhsa_kernarg_size 280
		.amdhsa_user_sgpr_count 2
		.amdhsa_user_sgpr_dispatch_ptr 0
		.amdhsa_user_sgpr_queue_ptr 0
		.amdhsa_user_sgpr_kernarg_segment_ptr 1
		.amdhsa_user_sgpr_dispatch_id 0
		.amdhsa_user_sgpr_private_segment_size 0
		.amdhsa_wavefront_size32 1
		.amdhsa_uses_dynamic_stack 0
		.amdhsa_enable_private_segment 0
		.amdhsa_system_sgpr_workgroup_id_x 1
		.amdhsa_system_sgpr_workgroup_id_y 0
		.amdhsa_system_sgpr_workgroup_id_z 0
		.amdhsa_system_sgpr_workgroup_info 0
		.amdhsa_system_vgpr_workitem_id 0
		.amdhsa_next_free_vgpr 22
		.amdhsa_next_free_sgpr 8
		.amdhsa_reserve_vcc 1
		.amdhsa_float_round_mode_32 0
		.amdhsa_float_round_mode_16_64 0
		.amdhsa_float_denorm_mode_32 3
		.amdhsa_float_denorm_mode_16_64 3
		.amdhsa_fp16_overflow 0
		.amdhsa_workgroup_processor_mode 1
		.amdhsa_memory_ordered 1
		.amdhsa_forward_progress 1
		.amdhsa_inst_pref_size 104
		.amdhsa_round_robin_scheduling 0
		.amdhsa_exception_fp_ieee_invalid_op 0
		.amdhsa_exception_fp_denorm_src 0
		.amdhsa_exception_fp_ieee_div_zero 0
		.amdhsa_exception_fp_ieee_overflow 0
		.amdhsa_exception_fp_ieee_underflow 0
		.amdhsa_exception_fp_ieee_inexact 0
		.amdhsa_exception_int_div_zero 0
	.end_amdhsa_kernel
	.section	.text._Z12rdsmh_kernelIfEvPKT_PS0_S0_,"axG",@progbits,_Z12rdsmh_kernelIfEvPKT_PS0_S0_,comdat
.Lfunc_end1:
	.size	_Z12rdsmh_kernelIfEvPKT_PS0_S0_, .Lfunc_end1-_Z12rdsmh_kernelIfEvPKT_PS0_S0_
                                        ; -- End function
	.set _Z12rdsmh_kernelIfEvPKT_PS0_S0_.num_vgpr, 22
	.set _Z12rdsmh_kernelIfEvPKT_PS0_S0_.num_agpr, 0
	.set _Z12rdsmh_kernelIfEvPKT_PS0_S0_.numbered_sgpr, 8
	.set _Z12rdsmh_kernelIfEvPKT_PS0_S0_.num_named_barrier, 0
	.set _Z12rdsmh_kernelIfEvPKT_PS0_S0_.private_seg_size, 0
	.set _Z12rdsmh_kernelIfEvPKT_PS0_S0_.uses_vcc, 1
	.set _Z12rdsmh_kernelIfEvPKT_PS0_S0_.uses_flat_scratch, 0
	.set _Z12rdsmh_kernelIfEvPKT_PS0_S0_.has_dyn_sized_stack, 0
	.set _Z12rdsmh_kernelIfEvPKT_PS0_S0_.has_recursion, 0
	.set _Z12rdsmh_kernelIfEvPKT_PS0_S0_.has_indirect_call, 0
	.section	.AMDGPU.csdata,"",@progbits
; Kernel info:
; codeLenInByte = 13260
; TotalNumSgprs: 10
; NumVgprs: 22
; ScratchSize: 0
; MemoryBound: 0
; FloatMode: 240
; IeeeMode: 1
; LDSByteSize: 0 bytes/workgroup (compile time only)
; SGPRBlocks: 0
; VGPRBlocks: 2
; NumSGPRsForWavesPerEU: 10
; NumVGPRsForWavesPerEU: 22
; Occupancy: 16
; WaveLimiterHint : 0
; COMPUTE_PGM_RSRC2:SCRATCH_EN: 0
; COMPUTE_PGM_RSRC2:USER_SGPR: 2
; COMPUTE_PGM_RSRC2:TRAP_HANDLER: 0
; COMPUTE_PGM_RSRC2:TGID_X_EN: 1
; COMPUTE_PGM_RSRC2:TGID_Y_EN: 0
; COMPUTE_PGM_RSRC2:TGID_Z_EN: 0
; COMPUTE_PGM_RSRC2:TIDIG_COMP_CNT: 0
	.section	.text._Z7gr_baseIfEvPKT_S2_S2_PS0_S0_S0_,"axG",@progbits,_Z7gr_baseIfEvPKT_S2_S2_PS0_S0_S0_,comdat
	.protected	_Z7gr_baseIfEvPKT_S2_S2_PS0_S0_S0_ ; -- Begin function _Z7gr_baseIfEvPKT_S2_S2_PS0_S0_S0_
	.globl	_Z7gr_baseIfEvPKT_S2_S2_PS0_S0_S0_
	.p2align	8
	.type	_Z7gr_baseIfEvPKT_S2_S2_PS0_S0_S0_,@function
_Z7gr_baseIfEvPKT_S2_S2_PS0_S0_S0_:     ; @_Z7gr_baseIfEvPKT_S2_S2_PS0_S0_S0_
; %bb.0:
	s_clause 0x1
	s_load_b32 s2, s[0:1], 0x34
	s_load_b256 s[4:11], s[0:1], 0x0
	s_wait_kmcnt 0x0
	s_and_b32 s3, s2, 0xffff
	s_load_b96 s[0:2], s[0:1], 0x20
	v_mad_co_u64_u32 v[0:1], null, ttmp9, s3, v[0:1]
	s_wait_kmcnt 0x0
	s_mul_i32 s2, s2, s3
	v_mov_b32_e32 v1, 0
	s_delay_alu instid0(VALU_DEP_1) | instskip(SKIP_2) | instid1(VALU_DEP_2)
	v_lshlrev_b64_e32 v[2:3], 2, v[0:1]
	s_wait_alu 0xfffe
	v_add_nc_u32_e32 v0, s2, v0
	v_add_co_u32 v4, vcc_lo, s8, v2
	s_delay_alu instid0(VALU_DEP_1)
	v_add_co_ci_u32_e64 v5, null, s9, v3, vcc_lo
	v_add_co_u32 v6, vcc_lo, s6, v2
	s_wait_alu 0xfffd
	v_add_co_ci_u32_e64 v7, null, s7, v3, vcc_lo
	global_load_b32 v17, v[4:5], off
	v_lshlrev_b64_e32 v[4:5], 2, v[0:1]
	v_add_co_u32 v8, vcc_lo, s4, v2
	s_wait_alu 0xfffd
	v_add_co_ci_u32_e64 v9, null, s5, v3, vcc_lo
	v_add_co_u32 v2, vcc_lo, s10, v2
	s_wait_alu 0xfffd
	v_add_co_ci_u32_e64 v3, null, s11, v3, vcc_lo
	;; [unrolled: 3-line block ×3, first 2 shown]
	global_load_b32 v18, v[6:7], off
	global_load_b32 v16, v[8:9], off
	v_add_nc_u32_e32 v0, s2, v0
	v_add_co_u32 v4, vcc_lo, s10, v4
	s_wait_alu 0xfffd
	v_add_co_ci_u32_e64 v5, null, s11, v5, vcc_lo
	s_delay_alu instid0(VALU_DEP_3) | instskip(SKIP_1) | instid1(VALU_DEP_2)
	v_lshlrev_b64_e32 v[6:7], 2, v[0:1]
	v_add_nc_u32_e32 v0, s2, v0
	v_add_co_u32 v8, vcc_lo, s8, v6
	s_wait_alu 0xfffd
	s_delay_alu instid0(VALU_DEP_3)
	v_add_co_ci_u32_e64 v9, null, s9, v7, vcc_lo
	v_add_co_u32 v6, vcc_lo, s10, v6
	s_wait_alu 0xfffd
	v_add_co_ci_u32_e64 v7, null, s11, v7, vcc_lo
	s_wait_loadcnt 0x2
	v_mul_f32_e32 v12, 0x3efdf9cf, v17
	v_fma_f32 v17, 0x3efdf9cf, v17, 0
	global_store_b32 v[2:3], v12, off
	global_load_b32 v19, v[10:11], off
	s_wait_loadcnt 0x2
	v_mul_f32_e32 v18, s0, v18
	s_wait_loadcnt 0x1
	v_mul_f32_e32 v16, s1, v16
	;; [unrolled: 2-line block ×3, first 2 shown]
	v_fmac_f32_e32 v17, 0x3f7df9cf, v19
	global_store_b32 v[4:5], v10, off
	global_load_b32 v20, v[8:9], off
	v_lshlrev_b64_e32 v[8:9], 2, v[0:1]
	v_add_nc_u32_e32 v0, s2, v0
	s_delay_alu instid0(VALU_DEP_2) | instskip(SKIP_1) | instid1(VALU_DEP_3)
	v_add_co_u32 v10, vcc_lo, s8, v8
	s_wait_alu 0xfffd
	v_add_co_ci_u32_e64 v11, null, s9, v9, vcc_lo
	s_wait_loadcnt 0x0
	v_mul_f32_e32 v12, 0x3d80013b, v20
	v_fmac_f32_e32 v17, 0x3d80013b, v20
	global_store_b32 v[6:7], v12, off
	global_load_b32 v21, v[10:11], off
	v_lshlrev_b64_e32 v[10:11], 2, v[0:1]
	v_add_co_u32 v6, vcc_lo, s10, v8
	s_wait_alu 0xfffd
	v_add_co_ci_u32_e64 v7, null, s11, v9, vcc_lo
	v_add_nc_u32_e32 v0, s2, v0
	s_delay_alu instid0(VALU_DEP_4)
	v_add_co_u32 v8, vcc_lo, s8, v10
	s_wait_alu 0xfffd
	v_add_co_ci_u32_e64 v9, null, s9, v11, vcc_lo
	v_add_co_u32 v10, vcc_lo, s10, v10
	s_wait_alu 0xfffd
	v_add_co_ci_u32_e64 v11, null, s11, v11, vcc_lo
	s_wait_loadcnt 0x0
	v_mul_f32_e32 v12, 0x3d00013a, v21
	v_fmac_f32_e32 v17, 0x3d00013a, v21
	global_store_b32 v[6:7], v12, off
	global_load_b32 v22, v[8:9], off
	v_lshlrev_b64_e32 v[8:9], 2, v[0:1]
	v_add_nc_u32_e32 v0, s2, v0
	s_delay_alu instid0(VALU_DEP_2) | instskip(SKIP_1) | instid1(VALU_DEP_3)
	v_add_co_u32 v12, vcc_lo, s8, v8
	s_wait_alu 0xfffd
	v_add_co_ci_u32_e64 v13, null, s9, v9, vcc_lo
	v_add_co_u32 v8, vcc_lo, s10, v8
	s_wait_alu 0xfffd
	v_add_co_ci_u32_e64 v9, null, s11, v9, vcc_lo
	s_wait_loadcnt 0x0
	v_mul_f32_e32 v14, 0x3d70d636, v22
	v_fmac_f32_e32 v17, 0x3d70d636, v22
	global_store_b32 v[10:11], v14, off
	global_load_b32 v47, v[12:13], off
	v_lshlrev_b64_e32 v[10:11], 2, v[0:1]
	v_add_nc_u32_e32 v0, s2, v0
	s_delay_alu instid0(VALU_DEP_2) | instskip(SKIP_1) | instid1(VALU_DEP_3)
	;; [unrolled: 14-line block ×5, first 2 shown]
	v_add_co_u32 v25, vcc_lo, s8, v23
	s_wait_alu 0xfffd
	v_add_co_ci_u32_e64 v26, null, s9, v24, vcc_lo
	s_wait_loadcnt 0x0
	v_mul_f32_e32 v27, 0x3d883707, v50
	v_fmac_f32_e32 v17, 0x3d883707, v50
	global_store_b32 v[14:15], v27, off
	global_load_b32 v51, v[25:26], off
	v_lshlrev_b64_e32 v[25:26], 2, v[0:1]
	v_add_co_u32 v14, vcc_lo, s10, v23
	s_wait_alu 0xfffd
	v_add_co_ci_u32_e64 v15, null, s11, v24, vcc_lo
	v_add_nc_u32_e32 v0, s2, v0
	s_delay_alu instid0(VALU_DEP_4)
	v_add_co_u32 v23, vcc_lo, s8, v25
	s_wait_alu 0xfffd
	v_add_co_ci_u32_e64 v24, null, s9, v26, vcc_lo
	v_add_co_u32 v25, vcc_lo, s10, v25
	s_wait_alu 0xfffd
	v_add_co_ci_u32_e64 v26, null, s11, v26, vcc_lo
	s_wait_loadcnt 0x0
	v_mul_f32_e32 v27, 0x3d7f5039, v51
	v_fmac_f32_e32 v17, 0x3d7f5039, v51
	global_store_b32 v[14:15], v27, off
	global_load_b32 v52, v[23:24], off
	v_lshlrev_b64_e32 v[23:24], 2, v[0:1]
	v_add_nc_u32_e32 v0, s2, v0
	s_delay_alu instid0(VALU_DEP_2) | instskip(SKIP_1) | instid1(VALU_DEP_3)
	v_add_co_u32 v27, vcc_lo, s8, v23
	s_wait_alu 0xfffd
	v_add_co_ci_u32_e64 v28, null, s9, v24, vcc_lo
	v_add_co_u32 v23, vcc_lo, s10, v23
	s_wait_alu 0xfffd
	v_add_co_ci_u32_e64 v24, null, s11, v24, vcc_lo
	s_wait_loadcnt 0x0
	v_mul_f32_e32 v29, 0x3d123b0a, v52
	v_fmac_f32_e32 v17, 0x3d123b0a, v52
	global_store_b32 v[25:26], v29, off
	global_load_b32 v53, v[27:28], off
	v_lshlrev_b64_e32 v[27:28], 2, v[0:1]
	v_add_nc_u32_e32 v0, s2, v0
	s_delay_alu instid0(VALU_DEP_2) | instskip(SKIP_1) | instid1(VALU_DEP_3)
	;; [unrolled: 14-line block ×10, first 2 shown]
	v_add_co_u32 v43, vcc_lo, s8, v41
	s_wait_alu 0xfffd
	v_add_co_ci_u32_e64 v44, null, s9, v42, vcc_lo
	v_add_co_u32 v41, vcc_lo, s10, v41
	s_wait_alu 0xfffd
	v_add_co_ci_u32_e64 v42, null, s11, v42, vcc_lo
	s_wait_loadcnt 0x0
	v_mul_f32_e32 v45, 0x3cc772c4, v61
	v_fmac_f32_e32 v17, 0x3cc772c4, v61
	global_store_b32 v[39:40], v45, off
	global_load_b32 v62, v[43:44], off
	v_lshlrev_b64_e32 v[43:44], 2, v[0:1]
	s_delay_alu instid0(VALU_DEP_1) | instskip(SKIP_1) | instid1(VALU_DEP_2)
	v_add_co_u32 v45, vcc_lo, s8, v43
	s_wait_alu 0xfffd
	v_add_co_ci_u32_e64 v46, null, s9, v44, vcc_lo
	v_add_co_u32 v43, vcc_lo, s10, v43
	s_wait_alu 0xfffd
	v_add_co_ci_u32_e64 v44, null, s11, v44, vcc_lo
	s_wait_loadcnt 0x0
	v_mul_f32_e32 v63, 0x3cc2abc2, v62
	v_fmac_f32_e32 v17, 0x3cc2abc2, v62
	global_store_b32 v[41:42], v63, off
	global_load_b32 v45, v[45:46], off
	s_wait_loadcnt 0x0
	v_mul_f32_e32 v46, 0x3d12373b, v45
	v_fmac_f32_e32 v17, 0x3d12373b, v45
	global_store_b32 v[43:44], v46, off
	global_load_b32 v46, v[2:3], off
	v_mul_f32_e32 v17, v18, v17
	s_delay_alu instid0(VALU_DEP_1) | instskip(NEXT) | instid1(VALU_DEP_1)
	v_mul_f32_e32 v17, 0x4c9e9632, v17
	v_div_scale_f32 v18, null, v17, v17, 1.0
	v_div_scale_f32 v21, vcc_lo, 1.0, v17, 1.0
	s_delay_alu instid0(VALU_DEP_2) | instskip(NEXT) | instid1(TRANS32_DEP_1)
	v_rcp_f32_e32 v19, v18
	v_fma_f32 v20, -v18, v19, 1.0
	s_delay_alu instid0(VALU_DEP_1) | instskip(NEXT) | instid1(VALU_DEP_1)
	v_fmac_f32_e32 v19, v20, v19
	v_mul_f32_e32 v20, v21, v19
	s_delay_alu instid0(VALU_DEP_1) | instskip(NEXT) | instid1(VALU_DEP_1)
	v_fma_f32 v22, -v18, v20, v21
	v_fmac_f32_e32 v20, v22, v19
	s_delay_alu instid0(VALU_DEP_1) | instskip(SKIP_1) | instid1(VALU_DEP_1)
	v_fma_f32 v18, -v18, v20, v21
	s_wait_alu 0xfffd
	v_div_fmas_f32 v18, v18, v19, v20
	s_delay_alu instid0(VALU_DEP_1) | instskip(SKIP_1) | instid1(VALU_DEP_1)
	v_div_fixup_f32 v17, v18, v17, 1.0
	s_wait_loadcnt 0x0
	v_dual_mul_f32 v19, v16, v17 :: v_dual_max_num_f32 v18, v46, v46
	s_delay_alu instid0(VALU_DEP_1) | instskip(NEXT) | instid1(VALU_DEP_1)
	v_max_num_f32_e32 v16, 0x800000, v18
	v_mul_f32_e32 v16, v19, v16
	global_store_b32 v[2:3], v16, off
	global_load_b32 v16, v[4:5], off
	v_mad_co_u64_u32 v[2:3], null, 0xffffffed, s2, v[0:1]
	s_wait_loadcnt 0x0
	v_dual_mov_b32 v3, v1 :: v_dual_max_num_f32 v0, v16, v16
	s_delay_alu instid0(VALU_DEP_1) | instskip(NEXT) | instid1(VALU_DEP_2)
	v_lshlrev_b64_e32 v[16:17], 2, v[2:3]
	v_max_num_f32_e32 v0, 0x800000, v0
	s_delay_alu instid0(VALU_DEP_2) | instskip(SKIP_1) | instid1(VALU_DEP_3)
	v_add_co_u32 v16, vcc_lo, s10, v16
	s_wait_alu 0xfffd
	v_add_co_ci_u32_e64 v17, null, s11, v17, vcc_lo
	s_delay_alu instid0(VALU_DEP_3) | instskip(SKIP_4) | instid1(VALU_DEP_1)
	v_mul_f32_e32 v0, v19, v0
	global_store_b32 v[4:5], v0, off
	global_load_b32 v0, v[16:17], off
	s_wait_loadcnt 0x0
	v_max_num_f32_e32 v0, v0, v0
	v_max_num_f32_e32 v0, 0x800000, v0
	s_delay_alu instid0(VALU_DEP_1)
	v_mul_f32_e32 v0, v19, v0
	global_store_b32 v[16:17], v0, off
	global_load_b32 v0, v[6:7], off
	s_wait_loadcnt 0x0
	v_max_num_f32_e32 v3, v0, v0
	v_lshl_add_u32 v0, s2, 1, v2
	s_delay_alu instid0(VALU_DEP_2) | instskip(NEXT) | instid1(VALU_DEP_2)
	v_max_num_f32_e32 v4, 0x800000, v3
	v_lshlrev_b64_e32 v[2:3], 2, v[0:1]
	v_lshl_add_u32 v0, s2, 2, v0
	s_delay_alu instid0(VALU_DEP_3) | instskip(NEXT) | instid1(VALU_DEP_3)
	v_mul_f32_e32 v4, v19, v4
	v_add_co_u32 v2, vcc_lo, s10, v2
	s_wait_alu 0xfffd
	s_delay_alu instid0(VALU_DEP_4) | instskip(SKIP_4) | instid1(VALU_DEP_1)
	v_add_co_ci_u32_e64 v3, null, s11, v3, vcc_lo
	global_store_b32 v[6:7], v4, off
	global_load_b32 v4, v[2:3], off
	s_wait_loadcnt 0x0
	v_max_num_f32_e32 v4, v4, v4
	v_max_num_f32_e32 v4, 0x800000, v4
	s_delay_alu instid0(VALU_DEP_1) | instskip(SKIP_4) | instid1(VALU_DEP_1)
	v_mul_f32_e32 v4, v19, v4
	global_store_b32 v[2:3], v4, off
	global_load_b32 v2, v[8:9], off
	s_wait_loadcnt 0x0
	v_max_num_f32_e32 v2, v2, v2
	v_max_num_f32_e32 v2, 0x800000, v2
	s_delay_alu instid0(VALU_DEP_1) | instskip(SKIP_4) | instid1(VALU_DEP_1)
	v_mul_f32_e32 v2, v19, v2
	;; [unrolled: 7-line block ×3, first 2 shown]
	global_store_b32 v[10:11], v2, off
	global_load_b32 v2, v[12:13], off
	s_wait_loadcnt 0x0
	v_max_num_f32_e32 v2, v2, v2
	v_max_num_f32_e32 v4, 0x800000, v2
	v_lshlrev_b64_e32 v[2:3], 2, v[0:1]
	v_lshl_add_u32 v0, s2, 3, v0
	s_delay_alu instid0(VALU_DEP_3) | instskip(NEXT) | instid1(VALU_DEP_3)
	v_mul_f32_e32 v4, v19, v4
	v_add_co_u32 v2, vcc_lo, s10, v2
	s_wait_alu 0xfffd
	s_delay_alu instid0(VALU_DEP_4)
	v_add_co_ci_u32_e64 v3, null, s11, v3, vcc_lo
	global_store_b32 v[12:13], v4, off
	v_lshlrev_b64_e32 v[0:1], 2, v[0:1]
	global_load_b32 v4, v[2:3], off
	v_add_co_u32 v0, vcc_lo, s10, v0
	s_wait_alu 0xfffd
	v_add_co_ci_u32_e64 v1, null, s11, v1, vcc_lo
	s_wait_loadcnt 0x0
	v_max_num_f32_e32 v4, v4, v4
	s_delay_alu instid0(VALU_DEP_1) | instskip(NEXT) | instid1(VALU_DEP_1)
	v_max_num_f32_e32 v4, 0x800000, v4
	v_mul_f32_e32 v4, v19, v4
	global_store_b32 v[2:3], v4, off
	global_load_b32 v2, v[14:15], off
	s_wait_loadcnt 0x0
	v_max_num_f32_e32 v2, v2, v2
	s_delay_alu instid0(VALU_DEP_1) | instskip(NEXT) | instid1(VALU_DEP_1)
	v_max_num_f32_e32 v2, 0x800000, v2
	v_mul_f32_e32 v2, v19, v2
	global_store_b32 v[14:15], v2, off
	global_load_b32 v2, v[25:26], off
	;; [unrolled: 7-line block ×13, first 2 shown]
	s_wait_loadcnt 0x0
	v_max_num_f32_e32 v0, v0, v0
	s_delay_alu instid0(VALU_DEP_1) | instskip(NEXT) | instid1(VALU_DEP_1)
	v_max_num_f32_e32 v0, 0x800000, v0
	v_mul_f32_e32 v0, v19, v0
	global_store_b32 v[43:44], v0, off
	s_endpgm
	.section	.rodata,"a",@progbits
	.p2align	6, 0x0
	.amdhsa_kernel _Z7gr_baseIfEvPKT_S2_S2_PS0_S0_S0_
		.amdhsa_group_segment_fixed_size 0
		.amdhsa_private_segment_fixed_size 0
		.amdhsa_kernarg_size 296
		.amdhsa_user_sgpr_count 2
		.amdhsa_user_sgpr_dispatch_ptr 0
		.amdhsa_user_sgpr_queue_ptr 0
		.amdhsa_user_sgpr_kernarg_segment_ptr 1
		.amdhsa_user_sgpr_dispatch_id 0
		.amdhsa_user_sgpr_private_segment_size 0
		.amdhsa_wavefront_size32 1
		.amdhsa_uses_dynamic_stack 0
		.amdhsa_enable_private_segment 0
		.amdhsa_system_sgpr_workgroup_id_x 1
		.amdhsa_system_sgpr_workgroup_id_y 0
		.amdhsa_system_sgpr_workgroup_id_z 0
		.amdhsa_system_sgpr_workgroup_info 0
		.amdhsa_system_vgpr_workitem_id 0
		.amdhsa_next_free_vgpr 64
		.amdhsa_next_free_sgpr 12
		.amdhsa_reserve_vcc 1
		.amdhsa_float_round_mode_32 0
		.amdhsa_float_round_mode_16_64 0
		.amdhsa_float_denorm_mode_32 3
		.amdhsa_float_denorm_mode_16_64 3
		.amdhsa_fp16_overflow 0
		.amdhsa_workgroup_processor_mode 1
		.amdhsa_memory_ordered 1
		.amdhsa_forward_progress 1
		.amdhsa_inst_pref_size 29
		.amdhsa_round_robin_scheduling 0
		.amdhsa_exception_fp_ieee_invalid_op 0
		.amdhsa_exception_fp_denorm_src 0
		.amdhsa_exception_fp_ieee_div_zero 0
		.amdhsa_exception_fp_ieee_overflow 0
		.amdhsa_exception_fp_ieee_underflow 0
		.amdhsa_exception_fp_ieee_inexact 0
		.amdhsa_exception_int_div_zero 0
	.end_amdhsa_kernel
	.section	.text._Z7gr_baseIfEvPKT_S2_S2_PS0_S0_S0_,"axG",@progbits,_Z7gr_baseIfEvPKT_S2_S2_PS0_S0_S0_,comdat
.Lfunc_end2:
	.size	_Z7gr_baseIfEvPKT_S2_S2_PS0_S0_S0_, .Lfunc_end2-_Z7gr_baseIfEvPKT_S2_S2_PS0_S0_S0_
                                        ; -- End function
	.set _Z7gr_baseIfEvPKT_S2_S2_PS0_S0_S0_.num_vgpr, 64
	.set _Z7gr_baseIfEvPKT_S2_S2_PS0_S0_S0_.num_agpr, 0
	.set _Z7gr_baseIfEvPKT_S2_S2_PS0_S0_S0_.numbered_sgpr, 12
	.set _Z7gr_baseIfEvPKT_S2_S2_PS0_S0_S0_.num_named_barrier, 0
	.set _Z7gr_baseIfEvPKT_S2_S2_PS0_S0_S0_.private_seg_size, 0
	.set _Z7gr_baseIfEvPKT_S2_S2_PS0_S0_S0_.uses_vcc, 1
	.set _Z7gr_baseIfEvPKT_S2_S2_PS0_S0_S0_.uses_flat_scratch, 0
	.set _Z7gr_baseIfEvPKT_S2_S2_PS0_S0_S0_.has_dyn_sized_stack, 0
	.set _Z7gr_baseIfEvPKT_S2_S2_PS0_S0_S0_.has_recursion, 0
	.set _Z7gr_baseIfEvPKT_S2_S2_PS0_S0_S0_.has_indirect_call, 0
	.section	.AMDGPU.csdata,"",@progbits
; Kernel info:
; codeLenInByte = 3588
; TotalNumSgprs: 14
; NumVgprs: 64
; ScratchSize: 0
; MemoryBound: 0
; FloatMode: 240
; IeeeMode: 1
; LDSByteSize: 0 bytes/workgroup (compile time only)
; SGPRBlocks: 0
; VGPRBlocks: 7
; NumSGPRsForWavesPerEU: 14
; NumVGPRsForWavesPerEU: 64
; Occupancy: 16
; WaveLimiterHint : 0
; COMPUTE_PGM_RSRC2:SCRATCH_EN: 0
; COMPUTE_PGM_RSRC2:USER_SGPR: 2
; COMPUTE_PGM_RSRC2:TRAP_HANDLER: 0
; COMPUTE_PGM_RSRC2:TGID_X_EN: 1
; COMPUTE_PGM_RSRC2:TGID_Y_EN: 0
; COMPUTE_PGM_RSRC2:TGID_Z_EN: 0
; COMPUTE_PGM_RSRC2:TIDIG_COMP_CNT: 0
	.section	.text._Z12ratt2_kernelIfEvPKT_S2_PS0_S2_S0_,"axG",@progbits,_Z12ratt2_kernelIfEvPKT_S2_PS0_S2_S0_,comdat
	.protected	_Z12ratt2_kernelIfEvPKT_S2_PS0_S2_S0_ ; -- Begin function _Z12ratt2_kernelIfEvPKT_S2_PS0_S2_S0_
	.globl	_Z12ratt2_kernelIfEvPKT_S2_PS0_S2_S0_
	.p2align	8
	.type	_Z12ratt2_kernelIfEvPKT_S2_PS0_S2_S0_,@function
_Z12ratt2_kernelIfEvPKT_S2_PS0_S2_S0_:  ; @_Z12ratt2_kernelIfEvPKT_S2_PS0_S2_S0_
; %bb.0:
	s_clause 0x3
	s_load_b32 s2, s[0:1], 0x34
	s_load_b32 s3, s[0:1], 0x28
	s_load_b256 s[4:11], s[0:1], 0x0
	s_load_b32 s0, s[0:1], 0x20
	s_wait_kmcnt 0x0
	s_and_b32 s2, s2, 0xffff
	s_delay_alu instid0(SALU_CYCLE_1)
	v_mad_co_u64_u32 v[0:1], null, ttmp9, s2, v[0:1]
	s_mul_i32 s3, s3, s2
	v_mov_b32_e32 v1, 0
	s_wait_alu 0xfffe
	s_lshl_b32 s2, s3, 1
	v_add_nc_u32_e32 v4, s3, v0
	s_delay_alu instid0(VALU_DEP_2) | instskip(SKIP_2) | instid1(VALU_DEP_2)
	v_lshlrev_b64_e32 v[2:3], 2, v[0:1]
	s_wait_alu 0xfffe
	v_add_nc_u32_e32 v0, s2, v0
	v_add_co_u32 v5, vcc_lo, s4, v2
	s_delay_alu instid0(VALU_DEP_1) | instskip(SKIP_3) | instid1(VALU_DEP_2)
	v_add_co_ci_u32_e64 v6, null, s5, v3, vcc_lo
	global_load_b32 v32, v[5:6], off
	v_mov_b32_e32 v5, v1
	v_lshlrev_b64_e32 v[36:37], 2, v[0:1]
	v_lshlrev_b64_e32 v[38:39], 2, v[4:5]
	v_add_nc_u32_e32 v4, s2, v4
	s_delay_alu instid0(VALU_DEP_3) | instskip(SKIP_1) | instid1(VALU_DEP_4)
	v_add_co_u32 v8, vcc_lo, s10, v36
	s_wait_alu 0xfffd
	v_add_co_ci_u32_e64 v9, null, s11, v37, vcc_lo
	s_delay_alu instid0(VALU_DEP_3) | instskip(SKIP_2) | instid1(VALU_DEP_1)
	v_lshlrev_b64_e32 v[22:23], 2, v[4:5]
	s_wait_loadcnt 0x0
	v_mul_f32_e32 v32, s0, v32
	v_mul_f32_e32 v32, 0x4c9e9632, v32
	s_delay_alu instid0(VALU_DEP_1) | instskip(NEXT) | instid1(VALU_DEP_1)
	v_div_scale_f32 v66, null, v32, v32, 1.0
	v_rcp_f32_e32 v67, v66
	v_add_nc_u32_e32 v0, s2, v0
	s_delay_alu instid0(VALU_DEP_1) | instskip(SKIP_1) | instid1(VALU_DEP_1)
	v_lshlrev_b64_e32 v[12:13], 2, v[0:1]
	v_add_nc_u32_e32 v0, s3, v0
	v_lshlrev_b64_e32 v[18:19], 2, v[0:1]
	s_delay_alu instid0(VALU_DEP_3) | instskip(SKIP_1) | instid1(VALU_DEP_4)
	v_add_co_u32 v10, vcc_lo, s10, v12
	s_wait_alu 0xfffd
	v_add_co_ci_u32_e64 v11, null, s11, v13, vcc_lo
	v_add_co_u32 v16, vcc_lo, s10, v38
	s_wait_alu 0xfffd
	v_add_co_ci_u32_e64 v17, null, s11, v39, vcc_lo
	v_add_co_u32 v14, vcc_lo, s10, v18
	s_wait_alu 0xfffd
	v_add_co_ci_u32_e64 v15, null, s11, v19, vcc_lo
	v_add_co_u32 v20, vcc_lo, s10, v22
	s_wait_alu 0xfffd
	v_add_co_ci_u32_e64 v21, null, s11, v23, vcc_lo
	v_add_co_u32 v4, vcc_lo, s6, v2
	s_wait_alu 0xfffd
	v_add_co_ci_u32_e64 v5, null, s7, v3, vcc_lo
	v_add_co_u32 v24, vcc_lo, s10, v2
	s_wait_alu 0xfffd
	v_add_co_ci_u32_e64 v25, null, s11, v3, vcc_lo
	s_clause 0x5
	global_load_b32 v27, v[8:9], off
	global_load_b32 v28, v[10:11], off
	;; [unrolled: 1-line block ×7, first 2 shown]
	v_add_co_u32 v4, vcc_lo, s6, v38
	s_wait_alu 0xfffd
	v_add_co_ci_u32_e64 v5, null, s7, v39, vcc_lo
	v_add_co_u32 v6, vcc_lo, s6, v36
	s_wait_alu 0xfffd
	v_add_co_ci_u32_e64 v7, null, s7, v37, vcc_lo
	s_clause 0x1
	global_load_b32 v33, v[4:5], off
	global_load_b32 v34, v[6:7], off
	v_add_co_u32 v6, vcc_lo, s8, v2
	s_wait_alu 0xfffd
	v_add_co_ci_u32_e64 v7, null, s9, v3, vcc_lo
	v_add_co_u32 v2, vcc_lo, s8, v38
	s_wait_alu 0xfffd
	v_add_co_ci_u32_e64 v3, null, s9, v39, vcc_lo
	;; [unrolled: 3-line block ×4, first 2 shown]
	v_add_co_u32 v22, vcc_lo, s8, v22
	v_add_nc_u32_e32 v0, s3, v0
	s_wait_alu 0xfffd
	v_add_co_ci_u32_e64 v23, null, s9, v23, vcc_lo
	v_add_co_u32 v38, vcc_lo, s6, v12
	s_wait_alu 0xfffd
	v_add_co_ci_u32_e64 v39, null, s7, v13, vcc_lo
	v_add_co_u32 v40, vcc_lo, s8, v12
	;; [unrolled: 3-line block ×4, first 2 shown]
	global_load_b32 v24, v[24:25], off
	s_wait_alu 0xfffd
	v_add_co_ci_u32_e64 v45, null, s9, v19, vcc_lo
	s_clause 0x4
	global_load_b32 v11, v[10:11], off
	global_load_b32 v18, v[8:9], off
	;; [unrolled: 1-line block ×5, first 2 shown]
	s_wait_loadcnt 0xd
	v_mul_f32_e32 v68, v27, v28
	s_wait_loadcnt 0xc
	v_mul_f32_e32 v83, v26, v28
	;; [unrolled: 2-line block ×3, first 2 shown]
	v_lshlrev_b64_e32 v[12:13], 2, v[0:1]
	v_add_nc_u32_e32 v0, s3, v0
	v_div_scale_f32 v69, null, v68, v68, 1.0
	v_div_scale_f32 v85, null, v83, v83, 1.0
	s_delay_alu instid0(VALU_DEP_3)
	v_lshlrev_b64_e32 v[8:9], 2, v[0:1]
	v_add_co_u32 v16, vcc_lo, s6, v12
	v_add_nc_u32_e32 v0, s3, v0
	s_wait_alu 0xfffd
	v_add_co_ci_u32_e64 v17, null, s7, v13, vcc_lo
	v_add_co_u32 v20, vcc_lo, s8, v12
	s_wait_alu 0xfffd
	v_add_co_ci_u32_e64 v21, null, s9, v13, vcc_lo
	v_add_co_u32 v12, vcc_lo, s10, v12
	s_wait_alu 0xfffd
	v_add_co_ci_u32_e64 v13, null, s11, v13, vcc_lo
	v_lshlrev_b64_e32 v[46:47], 2, v[0:1]
	v_add_nc_u32_e32 v0, s3, v0
	v_add_co_u32 v48, vcc_lo, s6, v8
	s_wait_alu 0xfffd
	v_add_co_ci_u32_e64 v49, null, s7, v9, vcc_lo
	v_add_co_u32 v50, vcc_lo, s8, v8
	s_wait_alu 0xfffd
	v_add_co_ci_u32_e64 v51, null, s9, v9, vcc_lo
	v_add_co_u32 v8, vcc_lo, s10, v8
	v_lshlrev_b64_e32 v[52:53], 2, v[0:1]
	s_wait_alu 0xfffd
	v_add_co_ci_u32_e64 v9, null, s11, v9, vcc_lo
	v_add_co_u32 v54, vcc_lo, s6, v46
	s_wait_alu 0xfffd
	v_add_co_ci_u32_e64 v55, null, s7, v47, vcc_lo
	v_add_co_u32 v46, vcc_lo, s8, v46
	global_load_b32 v13, v[12:13], off
	s_wait_alu 0xfffd
	v_add_co_ci_u32_e64 v47, null, s9, v47, vcc_lo
	global_load_b32 v12, v[8:9], off
	v_add_co_u32 v8, vcc_lo, s6, v52
	s_wait_alu 0xfffd
	v_add_co_ci_u32_e64 v9, null, s7, v53, vcc_lo
	s_clause 0x6
	global_load_b32 v25, v[36:37], off
	global_load_b32 v70, v[38:39], off
	;; [unrolled: 1-line block ×7, first 2 shown]
	v_add_nc_u32_e32 v0, s3, v0
	v_rcp_f32_e32 v80, v69
	v_mul_f32_e32 v94, v27, v31
	s_delay_alu instid0(VALU_DEP_2) | instskip(SKIP_1) | instid1(VALU_DEP_2)
	v_lshlrev_b64_e32 v[56:57], 2, v[0:1]
	v_add_nc_u32_e32 v0, s3, v0
	v_add_co_u32 v60, vcc_lo, s6, v56
	s_wait_alu 0xfffd
	s_delay_alu instid0(VALU_DEP_3) | instskip(NEXT) | instid1(VALU_DEP_3)
	v_add_co_ci_u32_e64 v61, null, s7, v57, vcc_lo
	v_lshlrev_b64_e32 v[58:59], 2, v[0:1]
	v_add_nc_u32_e32 v0, s3, v0
	global_load_b32 v75, v[60:61], off
	v_lshlrev_b64_e32 v[15:16], 2, v[0:1]
	v_add_nc_u32_e32 v0, s3, v0
	v_add_co_u32 v8, vcc_lo, s6, v58
	s_wait_alu 0xfffd
	v_add_co_ci_u32_e64 v9, null, s7, v59, vcc_lo
	s_delay_alu instid0(VALU_DEP_3) | instskip(SKIP_4) | instid1(VALU_DEP_3)
	v_lshlrev_b64_e32 v[36:37], 2, v[0:1]
	v_add_nc_u32_e32 v0, s3, v0
	v_add_co_u32 v38, vcc_lo, s6, v15
	s_wait_alu 0xfffd
	v_add_co_ci_u32_e64 v39, null, s7, v16, vcc_lo
	v_lshlrev_b64_e32 v[42:43], 2, v[0:1]
	v_add_co_u32 v48, vcc_lo, s6, v36
	s_wait_alu 0xfffd
	v_add_co_ci_u32_e64 v49, null, s7, v37, vcc_lo
	v_add_nc_u32_e32 v0, s3, v0
	s_delay_alu instid0(VALU_DEP_4)
	v_add_co_u32 v60, vcc_lo, s6, v42
	s_wait_alu 0xfffd
	v_add_co_ci_u32_e64 v61, null, s7, v43, vcc_lo
	s_clause 0x3
	global_load_b32 v76, v[8:9], off
	global_load_b32 v77, v[38:39], off
	;; [unrolled: 1-line block ×4, first 2 shown]
	v_lshlrev_b64_e32 v[54:55], 2, v[0:1]
	v_fma_f32 v48, -v66, v67, 1.0
	v_add_nc_u32_e32 v0, s3, v0
	s_delay_alu instid0(VALU_DEP_3) | instskip(SKIP_1) | instid1(VALU_DEP_4)
	v_add_co_u32 v8, vcc_lo, s6, v54
	s_wait_alu 0xfffd
	v_add_co_ci_u32_e64 v9, null, s7, v55, vcc_lo
	v_fmac_f32_e32 v67, v48, v67
	v_fma_f32 v48, -v69, v80, 1.0
	v_div_scale_f32 v81, vcc_lo, 1.0, v32, 1.0
	global_load_b32 v82, v[8:9], off
	v_div_scale_f32 v8, s0, 1.0, v68, 1.0
	v_dual_fmac_f32 v80, v48, v80 :: v_dual_mul_f32 v9, v81, v67
	v_lshlrev_b64_e32 v[62:63], 2, v[0:1]
	v_add_nc_u32_e32 v0, s3, v0
	s_delay_alu instid0(VALU_DEP_3) | instskip(NEXT) | instid1(VALU_DEP_4)
	v_mul_f32_e32 v84, v8, v80
	v_fma_f32 v64, -v66, v9, v81
	s_delay_alu instid0(VALU_DEP_3) | instskip(SKIP_1) | instid1(VALU_DEP_4)
	v_lshlrev_b64_e32 v[38:39], 2, v[0:1]
	v_add_nc_u32_e32 v0, s3, v0
	v_fma_f32 v86, -v69, v84, v8
	s_delay_alu instid0(VALU_DEP_4) | instskip(SKIP_1) | instid1(VALU_DEP_4)
	v_fmac_f32_e32 v9, v64, v67
	v_add_co_u32 v48, s1, s6, v62
	v_lshlrev_b64_e32 v[60:61], 2, v[0:1]
	s_delay_alu instid0(VALU_DEP_4) | instskip(NEXT) | instid1(VALU_DEP_4)
	v_fmac_f32_e32 v84, v86, v80
	v_fma_f32 v66, -v66, v9, v81
	v_rcp_f32_e32 v86, v85
	v_div_scale_f32 v81, null, v87, v87, 1.0
	s_delay_alu instid0(VALU_DEP_3)
	v_fma_f32 v8, -v69, v84, v8
	s_wait_alu 0xfffd
	v_div_fmas_f32 v88, v66, v67, v9
	s_mov_b32 vcc_lo, s0
	v_add_co_ci_u32_e64 v49, null, s7, v63, s1
	s_wait_alu 0xfffe
	v_div_fmas_f32 v8, v8, v80, v84
	v_mul_f32_e32 v80, v26, v29
	v_rcp_f32_e32 v84, v81
	v_fma_f32 v9, -v85, v86, 1.0
	v_add_co_u32 v64, s1, s6, v38
	v_div_fixup_f32 v8, v8, v68, 1.0
	v_add_co_u32 v68, vcc_lo, s6, v60
	s_wait_alu 0xfffd
	v_add_co_ci_u32_e64 v69, null, s7, v61, vcc_lo
	s_delay_alu instid0(VALU_DEP_3) | instskip(NEXT) | instid1(TRANS32_DEP_1)
	v_mul_f32_e32 v8, v80, v8
	v_fma_f32 v90, -v81, v84, 1.0
	v_fmac_f32_e32 v86, v9, v86
	v_div_scale_f32 v89, vcc_lo, 1.0, v83, 1.0
	s_delay_alu instid0(VALU_DEP_4)
	v_min_num_f32_e32 v91, 0x7cf0bdc2, v8
	s_wait_alu 0xf1ff
	v_add_co_ci_u32_e64 v65, null, s7, v39, s1
	v_fmac_f32_e32 v84, v90, v84
	s_clause 0x2
	global_load_b32 v92, v[48:49], off
	global_load_b32 v93, v[64:65], off
	;; [unrolled: 1-line block ×3, first 2 shown]
	s_wait_loadcnt 0x1a
	v_mul_f32_e32 v35, v35, v91
	v_div_scale_f32 v91, s0, 1.0, v87, 1.0
	v_mul_f32_e32 v90, v89, v86
	v_add_nc_u32_e32 v0, s3, v0
	global_store_b32 v[6:7], v35, off
	v_mul_f32_e32 v65, v91, v84
	v_fma_f32 v64, -v85, v90, v89
	v_lshlrev_b64_e32 v[66:67], 2, v[0:1]
	v_add_nc_u32_e32 v0, s3, v0
	s_delay_alu instid0(VALU_DEP_4) | instskip(NEXT) | instid1(VALU_DEP_4)
	v_fma_f32 v35, -v81, v65, v91
	v_fmac_f32_e32 v90, v64, v86
	s_delay_alu instid0(VALU_DEP_4) | instskip(NEXT) | instid1(VALU_DEP_3)
	v_add_co_u32 v6, s1, s6, v66
	v_fmac_f32_e32 v65, v35, v84
	s_delay_alu instid0(VALU_DEP_3)
	v_fma_f32 v64, -v85, v90, v89
	v_lshlrev_b64_e32 v[8:9], 2, v[0:1]
	s_wait_alu 0xf1ff
	v_add_co_ci_u32_e64 v7, null, s7, v67, s1
	v_fma_f32 v35, -v81, v65, v91
	v_div_scale_f32 v81, null, v94, v94, 1.0
	s_wait_alu 0xfffd
	v_div_fmas_f32 v64, v64, v86, v90
	global_load_b32 v69, v[6:7], off
	v_add_co_u32 v6, s1, s6, v8
	s_mov_b32 vcc_lo, s0
	v_add_co_ci_u32_e64 v7, null, s7, v9, s1
	v_mul_f32_e32 v85, v27, v30
	v_rcp_f32_e32 v86, v81
	s_wait_alu 0xfffe
	v_div_fmas_f32 v35, v35, v84, v65
	v_div_fixup_f32 v84, v64, v83, 1.0
	global_load_b32 v89, v[6:7], off
	v_mul_f32_e32 v6, v28, v30
	v_add_nc_u32_e32 v0, s3, v0
	v_div_fixup_f32 v7, v35, v87, 1.0
	v_mul_f32_e32 v35, v84, v85
	v_div_scale_f32 v84, null, v30, v30, 1.0
	v_fma_f32 v85, -v81, v86, 1.0
	s_delay_alu instid0(VALU_DEP_4) | instskip(NEXT) | instid1(VALU_DEP_4)
	v_mul_f32_e32 v6, v6, v7
	v_min_num_f32_e32 v7, 0x7cf0bdc2, v35
	v_lshlrev_b64_e32 v[48:49], 2, v[0:1]
	v_add_nc_u32_e32 v0, s3, v0
	v_div_scale_f32 v35, vcc_lo, 1.0, v94, 1.0
	v_fmac_f32_e32 v86, v85, v86
	v_min_num_f32_e32 v85, 0x7cf0bdc2, v6
	s_wait_loadcnt 0x1b
	v_mul_f32_e32 v33, v33, v7
	v_lshlrev_b64_e32 v[64:65], 2, v[0:1]
	v_add_co_u32 v6, s0, s6, v48
	s_wait_loadcnt 0x1a
	v_dual_mul_f32 v34, v34, v85 :: v_dual_mul_f32 v85, v35, v86
	global_store_b32 v[2:3], v33, off
	v_rcp_f32_e32 v33, v84
	s_wait_alu 0xf1ff
	v_add_co_ci_u32_e64 v7, null, s7, v49, s0
	v_add_co_u32 v2, s0, s6, v64
	v_div_scale_f32 v87, null, v28, v28, 1.0
	v_fma_f32 v90, -v81, v85, v35
	global_store_b32 v[4:5], v34, off
	v_div_scale_f32 v4, null, v31, v31, 1.0
	s_wait_alu 0xf1ff
	v_add_co_ci_u32_e64 v3, null, s7, v65, s0
	v_fmac_f32_e32 v85, v90, v86
	v_rcp_f32_e32 v34, v87
	s_clause 0x1
	global_load_b32 v90, v[6:7], off
	global_load_b32 v91, v[2:3], off
	v_fma_f32 v2, -v84, v33, 1.0
	v_rcp_f32_e32 v5, v4
	v_fma_f32 v3, -v81, v85, v35
	v_div_scale_f32 v6, s0, 1.0, v30, 1.0
	s_delay_alu instid0(VALU_DEP_3) | instskip(SKIP_1) | instid1(VALU_DEP_3)
	v_fmac_f32_e32 v33, v2, v33
	s_wait_alu 0xfffd
	v_div_fmas_f32 v7, v3, v86, v85
	v_fma_f32 v2, -v87, v34, 1.0
	s_mov_b32 vcc_lo, s0
	v_mul_f32_e32 v3, v6, v33
	s_delay_alu instid0(TRANS32_DEP_1) | instskip(NEXT) | instid1(VALU_DEP_3)
	v_fma_f32 v35, -v4, v5, 1.0
	v_fmac_f32_e32 v34, v2, v34
	s_delay_alu instid0(VALU_DEP_3) | instskip(NEXT) | instid1(VALU_DEP_3)
	v_fma_f32 v2, -v84, v3, v6
	v_fmac_f32_e32 v5, v35, v5
	v_div_scale_f32 v35, s1, 1.0, v31, 1.0
	v_div_fixup_f32 v32, v88, v32, 1.0
	s_delay_alu instid0(VALU_DEP_4) | instskip(NEXT) | instid1(VALU_DEP_2)
	v_fmac_f32_e32 v3, v2, v33
	v_dual_mul_f32 v81, v35, v5 :: v_dual_mul_f32 v32, 0x49776020, v32
	s_delay_alu instid0(VALU_DEP_2) | instskip(NEXT) | instid1(VALU_DEP_2)
	v_fma_f32 v2, -v84, v3, v6
	v_fma_f32 v6, -v4, v81, v35
	s_delay_alu instid0(VALU_DEP_3) | instskip(SKIP_1) | instid1(VALU_DEP_3)
	v_mul_f32_e32 v83, v32, v83
	s_wait_alu 0xfffe
	v_div_fmas_f32 v33, v2, v33, v3
	s_mov_b32 vcc_lo, s1
	v_fmac_f32_e32 v81, v6, v5
	v_div_scale_f32 v6, s2, 1.0, v28, 1.0
	s_delay_alu instid0(VALU_DEP_3) | instskip(NEXT) | instid1(VALU_DEP_3)
	v_div_fixup_f32 v33, v33, v30, 1.0
	v_fma_f32 v4, -v4, v81, v35
	s_delay_alu instid0(VALU_DEP_3) | instskip(SKIP_1) | instid1(VALU_DEP_2)
	v_mul_f32_e32 v84, v6, v34
	s_wait_alu 0xfffe
	v_div_fmas_f32 v35, v4, v5, v81
	s_delay_alu instid0(VALU_DEP_2) | instskip(SKIP_1) | instid1(VALU_DEP_3)
	v_fma_f32 v85, -v87, v84, v6
	v_div_scale_f32 v81, null, v29, v29, 1.0
	v_div_fixup_f32 v31, v35, v31, 1.0
	s_delay_alu instid0(VALU_DEP_3) | instskip(NEXT) | instid1(VALU_DEP_3)
	v_fmac_f32_e32 v84, v85, v34
	v_rcp_f32_e32 v86, v81
	v_mul_f32_e32 v35, v28, v28
	s_delay_alu instid0(VALU_DEP_3) | instskip(NEXT) | instid1(VALU_DEP_3)
	v_mul_f32_e32 v31, v83, v31
	v_fma_f32 v6, -v87, v84, v6
	s_delay_alu instid0(VALU_DEP_2)
	v_dual_min_num_f32 v31, 0x7cf0bdc2, v31 :: v_dual_add_nc_u32 v0, s3, v0
	s_wait_loadcnt 0x15
	v_mul_f32_e32 v18, v18, v13
	s_wait_loadcnt 0x14
	v_div_scale_f32 v87, null, v12, v12, 1.0
	s_wait_loadcnt 0xe
	v_mul_f32_e32 v31, v31, v73
	v_lshlrev_b64_e32 v[2:3], 2, v[0:1]
	v_add_nc_u32_e32 v0, s3, v0
	s_delay_alu instid0(VALU_DEP_2) | instskip(NEXT) | instid1(VALU_DEP_2)
	v_add_co_u32 v4, vcc_lo, s6, v2
	v_lshlrev_b64_e32 v[0:1], 2, v[0:1]
	s_wait_alu 0xfffd
	s_delay_alu instid0(VALU_DEP_4)
	v_add_co_ci_u32_e64 v5, null, s7, v3, vcc_lo
	s_mov_b32 vcc_lo, s2
	s_wait_alu 0xfffe
	v_div_fmas_f32 v6, v6, v34, v84
	global_load_b32 v85, v[4:5], off
	v_add_co_u32 v4, vcc_lo, s6, v0
	s_wait_alu 0xfffd
	v_add_co_ci_u32_e64 v5, null, s7, v1, vcc_lo
	v_div_fixup_f32 v6, v6, v28, 1.0
	global_load_b32 v34, v[4:5], off
	v_fma_f32 v4, -v81, v86, 1.0
	s_delay_alu instid0(VALU_DEP_1) | instskip(SKIP_1) | instid1(VALU_DEP_1)
	v_fmac_f32_e32 v86, v4, v86
	v_div_scale_f32 v4, vcc_lo, 1.0, v29, 1.0
	v_mul_f32_e32 v5, v4, v86
	s_delay_alu instid0(VALU_DEP_1) | instskip(NEXT) | instid1(VALU_DEP_1)
	v_fma_f32 v84, -v81, v5, v4
	v_fmac_f32_e32 v5, v84, v86
	s_delay_alu instid0(VALU_DEP_1) | instskip(SKIP_1) | instid1(VALU_DEP_1)
	v_fma_f32 v4, -v81, v5, v4
	s_wait_alu 0xfffd
	v_div_fmas_f32 v4, v4, v86, v5
	v_div_scale_f32 v5, null, v13, v13, 1.0
	v_div_fixup_f32 v86, v7, v94, 1.0
	v_mul_f32_e32 v7, v26, v27
	v_div_scale_f32 v28, vcc_lo, 1.0, v13, 1.0
	s_delay_alu instid0(VALU_DEP_4) | instskip(SKIP_1) | instid1(VALU_DEP_3)
	v_rcp_f32_e32 v81, v5
	v_mul_f32_e32 v27, v27, v27
	v_mul_f32_e32 v7, v7, v32
	v_div_fixup_f32 v4, v4, v29, 1.0
	s_delay_alu instid0(VALU_DEP_3) | instskip(NEXT) | instid1(VALU_DEP_3)
	v_mul_f32_e32 v27, v27, v32
	v_mul_f32_e32 v6, v7, v6
	s_delay_alu instid0(TRANS32_DEP_1) | instskip(NEXT) | instid1(VALU_DEP_3)
	v_fma_f32 v84, -v5, v81, 1.0
	v_mul_f32_e32 v4, v4, v27
	s_delay_alu instid0(VALU_DEP_2) | instskip(NEXT) | instid1(VALU_DEP_1)
	v_dual_min_num_f32 v6, 0x7cf0bdc2, v6 :: v_dual_fmac_f32 v81, v84, v81
	v_dual_mul_f32 v84, v26, v26 :: v_dual_mul_f32 v83, v28, v81
	s_delay_alu instid0(VALU_DEP_1) | instskip(NEXT) | instid1(VALU_DEP_1)
	v_mul_f32_e32 v84, v84, v32
	v_dual_mul_f32 v33, v84, v33 :: v_dual_mul_f32 v84, v35, v86
	s_delay_alu instid0(VALU_DEP_1) | instskip(NEXT) | instid1(VALU_DEP_4)
	v_dual_min_num_f32 v7, 0x7cf0bdc2, v33 :: v_dual_min_num_f32 v84, 0x7cf0bdc2, v84
	v_fma_f32 v33, -v5, v83, v28
	s_delay_alu instid0(VALU_DEP_2)
	v_dual_mul_f32 v70, v7, v70 :: v_dual_mul_f32 v25, v25, v84
	v_mul_f32_e32 v71, v7, v71
	v_mul_f32_e32 v17, v7, v17
	s_clause 0x3
	global_store_b32 v[22:23], v25, off
	global_store_b32 v[40:41], v70, off
	;; [unrolled: 1-line block ×4, first 2 shown]
	v_fmac_f32_e32 v83, v33, v81
	v_rcp_f32_e32 v17, v87
	v_mul_f32_e32 v7, v7, v72
	s_clause 0x1
	global_store_b32 v[50:51], v7, off
	global_store_b32 v[46:47], v31, off
	v_fma_f32 v5, -v5, v83, v28
	s_wait_loadcnt 0xf
	v_mul_f32_e32 v20, v6, v74
	v_min_num_f32_e32 v6, 0x7cf0bdc2, v4
	v_fma_f32 v7, -v87, v17, 1.0
	v_add_co_u32 v4, s0, s8, v52
	s_wait_alu 0xfffd
	v_div_fmas_f32 v5, v5, v81, v83
	v_div_scale_f32 v23, vcc_lo, 1.0, v12, 1.0
	v_fmac_f32_e32 v17, v7, v17
	s_wait_loadcnt 0xe
	v_mul_f32_e32 v25, v6, v75
	v_mul_f32_e32 v21, v80, v32
	v_div_fixup_f32 v22, v5, v13, 1.0
	s_wait_alu 0xf1ff
	v_add_co_ci_u32_e64 v5, null, s9, v53, s0
	v_add_co_u32 v6, s0, s8, v56
	s_delay_alu instid0(VALU_DEP_3)
	v_dual_mul_f32 v21, v21, v22 :: v_dual_mul_f32 v22, v23, v17
	global_store_b32 v[4:5], v20, off
	v_mul_f32_e32 v20, v29, v30
	s_wait_alu 0xf1ff
	v_add_co_ci_u32_e64 v7, null, s9, v57, s0
	v_fma_f32 v27, -v87, v22, v23
	v_min_num_f32_e32 v21, 0x7cf0bdc2, v21
	v_add_co_u32 v4, s0, s8, v58
	global_store_b32 v[6:7], v25, off
	v_fmac_f32_e32 v22, v27, v17
	v_div_scale_f32 v27, null, v20, v20, 1.0
	s_wait_alu 0xf1ff
	v_add_co_ci_u32_e64 v5, null, s9, v59, s0
	s_delay_alu instid0(VALU_DEP_3) | instskip(NEXT) | instid1(VALU_DEP_3)
	v_fma_f32 v23, -v87, v22, v23
	v_rcp_f32_e32 v29, v27
	v_add_co_u32 v6, s0, s8, v15
	s_wait_loadcnt 0xd
	v_mul_f32_e32 v25, v76, v21
	s_wait_alu 0xfffd
	v_div_fmas_f32 v15, v23, v17, v22
	s_wait_loadcnt 0xc
	v_dual_mul_f32 v28, v77, v21 :: v_dual_mul_f32 v31, v19, v11
	s_wait_alu 0xf1ff
	v_add_co_ci_u32_e64 v7, null, s9, v16, s0
	s_clause 0x1
	global_store_b32 v[4:5], v25, off
	global_store_b32 v[6:7], v28, off
	v_mul_f32_e32 v7, v32, v35
	v_div_fixup_f32 v15, v15, v12, 1.0
	v_fma_f32 v16, -v27, v29, 1.0
	v_mul_f32_e32 v17, v11, v11
	v_add_co_u32 v4, vcc_lo, s8, v36
	s_wait_alu 0xfffd
	v_add_co_ci_u32_e64 v5, null, s9, v37, vcc_lo
	v_mul_f32_e32 v7, v7, v15
	v_fmac_f32_e32 v29, v16, v29
	v_div_scale_f32 v15, vcc_lo, 1.0, v20, 1.0
	v_div_scale_f32 v22, null, v17, v17, 1.0
	v_div_scale_f32 v33, null, v31, v31, 1.0
	s_delay_alu instid0(VALU_DEP_3) | instskip(NEXT) | instid1(VALU_DEP_3)
	v_mul_f32_e32 v25, v15, v29
	v_rcp_f32_e32 v16, v22
	v_mul_f32_e32 v23, v26, v13
	s_delay_alu instid0(VALU_DEP_3) | instskip(NEXT) | instid1(VALU_DEP_2)
	v_rcp_f32_e32 v35, v33
	v_fma_f32 v30, -v27, v25, v15
	s_wait_loadcnt 0xb
	v_mul_f32_e32 v6, v21, v78
	s_wait_loadcnt 0xa
	v_mul_f32_e32 v21, v21, v79
	v_fmac_f32_e32 v25, v30, v29
	global_store_b32 v[4:5], v6, off
	v_min_num_f32_e32 v6, 0x7cf0bdc2, v7
	v_fma_f32 v7, -v22, v16, 1.0
	v_add_co_u32 v4, s0, s8, v42
	s_wait_alu 0xf1ff
	v_add_co_ci_u32_e64 v5, null, s9, v43, s0
	s_wait_loadcnt 0x9
	v_mul_f32_e32 v26, v82, v6
	v_add_co_u32 v6, s1, s8, v54
	v_fmac_f32_e32 v16, v7, v16
	s_wait_alu 0xf1ff
	v_add_co_ci_u32_e64 v7, null, s9, v55, s1
	s_clause 0x1
	global_store_b32 v[4:5], v21, off
	global_store_b32 v[6:7], v26, off
	v_fma_f32 v4, -v27, v25, v15
	v_div_scale_f32 v32, s0, 1.0, v17, 1.0
	v_fma_f32 v15, -v33, v35, 1.0
	v_mul_f32_e32 v21, v19, v14
	s_wait_alu 0xfffd
	v_div_fmas_f32 v7, v4, v29, v25
	v_mul_f32_e32 v14, v11, v14
	v_mul_f32_e32 v11, v11, v13
	v_fmac_f32_e32 v35, v15, v35
	v_div_scale_f32 v15, s1, 1.0, v31, 1.0
	v_div_fixup_f32 v7, v7, v20, 1.0
	v_mul_f32_e32 v30, v32, v16
	v_add_co_u32 v4, vcc_lo, s8, v62
	v_div_scale_f32 v27, null, v14, v14, 1.0
	s_delay_alu instid0(VALU_DEP_4) | instskip(NEXT) | instid1(VALU_DEP_4)
	v_mul_f32_e32 v7, v7, v23
	v_fma_f32 v5, -v22, v30, v32
	s_delay_alu instid0(VALU_DEP_1)
	v_dual_min_num_f32 v7, 0x7cf0bdc2, v7 :: v_dual_fmac_f32 v30, v5, v16
	s_wait_alu 0xfffd
	v_add_co_ci_u32_e64 v5, null, s9, v63, vcc_lo
	s_mov_b32 vcc_lo, s0
	s_wait_loadcnt 0x7
	v_dual_mul_f32 v28, v86, v23 :: v_dual_mul_f32 v25, v7, v93
	v_fma_f32 v20, -v22, v30, v32
	v_mul_f32_e32 v22, v10, v13
	v_div_scale_f32 v23, null, v21, v21, 1.0
	s_delay_alu instid0(VALU_DEP_4)
	v_min_num_f32_e32 v28, 0x7cf0bdc2, v28
	s_wait_alu 0xfffe
	v_div_fmas_f32 v16, v20, v16, v30
	v_mul_f32_e32 v20, v15, v35
	v_mul_f32_e32 v10, v10, v12
	;; [unrolled: 1-line block ×3, first 2 shown]
	s_delay_alu instid0(VALU_DEP_4) | instskip(NEXT) | instid1(VALU_DEP_4)
	v_div_fixup_f32 v16, v16, v17, 1.0
	v_fma_f32 v17, -v33, v20, v15
	global_store_b32 v[4:5], v6, off
	v_add_co_u32 v4, vcc_lo, s8, v38
	v_fmac_f32_e32 v20, v17, v35
	s_wait_alu 0xfffd
	v_add_co_ci_u32_e64 v5, null, s9, v39, vcc_lo
	s_mov_b32 vcc_lo, s1
	v_fma_f32 v7, -v33, v20, v15
	v_mul_f32_e32 v15, v19, v12
	v_mul_f32_e32 v6, v22, v16
	v_rcp_f32_e32 v16, v23
	global_store_b32 v[4:5], v25, off
	s_wait_alu 0xfffe
	v_div_fmas_f32 v7, v7, v35, v20
	v_div_scale_f32 v19, null, v15, v15, 1.0
	v_min_num_f32_e32 v6, 0x7cf0bdc2, v6
	v_div_scale_f32 v26, vcc_lo, 1.0, v21, 1.0
	s_delay_alu instid0(VALU_DEP_4)
	v_div_fixup_f32 v22, v7, v31, 1.0
	v_fma_f32 v17, -v23, v16, 1.0
	s_wait_loadcnt 0x6
	v_mul_f32_e32 v20, v68, v6
	v_add_co_u32 v6, s0, s8, v60
	s_wait_alu 0xf1ff
	v_add_co_ci_u32_e64 v7, null, s9, v61, s0
	v_fmac_f32_e32 v16, v17, v16
	v_rcp_f32_e32 v17, v19
	v_mul_f32_e32 v4, v18, v22
	global_store_b32 v[6:7], v20, off
	v_div_scale_f32 v22, s0, 1.0, v15, 1.0
	v_mul_f32_e32 v18, v26, v16
	v_min_num_f32_e32 v4, 0x7cf0bdc2, v4
	v_mul_f32_e32 v6, v24, v13
	v_mul_f32_e32 v13, v13, v13
	v_fma_f32 v5, -v19, v17, 1.0
	v_fma_f32 v7, -v23, v18, v26
	s_wait_loadcnt 0x5
	v_mul_f32_e32 v24, v69, v4
	v_add_co_u32 v4, s1, s8, v66
	s_delay_alu instid0(VALU_DEP_3) | instskip(SKIP_2) | instid1(VALU_DEP_2)
	v_dual_fmac_f32 v17, v5, v17 :: v_dual_fmac_f32 v18, v7, v16
	s_wait_alu 0xf1ff
	v_add_co_ci_u32_e64 v5, null, s9, v67, s1
	v_mul_f32_e32 v25, v22, v17
	s_delay_alu instid0(VALU_DEP_3)
	v_fma_f32 v23, -v23, v18, v26
	global_store_b32 v[4:5], v24, off
	v_rcp_f32_e32 v26, v27
	v_fma_f32 v29, -v19, v25, v22
	s_wait_alu 0xfffd
	v_div_fmas_f32 v16, v23, v16, v18
	s_mov_b32 vcc_lo, s0
	s_delay_alu instid0(VALU_DEP_2) | instskip(NEXT) | instid1(VALU_DEP_2)
	v_fmac_f32_e32 v25, v29, v17
	v_div_fixup_f32 v16, v16, v21, 1.0
	s_delay_alu instid0(TRANS32_DEP_1) | instskip(NEXT) | instid1(VALU_DEP_3)
	v_fma_f32 v23, -v27, v26, 1.0
	v_fma_f32 v19, -v19, v25, v22
	s_delay_alu instid0(VALU_DEP_3) | instskip(SKIP_1) | instid1(VALU_DEP_4)
	v_mul_f32_e32 v11, v11, v16
	v_div_scale_f32 v22, s2, 1.0, v14, 1.0
	v_fmac_f32_e32 v26, v23, v26
	s_wait_alu 0xfffe
	v_div_fmas_f32 v17, v19, v17, v25
	s_delay_alu instid0(VALU_DEP_2) | instskip(NEXT) | instid1(VALU_DEP_2)
	v_dual_min_num_f32 v4, 0x7cf0bdc2, v11 :: v_dual_mul_f32 v19, v22, v26
	v_div_fixup_f32 v15, v17, v15, 1.0
	s_delay_alu instid0(VALU_DEP_2) | instskip(NEXT) | instid1(VALU_DEP_2)
	v_fma_f32 v16, -v27, v19, v22
	v_mul_f32_e32 v11, v13, v15
	s_wait_loadcnt 0x4
	v_mul_f32_e32 v13, v89, v4
	v_div_scale_f32 v20, null, v6, v6, 1.0
	v_div_scale_f32 v18, s1, 1.0, v6, 1.0
	v_fmac_f32_e32 v19, v16, v26
	s_delay_alu instid0(VALU_DEP_3) | instskip(SKIP_2) | instid1(VALU_DEP_2)
	v_rcp_f32_e32 v7, v20
	s_mov_b32 vcc_lo, s1
	v_min_num_f32_e32 v11, 0x7cf0bdc2, v11
	v_fma_f32 v4, -v27, v19, v22
	s_wait_loadcnt 0x3
	s_delay_alu instid0(VALU_DEP_2) | instskip(SKIP_2) | instid1(TRANS32_DEP_1)
	v_mul_f32_e32 v12, v90, v11
	s_wait_loadcnt 0x2
	v_mul_f32_e32 v11, v91, v11
	v_fma_f32 v28, -v20, v7, 1.0
	s_delay_alu instid0(VALU_DEP_1) | instskip(NEXT) | instid1(VALU_DEP_1)
	v_fmac_f32_e32 v7, v28, v7
	v_mul_f32_e32 v21, v18, v7
	s_delay_alu instid0(VALU_DEP_1) | instskip(NEXT) | instid1(VALU_DEP_1)
	v_fma_f32 v23, -v20, v21, v18
	v_fmac_f32_e32 v21, v23, v7
	s_delay_alu instid0(VALU_DEP_1) | instskip(SKIP_1) | instid1(VALU_DEP_1)
	v_fma_f32 v5, -v20, v21, v18
	s_wait_alu 0xfffe
	v_div_fmas_f32 v5, v5, v7, v21
	s_mov_b32 vcc_lo, s2
	s_wait_alu 0xfffe
	v_div_fmas_f32 v7, v4, v26, v19
	v_add_co_u32 v4, vcc_lo, s8, v8
	v_div_fixup_f32 v6, v5, v6, 1.0
	s_wait_alu 0xfffd
	v_add_co_ci_u32_e64 v5, null, s9, v9, vcc_lo
	v_div_fixup_f32 v9, v7, v14, 1.0
	s_delay_alu instid0(VALU_DEP_3) | instskip(SKIP_1) | instid1(VALU_DEP_3)
	v_mul_f32_e32 v8, v10, v6
	v_add_co_u32 v6, vcc_lo, s8, v48
	v_mul_f32_e32 v10, v10, v9
	s_wait_alu 0xfffd
	v_add_co_ci_u32_e64 v7, null, s9, v49, vcc_lo
	v_min_num_f32_e32 v14, 0x7cf0bdc2, v8
	v_add_co_u32 v8, vcc_lo, s8, v64
	v_min_num_f32_e32 v10, 0x7cf0bdc2, v10
	s_wait_alu 0xfffd
	v_add_co_ci_u32_e64 v9, null, s9, v65, vcc_lo
	v_add_co_u32 v2, vcc_lo, s8, v2
	s_wait_alu 0xfffd
	v_add_co_ci_u32_e64 v3, null, s9, v3, vcc_lo
	v_add_co_u32 v0, vcc_lo, s8, v0
	s_wait_loadcnt 0x1
	v_mul_f32_e32 v14, v85, v14
	s_wait_loadcnt 0x0
	v_mul_f32_e32 v10, v34, v10
	s_wait_alu 0xfffd
	v_add_co_ci_u32_e64 v1, null, s9, v1, vcc_lo
	s_clause 0x4
	global_store_b32 v[4:5], v13, off
	global_store_b32 v[6:7], v12, off
	;; [unrolled: 1-line block ×5, first 2 shown]
	s_endpgm
	.section	.rodata,"a",@progbits
	.p2align	6, 0x0
	.amdhsa_kernel _Z12ratt2_kernelIfEvPKT_S2_PS0_S2_S0_
		.amdhsa_group_segment_fixed_size 0
		.amdhsa_private_segment_fixed_size 0
		.amdhsa_kernarg_size 296
		.amdhsa_user_sgpr_count 2
		.amdhsa_user_sgpr_dispatch_ptr 0
		.amdhsa_user_sgpr_queue_ptr 0
		.amdhsa_user_sgpr_kernarg_segment_ptr 1
		.amdhsa_user_sgpr_dispatch_id 0
		.amdhsa_user_sgpr_private_segment_size 0
		.amdhsa_wavefront_size32 1
		.amdhsa_uses_dynamic_stack 0
		.amdhsa_enable_private_segment 0
		.amdhsa_system_sgpr_workgroup_id_x 1
		.amdhsa_system_sgpr_workgroup_id_y 0
		.amdhsa_system_sgpr_workgroup_id_z 0
		.amdhsa_system_sgpr_workgroup_info 0
		.amdhsa_system_vgpr_workitem_id 0
		.amdhsa_next_free_vgpr 95
		.amdhsa_next_free_sgpr 12
		.amdhsa_reserve_vcc 1
		.amdhsa_float_round_mode_32 0
		.amdhsa_float_round_mode_16_64 0
		.amdhsa_float_denorm_mode_32 3
		.amdhsa_float_denorm_mode_16_64 3
		.amdhsa_fp16_overflow 0
		.amdhsa_workgroup_processor_mode 1
		.amdhsa_memory_ordered 1
		.amdhsa_forward_progress 1
		.amdhsa_inst_pref_size 36
		.amdhsa_round_robin_scheduling 0
		.amdhsa_exception_fp_ieee_invalid_op 0
		.amdhsa_exception_fp_denorm_src 0
		.amdhsa_exception_fp_ieee_div_zero 0
		.amdhsa_exception_fp_ieee_overflow 0
		.amdhsa_exception_fp_ieee_underflow 0
		.amdhsa_exception_fp_ieee_inexact 0
		.amdhsa_exception_int_div_zero 0
	.end_amdhsa_kernel
	.section	.text._Z12ratt2_kernelIfEvPKT_S2_PS0_S2_S0_,"axG",@progbits,_Z12ratt2_kernelIfEvPKT_S2_PS0_S2_S0_,comdat
.Lfunc_end3:
	.size	_Z12ratt2_kernelIfEvPKT_S2_PS0_S2_S0_, .Lfunc_end3-_Z12ratt2_kernelIfEvPKT_S2_PS0_S2_S0_
                                        ; -- End function
	.set _Z12ratt2_kernelIfEvPKT_S2_PS0_S2_S0_.num_vgpr, 95
	.set _Z12ratt2_kernelIfEvPKT_S2_PS0_S2_S0_.num_agpr, 0
	.set _Z12ratt2_kernelIfEvPKT_S2_PS0_S2_S0_.numbered_sgpr, 12
	.set _Z12ratt2_kernelIfEvPKT_S2_PS0_S2_S0_.num_named_barrier, 0
	.set _Z12ratt2_kernelIfEvPKT_S2_PS0_S2_S0_.private_seg_size, 0
	.set _Z12ratt2_kernelIfEvPKT_S2_PS0_S2_S0_.uses_vcc, 1
	.set _Z12ratt2_kernelIfEvPKT_S2_PS0_S2_S0_.uses_flat_scratch, 0
	.set _Z12ratt2_kernelIfEvPKT_S2_PS0_S2_S0_.has_dyn_sized_stack, 0
	.set _Z12ratt2_kernelIfEvPKT_S2_PS0_S2_S0_.has_recursion, 0
	.set _Z12ratt2_kernelIfEvPKT_S2_PS0_S2_S0_.has_indirect_call, 0
	.section	.AMDGPU.csdata,"",@progbits
; Kernel info:
; codeLenInByte = 4520
; TotalNumSgprs: 14
; NumVgprs: 95
; ScratchSize: 0
; MemoryBound: 0
; FloatMode: 240
; IeeeMode: 1
; LDSByteSize: 0 bytes/workgroup (compile time only)
; SGPRBlocks: 0
; VGPRBlocks: 11
; NumSGPRsForWavesPerEU: 14
; NumVGPRsForWavesPerEU: 95
; Occupancy: 16
; WaveLimiterHint : 0
; COMPUTE_PGM_RSRC2:SCRATCH_EN: 0
; COMPUTE_PGM_RSRC2:USER_SGPR: 2
; COMPUTE_PGM_RSRC2:TRAP_HANDLER: 0
; COMPUTE_PGM_RSRC2:TGID_X_EN: 1
; COMPUTE_PGM_RSRC2:TGID_Y_EN: 0
; COMPUTE_PGM_RSRC2:TGID_Z_EN: 0
; COMPUTE_PGM_RSRC2:TIDIG_COMP_CNT: 0
	.section	.text._Z12ratt3_kernelIfEvPKT_S2_PS0_S2_S0_,"axG",@progbits,_Z12ratt3_kernelIfEvPKT_S2_PS0_S2_S0_,comdat
	.protected	_Z12ratt3_kernelIfEvPKT_S2_PS0_S2_S0_ ; -- Begin function _Z12ratt3_kernelIfEvPKT_S2_PS0_S2_S0_
	.globl	_Z12ratt3_kernelIfEvPKT_S2_PS0_S2_S0_
	.p2align	8
	.type	_Z12ratt3_kernelIfEvPKT_S2_PS0_S2_S0_,@function
_Z12ratt3_kernelIfEvPKT_S2_PS0_S2_S0_:  ; @_Z12ratt3_kernelIfEvPKT_S2_PS0_S2_S0_
; %bb.0:
	s_clause 0x3
	s_load_b32 s2, s[0:1], 0x34
	s_load_b32 s12, s[0:1], 0x28
	s_load_b256 s[4:11], s[0:1], 0x0
	s_load_b32 s0, s[0:1], 0x20
	s_wait_kmcnt 0x0
	s_and_b32 s2, s2, 0xffff
	s_delay_alu instid0(SALU_CYCLE_1) | instskip(SKIP_1) | instid1(SALU_CYCLE_1)
	v_mad_co_u64_u32 v[0:1], null, ttmp9, s2, v[0:1]
	s_mul_i32 s12, s12, s2
	s_lshl_b32 s2, s12, 1
	v_mov_b32_e32 v1, 0
	s_mul_i32 s3, s12, -13
	s_wait_alu 0xfffe
	s_delay_alu instid0(VALU_DEP_1) | instskip(SKIP_2) | instid1(VALU_DEP_3)
	v_dual_mov_b32 v5, v1 :: v_dual_add_nc_u32 v4, s2, v0
	v_lshlrev_b64_e32 v[24:25], 2, v[0:1]
	v_dual_mov_b32 v13, v1 :: v_dual_add_nc_u32 v0, s12, v0
	v_mad_co_u64_u32 v[10:11], null, s12, 5, v[4:5]
	v_mov_b32_e32 v11, v1
	s_delay_alu instid0(VALU_DEP_4) | instskip(NEXT) | instid1(VALU_DEP_1)
	v_add_co_u32 v6, vcc_lo, s4, v24
	v_add_co_ci_u32_e64 v7, null, s5, v25, vcc_lo
	s_mul_i32 s5, s12, 28
	v_mad_co_u64_u32 v[2:3], null, s12, -3, v[10:11]
	v_mov_b32_e32 v3, v1
	global_load_b32 v41, v[6:7], off
	s_mul_i32 s4, s12, 14
	v_add_nc_u32_e32 v12, s2, v2
	v_lshlrev_b64_e32 v[2:3], 2, v[2:3]
	s_mul_i32 s2, s12, 19
	v_lshlrev_b64_e32 v[4:5], 2, v[4:5]
	s_delay_alu instid0(VALU_DEP_3)
	v_lshlrev_b64_e32 v[8:9], 2, v[12:13]
	s_wait_alu 0xfffe
	v_add_nc_u32_e32 v12, s2, v12
	v_add_co_u32 v6, vcc_lo, s10, v2
	s_wait_alu 0xfffd
	v_add_co_ci_u32_e64 v7, null, s11, v3, vcc_lo
	v_add_co_u32 v8, vcc_lo, s10, v8
	s_wait_alu 0xfffd
	v_add_co_ci_u32_e64 v9, null, s11, v9, vcc_lo
	s_clause 0x1
	global_load_b32 v34, v[6:7], off
	global_load_b32 v35, v[8:9], off
	v_mad_co_u64_u32 v[16:17], null, 0xffffffec, s12, v[12:13]
	v_mov_b32_e32 v17, v1
	v_lshlrev_b64_e32 v[10:11], 2, v[10:11]
	v_lshlrev_b64_e32 v[22:23], 2, v[12:13]
	s_delay_alu instid0(VALU_DEP_3) | instskip(SKIP_2) | instid1(VALU_DEP_3)
	v_lshlrev_b64_e32 v[2:3], 2, v[16:17]
	v_lshlrev_b64_e32 v[17:18], 2, v[0:1]
	v_add_nc_u32_e32 v0, s5, v0
	v_add_co_u32 v2, vcc_lo, s10, v2
	s_wait_alu 0xfffd
	s_delay_alu instid0(VALU_DEP_4)
	v_add_co_ci_u32_e64 v3, null, s11, v3, vcc_lo
	v_add_co_u32 v10, vcc_lo, s10, v10
	s_wait_alu 0xfffd
	v_add_co_ci_u32_e64 v11, null, s11, v11, vcc_lo
	global_load_b32 v36, v[2:3], off
	v_add_co_u32 v14, vcc_lo, s10, v4
	s_wait_alu 0xfffd
	v_add_co_ci_u32_e64 v15, null, s11, v5, vcc_lo
	v_lshlrev_b64_e32 v[30:31], 2, v[0:1]
	v_add_nc_u32_e32 v0, s3, v0
	s_clause 0x1
	global_load_b32 v43, v[10:11], off
	global_load_b32 v39, v[14:15], off
	v_mad_co_u64_u32 v[19:20], null, s12, 21, v[16:17]
	v_mov_b32_e32 v29, v1
	v_lshlrev_b64_e32 v[4:5], 2, v[0:1]
	v_mov_b32_e32 v20, v1
	v_add_nc_u32_e32 v0, s4, v0
	v_add_nc_u32_e32 v28, s12, v19
	s_delay_alu instid0(VALU_DEP_4) | instskip(SKIP_2) | instid1(VALU_DEP_3)
	v_add_co_u32 v4, vcc_lo, s10, v4
	s_wait_alu 0xfffd
	v_add_co_ci_u32_e64 v5, null, s11, v5, vcc_lo
	v_mad_co_u64_u32 v[12:13], null, s12, -14, v[28:29]
	v_mov_b32_e32 v13, v1
	global_load_b32 v40, v[4:5], off
	v_add_co_u32 v4, vcc_lo, s6, v22
	s_wait_alu 0xfffd
	v_add_co_ci_u32_e64 v5, null, s7, v23, vcc_lo
	v_mad_co_u64_u32 v[32:33], null, 0xffffffe5, s12, v[0:1]
	v_mov_b32_e32 v33, v1
	global_load_b32 v47, v[4:5], off
	v_dual_mov_b32 v5, v1 :: v_dual_add_nc_u32 v4, s12, v12
	v_lshlrev_b64_e32 v[12:13], 2, v[12:13]
	s_delay_alu instid0(VALU_DEP_2) | instskip(SKIP_1) | instid1(VALU_DEP_2)
	v_lshlrev_b64_e32 v[10:11], 2, v[4:5]
	v_add_nc_u32_e32 v4, s4, v4
	v_add_co_u32 v10, vcc_lo, s10, v10
	s_wait_alu 0xfffd
	s_delay_alu instid0(VALU_DEP_3)
	v_add_co_ci_u32_e64 v11, null, s11, v11, vcc_lo
	v_add_co_u32 v26, vcc_lo, s10, v17
	s_wait_alu 0xfffd
	v_add_co_ci_u32_e64 v27, null, s11, v18, vcc_lo
	global_load_b32 v37, v[10:11], off
	v_lshlrev_b64_e32 v[18:19], 2, v[19:20]
	v_add_co_u32 v12, vcc_lo, s10, v12
	s_wait_alu 0xfffd
	v_add_co_ci_u32_e64 v13, null, s11, v13, vcc_lo
	v_lshlrev_b64_e32 v[20:21], 2, v[28:29]
	s_delay_alu instid0(VALU_DEP_4)
	v_add_co_u32 v16, vcc_lo, s6, v18
	s_wait_alu 0xfffd
	v_add_co_ci_u32_e64 v17, null, s7, v19, vcc_lo
	s_clause 0x1
	global_load_b32 v42, v[26:27], off
	global_load_b32 v38, v[12:13], off
	;; [unrolled: 1-line block ×3, first 2 shown]
	v_add_co_u32 v16, vcc_lo, s6, v20
	s_wait_alu 0xfffd
	v_add_co_ci_u32_e64 v17, null, s7, v21, vcc_lo
	global_load_b32 v45, v[16:17], off
	v_lshlrev_b64_e32 v[16:17], 2, v[4:5]
	s_delay_alu instid0(VALU_DEP_1) | instskip(SKIP_1) | instid1(VALU_DEP_2)
	v_add_co_u32 v4, vcc_lo, s6, v16
	s_wait_alu 0xfffd
	v_add_co_ci_u32_e64 v5, null, s7, v17, vcc_lo
	v_add_co_u32 v24, vcc_lo, s10, v24
	s_wait_alu 0xfffd
	v_add_co_ci_u32_e64 v25, null, s11, v25, vcc_lo
	global_load_b32 v44, v[4:5], off
	v_add_co_u32 v28, vcc_lo, s6, v30
	s_wait_alu 0xfffd
	v_add_co_ci_u32_e64 v29, null, s7, v31, vcc_lo
	v_add_co_u32 v4, vcc_lo, s8, v30
	s_wait_alu 0xfffd
	v_add_co_ci_u32_e64 v5, null, s9, v31, vcc_lo
	v_lshlrev_b64_e32 v[30:31], 2, v[0:1]
	v_add_nc_u32_e32 v0, s5, v32
	global_load_b32 v48, v[26:27], off
	global_load_b32 v29, v[28:29], off
	v_add_co_u32 v49, vcc_lo, s6, v30
	s_wait_alu 0xfffd
	v_add_co_ci_u32_e64 v50, null, s7, v31, vcc_lo
	v_add_co_u32 v26, vcc_lo, s8, v30
	s_wait_alu 0xfffd
	v_add_co_ci_u32_e64 v27, null, s9, v31, vcc_lo
	v_lshlrev_b64_e32 v[30:31], 2, v[32:33]
	v_lshlrev_b64_e32 v[32:33], 2, v[0:1]
	v_add_nc_u32_e32 v0, s12, v0
	s_clause 0x1
	global_load_b32 v28, v[24:25], off
	global_load_b32 v24, v[24:25], off
	;; [unrolled: 1-line block ×3, first 2 shown]
	v_add_co_u32 v51, vcc_lo, s10, v30
	s_wait_alu 0xfffd
	v_add_co_ci_u32_e64 v52, null, s11, v31, vcc_lo
	v_add_co_u32 v53, vcc_lo, s8, v22
	s_wait_alu 0xfffd
	v_add_co_ci_u32_e64 v54, null, s9, v23, vcc_lo
	s_clause 0x3
	global_load_b32 v25, v[14:15], off
	global_load_b32 v22, v[8:9], off
	;; [unrolled: 1-line block ×4, first 2 shown]
	v_add_co_u32 v14, vcc_lo, s6, v32
	s_wait_alu 0xfffd
	v_add_co_ci_u32_e64 v15, null, s7, v33, vcc_lo
	v_add_co_u32 v32, vcc_lo, s8, v32
	s_wait_alu 0xfffd
	v_add_co_ci_u32_e64 v33, null, s9, v33, vcc_lo
	s_clause 0x1
	global_load_b32 v31, v[51:52], off
	global_load_b32 v9, v[51:52], off
	s_wait_loadcnt 0x16
	v_mul_f32_e32 v73, v34, v35
	v_mad_co_u64_u32 v[49:50], null, 0xffffffe8, s12, v[0:1]
	v_mov_b32_e32 v50, v1
	v_lshlrev_b64_e32 v[57:58], 2, v[0:1]
	s_delay_alu instid0(VALU_DEP_4) | instskip(NEXT) | instid1(VALU_DEP_3)
	v_div_scale_f32 v80, null, v73, v73, 1.0
	v_mad_co_u64_u32 v[55:56], null, s12, 25, v[49:50]
	v_mov_b32_e32 v56, v1
	s_delay_alu instid0(VALU_DEP_4)
	v_add_co_u32 v59, vcc_lo, s6, v57
	s_wait_alu 0xfffd
	v_add_co_ci_u32_e64 v60, null, s7, v58, vcc_lo
	v_lshlrev_b64_e32 v[49:50], 2, v[49:50]
	v_mad_co_u64_u32 v[6:7], null, 0xffffffee, s12, v[55:56]
	v_mov_b32_e32 v7, v1
	v_rcp_f32_e32 v82, v80
	s_wait_loadcnt 0x15
	s_delay_alu instid0(VALU_DEP_2) | instskip(NEXT) | instid1(VALU_DEP_2)
	v_dual_mul_f32 v89, v35, v36 :: v_dual_add_nc_u32 v0, s2, v6
	v_lshlrev_b64_e32 v[6:7], 2, v[6:7]
	s_delay_alu instid0(VALU_DEP_2) | instskip(NEXT) | instid1(VALU_DEP_3)
	v_div_scale_f32 v90, null, v89, v89, 1.0
	v_mad_co_u64_u32 v[51:52], null, 0xffffffe7, s12, v[0:1]
	s_delay_alu instid0(VALU_DEP_3)
	v_add_co_u32 v6, vcc_lo, s10, v6
	v_mov_b32_e32 v52, v1
	s_wait_alu 0xfffd
	v_add_co_ci_u32_e64 v7, null, s11, v7, vcc_lo
	s_clause 0x1
	global_load_b32 v76, v[14:15], off
	global_load_b32 v77, v[59:60], off
	s_clause 0x1
	global_load_b32 v30, v[2:3], off
	global_load_b32 v78, v[6:7], off
	v_lshlrev_b64_e32 v[59:60], 2, v[0:1]
	v_lshlrev_b64_e32 v[61:62], 2, v[51:52]
	v_mad_co_u64_u32 v[51:52], null, s12, 26, v[51:52]
	v_mov_b32_e32 v52, v1
	s_delay_alu instid0(VALU_DEP_3) | instskip(SKIP_1) | instid1(VALU_DEP_4)
	v_add_co_u32 v2, vcc_lo, s10, v61
	s_wait_alu 0xfffd
	v_add_co_ci_u32_e64 v3, null, s11, v62, vcc_lo
	v_add_co_u32 v14, vcc_lo, s10, v49
	s_wait_alu 0xfffd
	v_add_co_ci_u32_e64 v15, null, s11, v50, vcc_lo
	global_load_b32 v79, v[2:3], off
	v_lshlrev_b64_e32 v[49:50], 2, v[55:56]
	v_add_co_u32 v55, vcc_lo, s8, v18
	global_load_b32 v18, v[14:15], off
	s_wait_alu 0xfffd
	v_add_co_ci_u32_e64 v56, null, s9, v19, vcc_lo
	v_add_co_u32 v14, vcc_lo, s6, v49
	s_wait_alu 0xfffd
	v_add_co_ci_u32_e64 v15, null, s7, v50, vcc_lo
	v_add_co_u32 v19, vcc_lo, s8, v20
	s_wait_alu 0xfffd
	v_add_co_ci_u32_e64 v20, null, s9, v21, vcc_lo
	global_load_b32 v21, v[14:15], off
	s_clause 0x1
	global_load_b32 v14, v[6:7], off
	global_load_b32 v15, v[6:7], off
	v_mul_f32_e32 v6, s0, v41
	v_add_co_u32 v61, vcc_lo, s6, v59
	v_add_nc_u32_e32 v0, s12, v51
	s_wait_alu 0xfffd
	v_add_co_ci_u32_e64 v62, null, s7, v60, vcc_lo
	v_mul_f32_e32 v41, 0x4c9e9632, v6
	v_add_co_u32 v63, vcc_lo, s8, v16
	s_wait_alu 0xfffd
	v_add_co_ci_u32_e64 v64, null, s9, v17, vcc_lo
	s_delay_alu instid0(VALU_DEP_3)
	v_div_scale_f32 v74, null, v41, v41, 1.0
	s_clause 0x1
	global_load_b32 v16, v[10:11], off
	global_load_b32 v11, v[12:13], off
	global_load_b32 v17, v[61:62], off
	v_lshlrev_b64_e32 v[61:62], 2, v[0:1]
	v_add_nc_u32_e32 v0, s12, v0
	v_lshlrev_b64_e32 v[51:52], 2, v[51:52]
	v_rcp_f32_e32 v81, v74
	global_load_b32 v10, v[2:3], off
	v_div_scale_f32 v87, s0, 1.0, v73, 1.0
	v_lshlrev_b64_e32 v[65:66], 2, v[0:1]
	v_add_co_u32 v2, vcc_lo, s6, v51
	s_wait_alu 0xfffd
	v_add_co_ci_u32_e64 v3, null, s7, v52, vcc_lo
	v_add_co_u32 v6, vcc_lo, s6, v61
	v_add_nc_u32_e32 v0, s3, v0
	s_wait_alu 0xfffd
	v_add_co_ci_u32_e64 v7, null, s7, v62, vcc_lo
	v_add_co_u32 v67, vcc_lo, s6, v65
	s_wait_alu 0xfffd
	v_add_co_ci_u32_e64 v68, null, s7, v66, vcc_lo
	v_fma_f32 v71, -v74, v81, 1.0
	v_lshlrev_b64_e32 v[12:13], 2, v[0:1]
	s_clause 0x2
	global_load_b32 v83, v[2:3], off
	global_load_b32 v84, v[6:7], off
	global_load_b32 v85, v[67:68], off
	v_fma_f32 v2, -v80, v82, 1.0
	v_div_scale_f32 v86, vcc_lo, 1.0, v41, 1.0
	v_dual_fmac_f32 v81, v71, v81 :: v_dual_add_nc_u32 v0, s4, v0
	s_delay_alu instid0(VALU_DEP_3) | instskip(SKIP_3) | instid1(VALU_DEP_3)
	v_fmac_f32_e32 v82, v2, v82
	v_add_co_u32 v2, s1, s10, v12
	s_wait_alu 0xf1ff
	v_add_co_ci_u32_e64 v3, null, s11, v13, s1
	v_dual_mul_f32 v12, v86, v81 :: v_dual_mul_f32 v13, v87, v82
	s_wait_loadcnt 0x1e
	v_mul_f32_e32 v35, v35, v38
	global_load_b32 v88, v[2:3], off
	v_fma_f32 v2, -v74, v12, v86
	v_fma_f32 v3, -v80, v13, v87
	s_delay_alu instid0(VALU_DEP_1) | instskip(NEXT) | instid1(VALU_DEP_1)
	v_dual_fmac_f32 v12, v2, v81 :: v_dual_fmac_f32 v13, v3, v82
	v_fma_f32 v2, -v74, v12, v86
	s_delay_alu instid0(VALU_DEP_2) | instskip(SKIP_2) | instid1(VALU_DEP_2)
	v_fma_f32 v3, -v80, v13, v87
	v_rcp_f32_e32 v86, v90
	s_wait_alu 0xfffd
	v_div_fmas_f32 v80, v2, v81, v12
	v_mul_f32_e32 v81, v39, v43
	v_mul_f32_e32 v43, v43, v34
	v_lshlrev_b64_e32 v[69:70], 2, v[0:1]
	v_add_nc_u32_e32 v0, s12, v0
	s_mov_b32 vcc_lo, s0
	v_div_fixup_f32 v41, v80, v41, 1.0
	s_wait_alu 0xfffe
	v_div_fmas_f32 v74, v3, v82, v13
	v_lshlrev_b64_e32 v[67:68], 2, v[0:1]
	v_add_co_u32 v6, s1, s6, v69
	s_wait_alu 0xf1ff
	v_add_co_ci_u32_e64 v7, null, s7, v70, s1
	v_div_fixup_f32 v73, v74, v73, 1.0
	s_delay_alu instid0(VALU_DEP_4)
	v_add_co_u32 v12, vcc_lo, s6, v67
	s_wait_alu 0xfffd
	v_add_co_ci_u32_e64 v13, null, s7, v68, vcc_lo
	s_clause 0x1
	global_load_b32 v82, v[6:7], off
	global_load_b32 v87, v[12:13], off
	v_fma_f32 v6, -v90, v86, 1.0
	v_dual_mul_f32 v7, v81, v73 :: v_dual_add_nc_u32 v0, s12, v0
	v_div_scale_f32 v81, null, v40, v40, 1.0
	v_div_scale_f32 v91, vcc_lo, 1.0, v89, 1.0
	s_delay_alu instid0(VALU_DEP_4) | instskip(NEXT) | instid1(VALU_DEP_4)
	v_fmac_f32_e32 v86, v6, v86
	v_lshlrev_b64_e32 v[71:72], 2, v[0:1]
	v_add_nc_u32_e32 v0, s12, v0
	v_min_num_f32_e32 v6, 0x7cf0bdc2, v7
	v_rcp_f32_e32 v92, v81
	v_mul_f32_e32 v93, v91, v86
	s_delay_alu instid0(VALU_DEP_3)
	v_lshlrev_b64_e32 v[2:3], 2, v[0:1]
	v_add_nc_u32_e32 v0, s12, v0
	v_mul_f32_e32 v6, v47, v6
	v_add_co_u32 v12, s0, s6, v71
	v_fma_f32 v47, -v90, v93, v91
	s_wait_alu 0xf1ff
	v_add_co_ci_u32_e64 v13, null, s7, v72, s0
	v_add_co_u32 v73, s0, s6, v2
	global_store_b32 v[53:54], v6, off
	v_lshlrev_b64_e32 v[6:7], 2, v[0:1]
	s_wait_alu 0xf1ff
	v_add_co_ci_u32_e64 v74, null, s7, v3, s0
	v_fma_f32 v53, -v81, v92, 1.0
	v_fmac_f32_e32 v93, v47, v86
	s_clause 0x1
	global_load_b32 v94, v[12:13], off
	global_load_b32 v73, v[73:74], off
	v_add_co_u32 v12, s0, s6, v6
	s_wait_alu 0xf1ff
	v_add_co_ci_u32_e64 v13, null, s7, v7, s0
	v_fmac_f32_e32 v92, v53, v92
	v_div_scale_f32 v47, s0, 1.0, v40, 1.0
	v_fma_f32 v53, -v90, v93, v91
	v_div_scale_f32 v54, null, v37, v37, 1.0
	s_delay_alu instid0(VALU_DEP_3)
	v_mul_f32_e32 v74, v47, v92
	global_load_b32 v13, v[12:13], off
	s_wait_alu 0xfffd
	v_div_fmas_f32 v53, v53, v86, v93
	v_rcp_f32_e32 v86, v54
	v_div_scale_f32 v90, vcc_lo, 1.0, v37, 1.0
	v_fma_f32 v12, -v81, v74, v47
	s_delay_alu instid0(VALU_DEP_1) | instskip(NEXT) | instid1(TRANS32_DEP_1)
	v_fmac_f32_e32 v74, v12, v92
	v_fma_f32 v12, -v54, v86, 1.0
	s_delay_alu instid0(VALU_DEP_2) | instskip(NEXT) | instid1(VALU_DEP_2)
	v_fma_f32 v47, -v81, v74, v47
	v_fmac_f32_e32 v86, v12, v86
	v_div_fixup_f32 v12, v53, v89, 1.0
	v_mul_f32_e32 v89, v39, v37
	s_delay_alu instid0(VALU_DEP_2) | instskip(SKIP_1) | instid1(VALU_DEP_2)
	v_dual_mul_f32 v53, v90, v86 :: v_dual_mul_f32 v12, v43, v12
	v_mul_f32_e32 v43, v39, v38
	v_fma_f32 v81, -v54, v53, v90
	s_delay_alu instid0(VALU_DEP_1) | instskip(NEXT) | instid1(VALU_DEP_4)
	v_fmac_f32_e32 v53, v81, v86
	v_min_num_f32_e32 v81, 0x7cf0bdc2, v12
	v_dual_mul_f32 v12, 0x49776020, v41 :: v_dual_mul_f32 v41, v37, v42
	s_delay_alu instid0(VALU_DEP_3) | instskip(SKIP_1) | instid1(VALU_DEP_2)
	v_fma_f32 v54, -v54, v53, v90
	s_wait_loadcnt 0x23
	v_dual_mul_f32 v46, v46, v81 :: v_dual_mul_f32 v43, v12, v43
	s_wait_loadcnt 0x22
	v_mul_f32_e32 v45, v45, v81
	s_wait_alu 0xfffd
	v_div_fmas_f32 v53, v54, v86, v53
	global_store_b32 v[55:56], v46, off
	v_div_scale_f32 v55, null, v89, v89, 1.0
	v_div_scale_f32 v46, null, v41, v41, 1.0
	v_div_fixup_f32 v53, v53, v37, 1.0
	global_store_b32 v[19:20], v45, off
	v_div_scale_f32 v45, s1, 1.0, v89, 1.0
	v_rcp_f32_e32 v56, v46
	v_mul_f32_e32 v43, v43, v53
	v_rcp_f32_e32 v53, v55
	s_delay_alu instid0(VALU_DEP_1) | instskip(NEXT) | instid1(VALU_DEP_1)
	v_dual_mul_f32 v54, v34, v37 :: v_dual_min_num_f32 v19, 0x7cf0bdc2, v43
	v_div_scale_f32 v81, null, v54, v54, 1.0
	s_delay_alu instid0(TRANS32_DEP_2) | instskip(SKIP_1) | instid1(VALU_DEP_3)
	v_fma_f32 v20, -v46, v56, 1.0
	s_wait_loadcnt 0x21
	v_mul_f32_e32 v19, v44, v19
	s_delay_alu instid0(TRANS32_DEP_1) | instskip(SKIP_4) | instid1(VALU_DEP_2)
	v_fma_f32 v43, -v55, v53, 1.0
	v_rcp_f32_e32 v91, v81
	global_store_b32 v[63:64], v19, off
	v_fmac_f32_e32 v53, v43, v53
	v_div_scale_f32 v64, s2, 1.0, v54, 1.0
	v_dual_mul_f32 v63, v45, v53 :: v_dual_fmac_f32 v56, v20, v56
	v_div_scale_f32 v20, vcc_lo, 1.0, v41, 1.0
	v_mul_f32_e32 v80, v38, v42
	v_fma_f32 v44, -v81, v91, 1.0
	s_delay_alu instid0(VALU_DEP_3) | instskip(NEXT) | instid1(VALU_DEP_3)
	v_mul_f32_e32 v43, v20, v56
	v_div_scale_f32 v86, null, v80, v80, 1.0
	s_delay_alu instid0(VALU_DEP_3) | instskip(NEXT) | instid1(VALU_DEP_2)
	v_fmac_f32_e32 v91, v44, v91
	v_rcp_f32_e32 v90, v86
	s_delay_alu instid0(VALU_DEP_1) | instskip(NEXT) | instid1(TRANS32_DEP_1)
	v_mul_f32_e32 v93, v64, v91
	v_fma_f32 v19, -v86, v90, 1.0
	s_delay_alu instid0(VALU_DEP_1) | instskip(SKIP_1) | instid1(VALU_DEP_1)
	v_fmac_f32_e32 v90, v19, v90
	v_fma_f32 v19, -v46, v43, v20
	v_fmac_f32_e32 v43, v19, v56
	v_fma_f32 v19, -v55, v63, v45
	s_delay_alu instid0(VALU_DEP_1) | instskip(SKIP_1) | instid1(VALU_DEP_2)
	v_fmac_f32_e32 v63, v19, v53
	v_fma_f32 v19, -v81, v93, v64
	v_fma_f32 v45, -v55, v63, v45
	s_delay_alu instid0(VALU_DEP_2) | instskip(SKIP_2) | instid1(VALU_DEP_3)
	v_fmac_f32_e32 v93, v19, v91
	v_fma_f32 v19, -v46, v43, v20
	v_div_scale_f32 v55, s3, 1.0, v80, 1.0
	v_fma_f32 v64, -v81, v93, v64
	s_wait_loadcnt 0x1e
	v_mul_f32_e32 v81, v38, v28
	v_add_nc_u32_e32 v0, s12, v0
	s_wait_alu 0xfffd
	v_div_fmas_f32 v56, v19, v56, v43
	s_mov_b32 vcc_lo, s0
	s_wait_alu 0xfffe
	v_div_fmas_f32 v47, v47, v92, v74
	v_lshlrev_b64_e32 v[19:20], 2, v[0:1]
	v_div_fixup_f32 v41, v56, v41, 1.0
	s_delay_alu instid0(VALU_DEP_3) | instskip(NEXT) | instid1(VALU_DEP_3)
	v_div_fixup_f32 v47, v47, v40, 1.0
	v_add_co_u32 v43, vcc_lo, s6, v19
	s_wait_alu 0xfffd
	s_delay_alu instid0(VALU_DEP_4)
	v_add_co_ci_u32_e64 v44, null, s7, v20, vcc_lo
	s_mov_b32 vcc_lo, s1
	s_wait_alu 0xfffe
	v_div_fmas_f32 v53, v45, v53, v63
	global_load_b32 v63, v[43:44], off
	v_mul_f32_e32 v44, v34, v38
	s_mov_b32 vcc_lo, s2
	s_wait_alu 0xfffe
	v_div_fmas_f32 v64, v64, v91, v93
	v_dual_mul_f32 v91, v12, v81 :: v_dual_add_nc_u32 v0, s12, v0
	v_dual_mul_f32 v41, v44, v41 :: v_dual_mul_f32 v74, v55, v90
	v_div_fixup_f32 v53, v53, v89, 1.0
	s_delay_alu instid0(VALU_DEP_3) | instskip(NEXT) | instid1(VALU_DEP_4)
	v_mul_f32_e32 v89, v91, v47
	v_lshlrev_b64_e32 v[45:46], 2, v[0:1]
	s_delay_alu instid0(VALU_DEP_4) | instskip(SKIP_4) | instid1(VALU_DEP_3)
	v_dual_min_num_f32 v41, 0x7cf0bdc2, v41 :: v_dual_add_nc_u32 v0, s12, v0
	v_fma_f32 v43, -v86, v74, v55
	s_wait_loadcnt 0x18
	v_dual_min_num_f32 v89, 0x7cf0bdc2, v89 :: v_dual_mul_f32 v56, v38, v31
	v_div_fixup_f32 v64, v64, v54, 1.0
	v_dual_mul_f32 v29, v29, v41 :: v_dual_fmac_f32 v74, v43, v90
	v_lshlrev_b64_e32 v[43:44], 2, v[0:1]
	s_wait_loadcnt 0x13
	v_dual_mul_f32 v41, v42, v78 :: v_dual_add_nc_u32 v0, s12, v0
	v_mul_f32_e32 v75, v75, v89
	s_clause 0x1
	global_store_b32 v[4:5], v29, off
	global_store_b32 v[26:27], v75, off
	v_div_scale_f32 v89, null, v41, v41, 1.0
	s_wait_loadcnt 0x12
	v_mul_f32_e32 v79, v42, v79
	v_add_co_u32 v4, vcc_lo, s6, v45
	s_delay_alu instid0(VALU_DEP_3)
	v_rcp_f32_e32 v29, v89
	v_mul_f32_e32 v56, v53, v56
	v_mad_co_u64_u32 v[53:54], null, 0xffffffdd, s12, v[0:1]
	v_mov_b32_e32 v54, v1
	s_wait_alu 0xfffd
	v_add_co_ci_u32_e64 v5, null, s7, v46, vcc_lo
	s_wait_loadcnt 0x11
	v_mul_f32_e32 v36, v36, v18
	s_wait_loadcnt 0xe
	v_mul_f32_e32 v15, v48, v15
	v_mul_f32_e32 v9, v9, v14
	v_lshlrev_b64_e32 v[26:27], 2, v[53:54]
	v_div_scale_f32 v54, null, v79, v79, 1.0
	global_load_b32 v75, v[4:5], off
	v_add_co_u32 v4, vcc_lo, s10, v26
	s_wait_alu 0xfffd
	v_add_co_ci_u32_e64 v5, null, s11, v27, vcc_lo
	v_mul_f32_e32 v26, v35, v64
	v_rcp_f32_e32 v27, v54
	v_fma_f32 v35, -v86, v74, v55
	s_mov_b32 vcc_lo, s3
	v_fma_f32 v55, -v89, v29, 1.0
	global_load_b32 v64, v[4:5], off
	s_wait_loadcnt 0xe
	v_mul_f32_e32 v30, v30, v11
	s_wait_alu 0xfffe
	v_div_fmas_f32 v4, v35, v90, v74
	v_div_scale_f32 v35, vcc_lo, 1.0, v41, 1.0
	v_fmac_f32_e32 v29, v55, v29
	v_fma_f32 v5, -v54, v27, 1.0
	v_dual_min_num_f32 v56, 0x7cf0bdc2, v56 :: v_dual_mul_f32 v55, v39, v18
	v_div_fixup_f32 v74, v4, v80, 1.0
	v_div_scale_f32 v80, s0, 1.0, v79, 1.0
	s_delay_alu instid0(VALU_DEP_3) | instskip(NEXT) | instid1(VALU_DEP_3)
	v_dual_fmac_f32 v27, v5, v27 :: v_dual_mul_f32 v56, v76, v56
	v_dual_mul_f32 v55, v74, v55 :: v_dual_min_num_f32 v26, 0x7cf0bdc2, v26
	v_add_co_u32 v4, s1, s6, v43
	s_wait_alu 0xf1ff
	v_add_co_ci_u32_e64 v5, null, s7, v44, s1
	s_delay_alu instid0(VALU_DEP_3)
	v_dual_min_num_f32 v55, 0x7cf0bdc2, v55 :: v_dual_mul_f32 v76, v35, v29
	v_dual_mul_f32 v26, v26, v77 :: v_dual_mul_f32 v77, v80, v27
	global_load_b32 v86, v[4:5], off
	v_mul_f32_e32 v21, v21, v55
	v_fma_f32 v74, -v89, v76, v35
	v_add_co_u32 v4, s1, s8, v57
	v_fma_f32 v57, -v54, v77, v80
	s_wait_alu 0xf1ff
	v_add_co_ci_u32_e64 v5, null, s9, v58, s1
	v_dual_fmac_f32 v76, v74, v29 :: v_dual_mul_f32 v39, v39, v78
	s_delay_alu instid0(VALU_DEP_3)
	v_fmac_f32_e32 v77, v57, v27
	s_clause 0x1
	global_store_b32 v[32:33], v56, off
	global_store_b32 v[4:5], v26, off
	v_mul_f32_e32 v26, v34, v18
	v_fma_f32 v4, -v89, v76, v35
	v_mul_f32_e32 v32, v28, v18
	v_fma_f32 v5, -v54, v77, v80
	v_div_scale_f32 v55, null, v39, v39, 1.0
	s_wait_alu 0xfffd
	v_div_fmas_f32 v4, v4, v29, v76
	s_mov_b32 vcc_lo, s0
	s_wait_loadcnt 0xd
	v_mul_f32_e32 v8, v8, v10
	s_wait_alu 0xfffe
	v_div_fmas_f32 v27, v5, v27, v77
	v_rcp_f32_e32 v58, v55
	v_div_fixup_f32 v29, v4, v41, 1.0
	v_add_co_u32 v4, vcc_lo, s8, v49
	s_delay_alu instid0(VALU_DEP_3)
	v_div_fixup_f32 v33, v27, v79, 1.0
	s_wait_alu 0xfffd
	v_add_co_ci_u32_e64 v5, null, s9, v50, vcc_lo
	v_mul_f32_e32 v29, v26, v29
	v_mul_f32_e32 v40, v42, v40
	;; [unrolled: 1-line block ×3, first 2 shown]
	global_store_b32 v[4:5], v21, off
	v_min_num_f32_e32 v49, 0x7cf0bdc2, v29
	v_div_scale_f32 v42, null, v40, v40, 1.0
	v_lshlrev_b64_e32 v[28:29], 2, v[0:1]
	v_min_num_f32_e32 v21, 0x7cf0bdc2, v50
	s_delay_alu instid0(VALU_DEP_4) | instskip(NEXT) | instid1(VALU_DEP_4)
	v_mul_f32_e32 v17, v17, v49
	v_rcp_f32_e32 v54, v42
	s_wait_loadcnt 0x9
	v_div_scale_f32 v50, null, v88, v88, 1.0
	v_mul_f32_e32 v21, v83, v21
	s_delay_alu instid0(TRANS32_DEP_1) | instskip(SKIP_2) | instid1(VALU_DEP_2)
	v_mad_co_u64_u32 v[26:27], null, s12, 36, v[53:54]
	v_mov_b32_e32 v27, v1
	v_fma_f32 v34, -v42, v54, 1.0
	v_lshlrev_b64_e32 v[32:33], 2, v[26:27]
	s_delay_alu instid0(VALU_DEP_2)
	v_fmac_f32_e32 v54, v34, v54
	v_add_co_u32 v34, vcc_lo, s6, v28
	s_wait_alu 0xfffd
	v_add_co_ci_u32_e64 v35, null, s7, v29, vcc_lo
	v_add_nc_u32_e32 v0, s12, v26
	v_add_co_u32 v26, vcc_lo, s6, v32
	s_wait_alu 0xfffd
	v_add_co_ci_u32_e64 v27, null, s7, v33, vcc_lo
	s_clause 0x1
	global_load_b32 v53, v[34:35], off
	global_load_b32 v56, v[26:27], off
	v_lshlrev_b64_e32 v[34:35], 2, v[0:1]
	v_add_nc_u32_e32 v0, s12, v0
	s_delay_alu instid0(VALU_DEP_2) | instskip(NEXT) | instid1(VALU_DEP_2)
	v_add_co_u32 v26, vcc_lo, s6, v34
	v_lshlrev_b64_e32 v[0:1], 2, v[0:1]
	s_wait_alu 0xfffd
	s_delay_alu instid0(VALU_DEP_4)
	v_add_co_ci_u32_e64 v27, null, s7, v35, vcc_lo
	v_div_scale_f32 v57, vcc_lo, 1.0, v40, 1.0
	global_load_b32 v74, v[26:27], off
	v_add_co_u32 v26, s0, s6, v0
	s_wait_alu 0xf1ff
	v_add_co_ci_u32_e64 v27, null, s7, v1, s0
	v_mul_f32_e32 v76, v57, v54
	v_add_co_u32 v4, s0, s8, v59
	global_load_b32 v49, v[26:27], off
	v_rcp_f32_e32 v59, v50
	v_fma_f32 v26, -v42, v76, v57
	v_fma_f32 v27, -v55, v58, 1.0
	s_wait_alu 0xf1ff
	v_add_co_ci_u32_e64 v5, null, s9, v60, s0
	v_div_scale_f32 v60, s0, 1.0, v39, 1.0
	v_fmac_f32_e32 v76, v26, v54
	v_add_co_u32 v26, s1, s8, v51
	v_fmac_f32_e32 v58, v27, v58
	s_wait_alu 0xf1ff
	v_add_co_ci_u32_e64 v27, null, s9, v52, s1
	v_fma_f32 v42, -v42, v76, v57
	v_fma_f32 v52, -v50, v59, 1.0
	s_clause 0x1
	global_store_b32 v[4:5], v17, off
	global_store_b32 v[26:27], v21, off
	s_wait_alu 0xfffd
	v_div_fmas_f32 v42, v42, v54, v76
	v_fmac_f32_e32 v59, v52, v59
	v_div_scale_f32 v52, s1, 1.0, v88, 1.0
	s_mov_b32 vcc_lo, s0
	v_div_fixup_f32 v40, v42, v40, 1.0
	v_dual_mul_f32 v57, v38, v78 :: v_dual_mul_f32 v42, v52, v59
	s_delay_alu instid0(VALU_DEP_2) | instskip(NEXT) | instid1(VALU_DEP_2)
	v_mul_f32_e32 v4, v40, v36
	v_div_scale_f32 v54, null, v57, v57, 1.0
	s_delay_alu instid0(VALU_DEP_3) | instskip(NEXT) | instid1(VALU_DEP_3)
	v_fma_f32 v17, -v50, v42, v52
	v_min_num_f32_e32 v4, 0x7cf0bdc2, v4
	s_delay_alu instid0(VALU_DEP_3) | instskip(NEXT) | instid1(VALU_DEP_2)
	v_rcp_f32_e32 v77, v54
	v_fmac_f32_e32 v42, v17, v59
	v_div_scale_f32 v17, s0, 1.0, v57, 1.0
	s_delay_alu instid0(TRANS32_DEP_1) | instskip(NEXT) | instid1(VALU_DEP_1)
	v_fma_f32 v21, -v54, v77, 1.0
	v_fmac_f32_e32 v77, v21, v77
	v_mul_f32_e32 v21, v31, v18
	v_fma_f32 v26, -v50, v42, v52
	v_dual_mul_f32 v31, v38, v18 :: v_dual_mul_f32 v38, v4, v84
	s_delay_alu instid0(VALU_DEP_4) | instskip(SKIP_2) | instid1(VALU_DEP_4)
	v_mul_f32_e32 v27, v17, v77
	v_mul_f32_e32 v51, v60, v58
	v_dual_mul_f32 v18, v37, v18 :: v_dual_mul_f32 v37, v23, v11
	v_mul_f32_e32 v31, v12, v31
	s_delay_alu instid0(VALU_DEP_4) | instskip(NEXT) | instid1(VALU_DEP_4)
	v_fma_f32 v36, -v54, v27, v17
	v_fma_f32 v76, -v55, v51, v60
	v_mul_f32_e32 v23, v23, v14
	s_delay_alu instid0(VALU_DEP_2) | instskip(NEXT) | instid1(VALU_DEP_1)
	v_fmac_f32_e32 v51, v76, v58
	v_fma_f32 v5, -v55, v51, v60
	s_wait_alu 0xfffe
	s_delay_alu instid0(VALU_DEP_1)
	v_div_fmas_f32 v5, v5, v58, v51
	s_mov_b32 vcc_lo, s1
	s_wait_alu 0xfffe
	v_div_fmas_f32 v26, v26, v59, v42
	v_add_co_u32 v4, vcc_lo, s8, v61
	v_div_fixup_f32 v5, v5, v39, 1.0
	s_delay_alu instid0(VALU_DEP_3) | instskip(SKIP_2) | instid1(VALU_DEP_3)
	v_div_fixup_f32 v26, v26, v88, 1.0
	v_fmac_f32_e32 v27, v36, v77
	v_div_scale_f32 v36, null, v81, v81, 1.0
	v_dual_mul_f32 v21, v21, v5 :: v_dual_mul_f32 v26, v31, v26
	s_delay_alu instid0(VALU_DEP_3) | instskip(NEXT) | instid1(VALU_DEP_3)
	v_fma_f32 v17, -v54, v27, v17
	v_rcp_f32_e32 v39, v36
	s_wait_alu 0xfffd
	v_add_co_ci_u32_e64 v5, null, s9, v62, vcc_lo
	s_mov_b32 vcc_lo, s0
	v_dual_min_num_f32 v21, 0x7cf0bdc2, v21 :: v_dual_min_num_f32 v26, 0x7cf0bdc2, v26
	s_wait_alu 0xfffe
	v_div_fmas_f32 v17, v17, v77, v27
	global_store_b32 v[4:5], v38, off
	v_add_co_u32 v4, vcc_lo, s8, v65
	v_fma_f32 v27, -v36, v39, 1.0
	s_wait_loadcnt 0xc
	v_dual_mul_f32 v21, v21, v85 :: v_dual_mul_f32 v26, v82, v26
	v_div_fixup_f32 v17, v17, v57, 1.0
	s_wait_alu 0xfffd
	v_add_co_ci_u32_e64 v5, null, s9, v66, vcc_lo
	v_fmac_f32_e32 v39, v27, v39
	v_div_scale_f32 v27, vcc_lo, 1.0, v81, 1.0
	v_div_scale_f32 v38, null, v37, v37, 1.0
	global_store_b32 v[4:5], v21, off
	v_mul_f32_e32 v4, v12, v41
	v_dual_mul_f32 v31, v18, v17 :: v_dual_mul_f32 v40, v27, v39
	v_rcp_f32_e32 v42, v38
	v_add_co_u32 v17, s0, s8, v69
	s_wait_alu 0xf1ff
	v_add_co_ci_u32_e64 v18, null, s9, v70, s0
	v_fma_f32 v5, -v36, v40, v27
	v_mul_f32_e32 v21, v48, v16
	v_dual_min_num_f32 v31, 0x7cf0bdc2, v31 :: v_dual_mul_f32 v16, v47, v4
	global_store_b32 v[17:18], v26, off
	v_fmac_f32_e32 v40, v5, v39
	v_fma_f32 v17, -v38, v42, 1.0
	v_add_co_u32 v4, s0, s8, v67
	v_div_scale_f32 v26, null, v21, v21, 1.0
	s_wait_alu 0xf1ff
	v_add_co_ci_u32_e64 v5, null, s9, v68, s0
	v_fma_f32 v27, -v36, v40, v27
	v_fmac_f32_e32 v42, v17, v42
	v_div_scale_f32 v36, s0, 1.0, v37, 1.0
	v_min_num_f32_e32 v16, 0x7cf0bdc2, v16
	s_wait_alu 0xfffd
	v_div_fmas_f32 v17, v27, v39, v40
	v_div_scale_f32 v47, null, v30, v30, 1.0
	s_wait_loadcnt 0xb
	v_dual_mul_f32 v39, v36, v42 :: v_dual_mul_f32 v18, v31, v87
	s_wait_loadcnt 0xa
	v_mul_f32_e32 v27, v16, v94
	v_rcp_f32_e32 v31, v26
	v_div_fixup_f32 v40, v17, v81, 1.0
	v_fma_f32 v50, -v38, v39, v36
	v_div_scale_f32 v51, s1, 1.0, v21, 1.0
	v_rcp_f32_e32 v52, v47
	s_delay_alu instid0(TRANS32_DEP_2) | instskip(NEXT) | instid1(VALU_DEP_1)
	v_fma_f32 v16, -v26, v31, 1.0
	v_fmac_f32_e32 v31, v16, v31
	v_add_co_u32 v16, vcc_lo, s8, v71
	v_dual_mul_f32 v40, v40, v41 :: v_dual_fmac_f32 v39, v50, v42
	s_delay_alu instid0(VALU_DEP_3)
	v_mul_f32_e32 v41, v51, v31
	s_wait_alu 0xfffd
	v_add_co_ci_u32_e64 v17, null, s9, v72, vcc_lo
	s_clause 0x1
	global_store_b32 v[4:5], v18, off
	global_store_b32 v[16:17], v27, off
	v_min_num_f32_e32 v4, 0x7cf0bdc2, v40
	v_fma_f32 v16, -v26, v41, v51
	v_fma_f32 v5, -v38, v39, v36
	v_fma_f32 v17, -v47, v52, 1.0
	s_mov_b32 vcc_lo, s0
	s_wait_loadcnt 0x9
	v_mul_f32_e32 v36, v4, v73
	v_fmac_f32_e32 v41, v16, v31
	s_wait_alu 0xfffe
	v_div_fmas_f32 v5, v5, v42, v39
	v_fmac_f32_e32 v52, v17, v52
	v_mul_f32_e32 v17, v25, v14
	s_mov_b32 vcc_lo, s1
	v_fma_f32 v25, -v26, v41, v51
	v_div_fixup_f32 v5, v5, v37, 1.0
	v_div_scale_f32 v16, s0, 1.0, v30, 1.0
	s_wait_alu 0xfffe
	s_delay_alu instid0(VALU_DEP_3) | instskip(NEXT) | instid1(VALU_DEP_3)
	v_div_fmas_f32 v25, v25, v31, v41
	v_mul_f32_e32 v4, v17, v5
	v_add_co_u32 v2, vcc_lo, s8, v2
	s_wait_alu 0xfffd
	v_add_co_ci_u32_e64 v3, null, s9, v3, vcc_lo
	v_div_fixup_f32 v5, v25, v21, 1.0
	v_mul_f32_e32 v18, v48, v11
	s_mov_b32 vcc_lo, s0
	s_delay_alu instid0(VALU_DEP_2) | instskip(NEXT) | instid1(VALU_DEP_2)
	v_mul_f32_e32 v5, v17, v5
	v_div_scale_f32 v27, null, v18, v18, 1.0
	s_delay_alu instid0(VALU_DEP_1) | instskip(NEXT) | instid1(TRANS32_DEP_1)
	v_rcp_f32_e32 v37, v27
	v_fma_f32 v21, -v27, v37, 1.0
	s_delay_alu instid0(VALU_DEP_1) | instskip(NEXT) | instid1(VALU_DEP_1)
	v_dual_mul_f32 v26, v16, v52 :: v_dual_fmac_f32 v37, v21, v37
	v_fma_f32 v31, -v47, v26, v16
	s_delay_alu instid0(VALU_DEP_1) | instskip(NEXT) | instid1(VALU_DEP_1)
	v_dual_min_num_f32 v21, 0x7cf0bdc2, v5 :: v_dual_fmac_f32 v26, v31, v52
	v_fma_f32 v16, -v47, v26, v16
	s_wait_alu 0xfffe
	s_delay_alu instid0(VALU_DEP_1) | instskip(SKIP_2) | instid1(VALU_DEP_3)
	v_div_fmas_f32 v16, v16, v52, v26
	v_div_scale_f32 v17, vcc_lo, 1.0, v18, 1.0
	v_min_num_f32_e32 v4, 0x7cf0bdc2, v4
	v_div_fixup_f32 v16, v16, v30, 1.0
	s_delay_alu instid0(VALU_DEP_3)
	v_mul_f32_e32 v25, v17, v37
	v_mul_f32_e32 v11, v22, v11
	s_wait_loadcnt 0x8
	v_mul_f32_e32 v13, v13, v4
	v_add_co_u32 v4, s0, s8, v6
	v_mul_f32_e32 v16, v23, v16
	v_fma_f32 v22, -v27, v25, v17
	v_div_scale_f32 v23, null, v11, v11, 1.0
	s_wait_alu 0xf1ff
	v_add_co_ci_u32_e64 v5, null, s9, v7, s0
	s_wait_loadcnt 0x7
	v_dual_mul_f32 v21, v63, v21 :: v_dual_min_num_f32 v16, 0x7cf0bdc2, v16
	v_add_co_u32 v6, s0, s8, v19
	v_fmac_f32_e32 v25, v22, v37
	s_wait_alu 0xf1ff
	v_add_co_ci_u32_e64 v7, null, s9, v20, s0
	v_rcp_f32_e32 v19, v23
	s_clause 0x1
	global_store_b32 v[2:3], v36, off
	global_store_b32 v[4:5], v13, off
	s_wait_loadcnt 0x6
	v_mul_f32_e32 v4, v75, v16
	v_fma_f32 v2, -v27, v25, v17
	global_store_b32 v[6:7], v21, off
	s_wait_loadcnt 0x5
	v_div_scale_f32 v6, null, v64, v64, 1.0
	v_div_scale_f32 v21, null, v15, v15, 1.0
	s_wait_alu 0xfffd
	v_div_fmas_f32 v2, v2, v37, v25
	v_fma_f32 v3, -v23, v19, 1.0
	v_rcp_f32_e32 v16, v6
	v_div_scale_f32 v13, vcc_lo, 1.0, v11, 1.0
	s_delay_alu instid0(VALU_DEP_3)
	v_div_fixup_f32 v7, v2, v18, 1.0
	v_add_co_u32 v2, s0, s8, v45
	v_fmac_f32_e32 v19, v3, v19
	s_wait_alu 0xf1ff
	v_add_co_ci_u32_e64 v3, null, s9, v46, s0
	v_div_scale_f32 v20, s0, 1.0, v64, 1.0
	v_rcp_f32_e32 v26, v21
	global_store_b32 v[2:3], v4, off
	v_fma_f32 v2, -v6, v16, 1.0
	s_delay_alu instid0(VALU_DEP_1) | instskip(NEXT) | instid1(VALU_DEP_1)
	v_dual_mul_f32 v5, v12, v14 :: v_dual_fmac_f32 v16, v2, v16
	v_mul_f32_e32 v5, v5, v7
	v_mul_f32_e32 v7, v13, v19
	v_add_co_u32 v2, s1, s8, v43
	s_delay_alu instid0(VALU_DEP_2) | instskip(NEXT) | instid1(VALU_DEP_1)
	v_fma_f32 v4, -v23, v7, v13
	v_fmac_f32_e32 v7, v4, v19
	v_mul_f32_e32 v4, v20, v16
	s_delay_alu instid0(VALU_DEP_2) | instskip(NEXT) | instid1(VALU_DEP_2)
	v_fma_f32 v13, -v23, v7, v13
	v_fma_f32 v14, -v6, v4, v20
	s_wait_alu 0xfffd
	s_delay_alu instid0(VALU_DEP_2) | instskip(NEXT) | instid1(VALU_DEP_2)
	v_div_fmas_f32 v7, v13, v19, v7
	v_dual_fmac_f32 v4, v14, v16 :: v_dual_min_num_f32 v3, 0x7cf0bdc2, v5
	v_mul_f32_e32 v17, v48, v64
	s_mov_b32 vcc_lo, s0
	s_delay_alu instid0(VALU_DEP_3) | instskip(NEXT) | instid1(VALU_DEP_3)
	v_div_fixup_f32 v7, v7, v11, 1.0
	v_fma_f32 v6, -v6, v4, v20
	s_wait_loadcnt 0x4
	v_mul_f32_e32 v22, v86, v3
	v_div_scale_f32 v18, null, v17, v17, 1.0
	v_mul_f32_e32 v11, v48, v10
	s_wait_alu 0xfffe
	v_div_fmas_f32 v4, v6, v16, v4
	v_mul_f32_e32 v7, v9, v7
	v_rcp_f32_e32 v5, v18
	v_add_co_ci_u32_e64 v3, null, s9, v44, s1
	v_mul_f32_e32 v9, v12, v11
	v_div_fixup_f32 v4, v4, v64, 1.0
	v_div_scale_f32 v23, s1, 1.0, v17, 1.0
	v_div_scale_f32 v14, s2, 1.0, v15, 1.0
	s_delay_alu instid0(VALU_DEP_3) | instskip(NEXT) | instid1(TRANS32_DEP_1)
	v_mul_f32_e32 v4, v9, v4
	v_fma_f32 v25, -v18, v5, 1.0
	s_mov_b32 vcc_lo, s1
	v_mul_f32_e32 v9, v24, v10
	s_delay_alu instid0(VALU_DEP_2) | instskip(SKIP_1) | instid1(VALU_DEP_1)
	v_fmac_f32_e32 v5, v25, v5
	v_fma_f32 v25, -v21, v26, 1.0
	v_dual_mul_f32 v13, v23, v5 :: v_dual_fmac_f32 v26, v25, v26
	s_delay_alu instid0(VALU_DEP_1) | instskip(NEXT) | instid1(VALU_DEP_1)
	v_fma_f32 v19, -v18, v13, v23
	v_dual_mul_f32 v20, v14, v26 :: v_dual_fmac_f32 v13, v19, v5
	s_delay_alu instid0(VALU_DEP_1) | instskip(NEXT) | instid1(VALU_DEP_2)
	v_fma_f32 v6, -v21, v20, v14
	v_fma_f32 v11, -v18, v13, v23
	s_delay_alu instid0(VALU_DEP_2) | instskip(SKIP_2) | instid1(VALU_DEP_3)
	v_fmac_f32_e32 v20, v6, v26
	v_min_num_f32_e32 v6, 0x7cf0bdc2, v7
	s_wait_alu 0xfffe
	v_div_fmas_f32 v5, v11, v5, v13
	s_delay_alu instid0(VALU_DEP_3) | instskip(SKIP_1) | instid1(VALU_DEP_2)
	v_fma_f32 v7, -v21, v20, v14
	s_mov_b32 vcc_lo, s2
	v_div_fixup_f32 v5, v5, v17, 1.0
	s_wait_alu 0xfffe
	s_delay_alu instid0(VALU_DEP_2) | instskip(NEXT) | instid1(VALU_DEP_2)
	v_div_fmas_f32 v7, v7, v26, v20
	v_mul_f32_e32 v9, v9, v5
	s_delay_alu instid0(VALU_DEP_2) | instskip(SKIP_3) | instid1(VALU_DEP_3)
	v_div_fixup_f32 v7, v7, v15, 1.0
	s_wait_loadcnt 0x3
	v_dual_mul_f32 v11, v53, v6 :: v_dual_min_num_f32 v6, 0x7cf0bdc2, v4
	v_add_co_u32 v4, vcc_lo, s8, v28
	v_dual_mul_f32 v8, v8, v7 :: v_dual_min_num_f32 v9, 0x7cf0bdc2, v9
	s_wait_alu 0xfffd
	v_add_co_ci_u32_e64 v5, null, s9, v29, vcc_lo
	s_wait_loadcnt 0x2
	v_mul_f32_e32 v10, v56, v6
	v_add_co_u32 v6, vcc_lo, s8, v32
	v_min_num_f32_e32 v13, 0x7cf0bdc2, v8
	s_wait_alu 0xfffd
	v_add_co_ci_u32_e64 v7, null, s9, v33, vcc_lo
	v_add_co_u32 v8, vcc_lo, s8, v34
	s_wait_loadcnt 0x1
	v_mul_f32_e32 v12, v74, v9
	s_wait_alu 0xfffd
	v_add_co_ci_u32_e64 v9, null, s9, v35, vcc_lo
	v_add_co_u32 v0, vcc_lo, s8, v0
	s_wait_loadcnt 0x0
	v_mul_f32_e32 v13, v49, v13
	s_wait_alu 0xfffd
	v_add_co_ci_u32_e64 v1, null, s9, v1, vcc_lo
	s_clause 0x4
	global_store_b32 v[2:3], v22, off
	global_store_b32 v[4:5], v11, off
	;; [unrolled: 1-line block ×5, first 2 shown]
	s_endpgm
	.section	.rodata,"a",@progbits
	.p2align	6, 0x0
	.amdhsa_kernel _Z12ratt3_kernelIfEvPKT_S2_PS0_S2_S0_
		.amdhsa_group_segment_fixed_size 0
		.amdhsa_private_segment_fixed_size 0
		.amdhsa_kernarg_size 296
		.amdhsa_user_sgpr_count 2
		.amdhsa_user_sgpr_dispatch_ptr 0
		.amdhsa_user_sgpr_queue_ptr 0
		.amdhsa_user_sgpr_kernarg_segment_ptr 1
		.amdhsa_user_sgpr_dispatch_id 0
		.amdhsa_user_sgpr_private_segment_size 0
		.amdhsa_wavefront_size32 1
		.amdhsa_uses_dynamic_stack 0
		.amdhsa_enable_private_segment 0
		.amdhsa_system_sgpr_workgroup_id_x 1
		.amdhsa_system_sgpr_workgroup_id_y 0
		.amdhsa_system_sgpr_workgroup_id_z 0
		.amdhsa_system_sgpr_workgroup_info 0
		.amdhsa_system_vgpr_workitem_id 0
		.amdhsa_next_free_vgpr 95
		.amdhsa_next_free_sgpr 13
		.amdhsa_reserve_vcc 1
		.amdhsa_float_round_mode_32 0
		.amdhsa_float_round_mode_16_64 0
		.amdhsa_float_denorm_mode_32 3
		.amdhsa_float_denorm_mode_16_64 3
		.amdhsa_fp16_overflow 0
		.amdhsa_workgroup_processor_mode 1
		.amdhsa_memory_ordered 1
		.amdhsa_forward_progress 1
		.amdhsa_inst_pref_size 46
		.amdhsa_round_robin_scheduling 0
		.amdhsa_exception_fp_ieee_invalid_op 0
		.amdhsa_exception_fp_denorm_src 0
		.amdhsa_exception_fp_ieee_div_zero 0
		.amdhsa_exception_fp_ieee_overflow 0
		.amdhsa_exception_fp_ieee_underflow 0
		.amdhsa_exception_fp_ieee_inexact 0
		.amdhsa_exception_int_div_zero 0
	.end_amdhsa_kernel
	.section	.text._Z12ratt3_kernelIfEvPKT_S2_PS0_S2_S0_,"axG",@progbits,_Z12ratt3_kernelIfEvPKT_S2_PS0_S2_S0_,comdat
.Lfunc_end4:
	.size	_Z12ratt3_kernelIfEvPKT_S2_PS0_S2_S0_, .Lfunc_end4-_Z12ratt3_kernelIfEvPKT_S2_PS0_S2_S0_
                                        ; -- End function
	.set _Z12ratt3_kernelIfEvPKT_S2_PS0_S2_S0_.num_vgpr, 95
	.set _Z12ratt3_kernelIfEvPKT_S2_PS0_S2_S0_.num_agpr, 0
	.set _Z12ratt3_kernelIfEvPKT_S2_PS0_S2_S0_.numbered_sgpr, 13
	.set _Z12ratt3_kernelIfEvPKT_S2_PS0_S2_S0_.num_named_barrier, 0
	.set _Z12ratt3_kernelIfEvPKT_S2_PS0_S2_S0_.private_seg_size, 0
	.set _Z12ratt3_kernelIfEvPKT_S2_PS0_S2_S0_.uses_vcc, 1
	.set _Z12ratt3_kernelIfEvPKT_S2_PS0_S2_S0_.uses_flat_scratch, 0
	.set _Z12ratt3_kernelIfEvPKT_S2_PS0_S2_S0_.has_dyn_sized_stack, 0
	.set _Z12ratt3_kernelIfEvPKT_S2_PS0_S2_S0_.has_recursion, 0
	.set _Z12ratt3_kernelIfEvPKT_S2_PS0_S2_S0_.has_indirect_call, 0
	.section	.AMDGPU.csdata,"",@progbits
; Kernel info:
; codeLenInByte = 5856
; TotalNumSgprs: 15
; NumVgprs: 95
; ScratchSize: 0
; MemoryBound: 0
; FloatMode: 240
; IeeeMode: 1
; LDSByteSize: 0 bytes/workgroup (compile time only)
; SGPRBlocks: 0
; VGPRBlocks: 11
; NumSGPRsForWavesPerEU: 15
; NumVGPRsForWavesPerEU: 95
; Occupancy: 16
; WaveLimiterHint : 0
; COMPUTE_PGM_RSRC2:SCRATCH_EN: 0
; COMPUTE_PGM_RSRC2:USER_SGPR: 2
; COMPUTE_PGM_RSRC2:TRAP_HANDLER: 0
; COMPUTE_PGM_RSRC2:TGID_X_EN: 1
; COMPUTE_PGM_RSRC2:TGID_Y_EN: 0
; COMPUTE_PGM_RSRC2:TGID_Z_EN: 0
; COMPUTE_PGM_RSRC2:TIDIG_COMP_CNT: 0
	.section	.text._Z12ratt4_kernelIfEvPKT_S2_PS0_S2_S0_,"axG",@progbits,_Z12ratt4_kernelIfEvPKT_S2_PS0_S2_S0_,comdat
	.protected	_Z12ratt4_kernelIfEvPKT_S2_PS0_S2_S0_ ; -- Begin function _Z12ratt4_kernelIfEvPKT_S2_PS0_S2_S0_
	.globl	_Z12ratt4_kernelIfEvPKT_S2_PS0_S2_S0_
	.p2align	8
	.type	_Z12ratt4_kernelIfEvPKT_S2_PS0_S2_S0_,@function
_Z12ratt4_kernelIfEvPKT_S2_PS0_S2_S0_:  ; @_Z12ratt4_kernelIfEvPKT_S2_PS0_S2_S0_
; %bb.0:
	s_clause 0x3
	s_load_b32 s2, s[0:1], 0x34
	s_load_b32 s3, s[0:1], 0x28
	s_load_b256 s[4:11], s[0:1], 0x0
	s_load_b32 s0, s[0:1], 0x20
	s_wait_kmcnt 0x0
	s_and_b32 s2, s2, 0xffff
	s_delay_alu instid0(SALU_CYCLE_1)
	v_mad_co_u64_u32 v[0:1], null, ttmp9, s2, v[0:1]
	s_mul_i32 s2, s3, s2
	s_wait_alu 0xfffe
	s_mul_i32 s12, s2, 3
	v_mov_b32_e32 v1, 0
	s_mul_i32 s3, s2, 0xffffffd1
	v_add_nc_u32_e32 v2, s12, v0
	s_delay_alu instid0(VALU_DEP_2) | instskip(SKIP_1) | instid1(VALU_DEP_1)
	v_lshlrev_b64_e32 v[31:32], 2, v[0:1]
	v_dual_mov_b32 v3, v1 :: v_dual_add_nc_u32 v0, s2, v0
	v_mad_co_u64_u32 v[8:9], null, s2, 6, v[2:3]
	s_delay_alu instid0(VALU_DEP_3) | instskip(NEXT) | instid1(VALU_DEP_1)
	v_add_co_u32 v4, vcc_lo, s4, v31
	v_add_co_ci_u32_e64 v5, null, s5, v32, vcc_lo
	v_mov_b32_e32 v9, v1
	v_mad_co_u64_u32 v[14:15], null, s2, 13, v[0:1]
	global_load_b32 v40, v[4:5], off
	s_mul_i32 s4, s2, 48
	v_mad_co_u64_u32 v[4:5], null, s2, -5, v[8:9]
	v_mov_b32_e32 v5, v1
	v_mov_b32_e32 v15, v1
	v_lshlrev_b64_e32 v[2:3], 2, v[2:3]
	v_lshlrev_b64_e32 v[12:13], 2, v[0:1]
	s_delay_alu instid0(VALU_DEP_4) | instskip(SKIP_3) | instid1(VALU_DEP_3)
	v_mad_co_u64_u32 v[10:11], null, s2, 11, v[4:5]
	v_mov_b32_e32 v11, v1
	v_lshlrev_b64_e32 v[4:5], 2, v[4:5]
	v_lshlrev_b64_e32 v[15:16], 2, v[14:15]
	;; [unrolled: 1-line block ×3, first 2 shown]
	s_delay_alu instid0(VALU_DEP_3) | instskip(SKIP_1) | instid1(VALU_DEP_4)
	v_add_co_u32 v4, vcc_lo, s10, v4
	s_wait_alu 0xfffd
	v_add_co_ci_u32_e64 v5, null, s11, v5, vcc_lo
	s_delay_alu instid0(VALU_DEP_4) | instskip(NEXT) | instid1(VALU_DEP_4)
	v_mad_co_u64_u32 v[18:19], null, s2, 37, v[14:15]
	v_add_co_u32 v6, vcc_lo, s10, v6
	s_wait_alu 0xfffd
	v_add_co_ci_u32_e64 v7, null, s11, v7, vcc_lo
	v_add_co_u32 v2, vcc_lo, s10, v2
	v_mov_b32_e32 v19, v1
	s_wait_alu 0xfffd
	v_add_co_ci_u32_e64 v3, null, s11, v3, vcc_lo
	v_add_co_u32 v12, vcc_lo, s10, v12
	s_wait_alu 0xfffd
	v_add_co_ci_u32_e64 v13, null, s11, v13, vcc_lo
	v_add_co_u32 v20, vcc_lo, s10, v15
	s_wait_alu 0xfffd
	v_add_co_ci_u32_e64 v21, null, s11, v16, vcc_lo
	v_mad_co_u64_u32 v[16:17], null, 0xffffffdd, s2, v[18:19]
	v_mov_b32_e32 v17, v1
	s_clause 0x3
	global_load_b32 v33, v[4:5], off
	global_load_b32 v35, v[6:7], off
	;; [unrolled: 1-line block ×4, first 2 shown]
	v_mad_co_u64_u32 v[28:29], null, s2, 36, v[16:17]
	s_wait_alu 0xfffe
	s_delay_alu instid0(VALU_DEP_1) | instskip(SKIP_1) | instid1(VALU_DEP_1)
	v_add_nc_u32_e32 v0, s3, v28
	v_lshlrev_b64_e32 v[8:9], 2, v[8:9]
	v_add_co_u32 v14, vcc_lo, s10, v8
	s_wait_alu 0xfffd
	s_delay_alu instid0(VALU_DEP_2)
	v_add_co_ci_u32_e64 v15, null, s11, v9, vcc_lo
	v_lshlrev_b64_e32 v[8:9], 2, v[16:17]
	s_clause 0x1
	global_load_b32 v34, v[2:3], off
	global_load_b32 v38, v[14:15], off
	v_add_co_u32 v24, vcc_lo, s10, v8
	s_wait_alu 0xfffd
	v_add_co_ci_u32_e64 v25, null, s11, v9, vcc_lo
	v_mad_co_u64_u32 v[8:9], null, s2, 35, v[10:11]
	v_mov_b32_e32 v9, v1
	v_lshlrev_b64_e32 v[10:11], 2, v[0:1]
	v_add_nc_u32_e32 v0, s12, v0
	global_load_b32 v41, v[24:25], off
	v_lshlrev_b64_e32 v[8:9], 2, v[8:9]
	v_lshlrev_b64_e32 v[22:23], 2, v[0:1]
	s_delay_alu instid0(VALU_DEP_2) | instskip(SKIP_1) | instid1(VALU_DEP_3)
	v_add_co_u32 v16, vcc_lo, s6, v8
	s_wait_alu 0xfffd
	v_add_co_ci_u32_e64 v17, null, s7, v9, vcc_lo
	v_add_co_u32 v10, vcc_lo, s10, v10
	s_wait_alu 0xfffd
	v_add_co_ci_u32_e64 v11, null, s11, v11, vcc_lo
	global_load_b32 v44, v[16:17], off
	v_add_co_u32 v16, vcc_lo, s10, v22
	s_wait_alu 0xfffd
	v_add_co_ci_u32_e64 v17, null, s11, v23, vcc_lo
	s_clause 0x1
	global_load_b32 v37, v[10:11], off
	global_load_b32 v39, v[16:17], off
	v_mad_co_u64_u32 v[16:17], null, s2, 45, v[0:1]
	s_delay_alu instid0(VALU_DEP_1) | instskip(NEXT) | instid1(VALU_DEP_1)
	v_add_nc_u32_e32 v0, s3, v16
	v_lshlrev_b64_e32 v[22:23], 2, v[0:1]
	v_add_nc_u32_e32 v0, s4, v0
	s_delay_alu instid0(VALU_DEP_1) | instskip(SKIP_1) | instid1(VALU_DEP_1)
	v_mad_co_u64_u32 v[26:27], null, 0xffffffd7, s2, v[0:1]
	v_mov_b32_e32 v27, v1
	v_mad_co_u64_u32 v[29:30], null, s2, 12, v[26:27]
	v_mov_b32_e32 v30, v1
	v_lshlrev_b64_e32 v[17:18], 2, v[18:19]
	s_delay_alu instid0(VALU_DEP_2) | instskip(NEXT) | instid1(VALU_DEP_1)
	v_lshlrev_b64_e32 v[45:46], 2, v[29:30]
	v_add_co_u32 v45, vcc_lo, s10, v45
	s_wait_alu 0xfffd
	s_delay_alu instid0(VALU_DEP_2)
	v_add_co_ci_u32_e64 v46, null, s11, v46, vcc_lo
	v_add_co_u32 v30, vcc_lo, s10, v31
	s_wait_alu 0xfffd
	v_add_co_ci_u32_e64 v31, null, s11, v32, vcc_lo
	s_clause 0x4
	global_load_b32 v42, v[45:46], off
	global_load_b32 v32, v[30:31], off
	;; [unrolled: 1-line block ×5, first 2 shown]
	v_add_co_u32 v12, vcc_lo, s6, v17
	s_wait_alu 0xfffd
	v_add_co_ci_u32_e64 v13, null, s7, v18, vcc_lo
	v_add_co_u32 v50, vcc_lo, s8, v17
	s_wait_alu 0xfffd
	v_add_co_ci_u32_e64 v51, null, s9, v18, vcc_lo
	global_load_b32 v79, v[12:13], off
	s_wait_loadcnt 0xa
	v_dual_mov_b32 v17, v1 :: v_dual_mul_f32 v84, v34, v38
	s_wait_loadcnt 0x9
	v_mul_f32_e32 v85, v36, v41
	s_wait_loadcnt 0x1
	v_mad_co_u64_u32 v[46:47], null, s2, 30, v[29:30]
	v_mov_b32_e32 v47, v1
	v_mov_b32_e32 v29, v1
	s_delay_alu instid0(VALU_DEP_2) | instskip(SKIP_1) | instid1(VALU_DEP_3)
	v_mad_co_u64_u32 v[48:49], null, 0xffffffdb, s2, v[46:47]
	v_mov_b32_e32 v49, v1
	v_lshlrev_b64_e32 v[12:13], 2, v[28:29]
	s_clause 0x4
	global_load_b32 v20, v[24:25], off
	global_load_b32 v24, v[6:7], off
	;; [unrolled: 1-line block ×5, first 2 shown]
	v_lshlrev_b64_e32 v[2:3], 2, v[0:1]
	v_mad_co_u64_u32 v[52:53], null, s2, 38, v[48:49]
	v_add_co_u32 v53, vcc_lo, s8, v8
	s_wait_alu 0xfffd
	v_add_co_ci_u32_e64 v54, null, s9, v9, vcc_lo
	v_add_co_u32 v4, vcc_lo, s6, v12
	s_delay_alu instid0(VALU_DEP_4)
	v_add_nc_u32_e32 v0, s2, v52
	v_lshlrev_b64_e32 v[8:9], 2, v[16:17]
	s_wait_alu 0xfffd
	v_add_co_ci_u32_e64 v5, null, s7, v13, vcc_lo
	v_add_co_u32 v57, vcc_lo, s8, v12
	v_lshlrev_b64_e32 v[55:56], 2, v[0:1]
	v_add_nc_u32_e32 v0, s3, v0
	s_wait_alu 0xfffd
	v_add_co_ci_u32_e64 v58, null, s9, v13, vcc_lo
	global_load_b32 v80, v[4:5], off
	global_load_b32 v29, v[10:11], off
	v_add_co_u32 v4, vcc_lo, s6, v8
	v_lshlrev_b64_e32 v[6:7], 2, v[0:1]
	v_add_nc_u32_e32 v0, s4, v0
	s_wait_alu 0xfffd
	v_add_co_ci_u32_e64 v5, null, s7, v9, vcc_lo
	v_add_co_u32 v61, vcc_lo, s8, v8
	s_delay_alu instid0(VALU_DEP_3)
	v_lshlrev_b64_e32 v[18:19], 2, v[0:1]
	v_add_nc_u32_e32 v0, s2, v0
	global_load_b32 v81, v[4:5], off
	v_mul_f32_e32 v4, s0, v40
	s_wait_alu 0xfffd
	v_add_co_ci_u32_e64 v62, null, s9, v9, vcc_lo
	v_mad_co_u64_u32 v[59:60], null, 0xffffffc7, s2, v[0:1]
	v_mov_b32_e32 v60, v1
	v_lshlrev_b64_e32 v[16:17], 2, v[0:1]
	s_delay_alu instid0(VALU_DEP_2) | instskip(SKIP_4) | instid1(VALU_DEP_4)
	v_mad_co_u64_u32 v[63:64], null, s2, 58, v[59:60]
	v_add_co_u32 v64, vcc_lo, s10, v22
	s_wait_alu 0xfffd
	v_add_co_ci_u32_e64 v65, null, s11, v23, vcc_lo
	v_add_co_u32 v66, vcc_lo, s6, v2
	v_add_nc_u32_e32 v0, s2, v63
	v_mul_f32_e32 v22, 0x4c9e9632, v4
	s_wait_alu 0xfffd
	v_add_co_ci_u32_e64 v67, null, s7, v3, vcc_lo
	v_add_co_u32 v68, vcc_lo, s8, v2
	v_lshlrev_b64_e32 v[12:13], 2, v[0:1]
	v_add_nc_u32_e32 v0, s2, v0
	s_wait_alu 0xfffd
	v_add_co_ci_u32_e64 v69, null, s9, v3, vcc_lo
	v_lshlrev_b64_e32 v[2:3], 2, v[26:27]
	v_lshlrev_b64_e32 v[4:5], 2, v[48:49]
	v_mad_co_u64_u32 v[26:27], null, 0xffffffcd, s2, v[0:1]
	v_mov_b32_e32 v27, v1
	v_div_scale_f32 v23, null, v22, v22, 1.0
	s_delay_alu instid0(VALU_DEP_4) | instskip(SKIP_2) | instid1(VALU_DEP_3)
	v_add_co_u32 v4, vcc_lo, s10, v4
	s_wait_alu 0xfffd
	v_add_co_ci_u32_e64 v5, null, s11, v5, vcc_lo
	v_rcp_f32_e32 v40, v23
	v_add_co_u32 v48, vcc_lo, s10, v2
	s_wait_alu 0xfffd
	v_add_co_ci_u32_e64 v49, null, s11, v3, vcc_lo
	v_lshlrev_b64_e32 v[2:3], 2, v[46:47]
	v_mad_co_u64_u32 v[46:47], null, s2, 52, v[26:27]
	v_mul_f32_e32 v47, v33, v35
	global_load_b32 v82, v[4:5], off
	v_fma_f32 v4, -v23, v40, 1.0
	v_add_co_u32 v70, vcc_lo, s6, v2
	v_div_scale_f32 v76, null, v47, v47, 1.0
	s_wait_alu 0xfffd
	v_add_co_ci_u32_e64 v71, null, s7, v3, vcc_lo
	v_div_scale_f32 v5, vcc_lo, 1.0, v22, 1.0
	s_delay_alu instid0(VALU_DEP_3) | instskip(SKIP_4) | instid1(VALU_DEP_3)
	v_rcp_f32_e32 v77, v76
	v_fmac_f32_e32 v40, v4, v40
	v_add_co_u32 v72, s0, s8, v2
	s_wait_alu 0xf1ff
	v_add_co_ci_u32_e64 v73, null, s9, v3, s0
	v_mul_f32_e32 v4, v5, v40
	v_add_co_u32 v74, s0, s10, v6
	s_wait_alu 0xf1ff
	v_add_co_ci_u32_e64 v75, null, s11, v7, s0
	s_delay_alu instid0(VALU_DEP_3) | instskip(SKIP_3) | instid1(VALU_DEP_4)
	v_fma_f32 v2, -v23, v4, v5
	v_div_scale_f32 v78, s0, 1.0, v47, 1.0
	v_lshlrev_b64_e32 v[14:15], 2, v[0:1]
	v_lshlrev_b64_e32 v[26:27], 2, v[26:27]
	v_fmac_f32_e32 v4, v2, v40
	v_fma_f32 v2, -v76, v77, 1.0
	v_mul_f32_e32 v35, v35, v36
	s_delay_alu instid0(VALU_DEP_3) | instskip(NEXT) | instid1(VALU_DEP_3)
	v_fma_f32 v3, -v23, v4, v5
	v_dual_fmac_f32 v77, v2, v77 :: v_dual_add_nc_u32 v0, s2, v46
	s_wait_alu 0xfffd
	s_delay_alu instid0(VALU_DEP_2) | instskip(NEXT) | instid1(VALU_DEP_2)
	v_div_fmas_f32 v2, v3, v40, v4
	v_mul_f32_e32 v23, v78, v77
	v_lshlrev_b64_e32 v[4:5], 2, v[59:60]
	v_mul_f32_e32 v40, v36, v36
	v_lshlrev_b64_e32 v[10:11], 2, v[0:1]
	v_add_nc_u32_e32 v0, s2, v0
	v_fma_f32 v59, -v76, v23, v78
	v_div_fixup_f32 v22, v2, v22, 1.0
	v_mul_f32_e32 v40, v40, v43
	s_delay_alu instid0(VALU_DEP_4) | instskip(NEXT) | instid1(VALU_DEP_4)
	v_lshlrev_b64_e32 v[8:9], 2, v[0:1]
	v_fmac_f32_e32 v23, v59, v77
	v_add_co_u32 v59, vcc_lo, s10, v4
	s_wait_alu 0xfffd
	v_add_co_ci_u32_e64 v60, null, s11, v5, vcc_lo
	s_delay_alu instid0(VALU_DEP_3) | instskip(SKIP_3) | instid1(VALU_DEP_2)
	v_fma_f32 v43, -v76, v23, v78
	s_mov_b32 vcc_lo, s0
	v_add_nc_u32_e32 v0, s2, v0
	s_wait_alu 0xfffe
	v_div_fmas_f32 v23, v43, v77, v23
	v_add_co_u32 v26, vcc_lo, s10, v26
	s_delay_alu instid0(VALU_DEP_3) | instskip(SKIP_4) | instid1(VALU_DEP_2)
	v_lshlrev_b64_e32 v[6:7], 2, v[0:1]
	s_wait_alu 0xfffd
	v_add_co_ci_u32_e64 v27, null, s11, v27, vcc_lo
	v_div_fixup_f32 v23, v23, v47, 1.0
	v_div_scale_f32 v47, null, v85, v85, 1.0
	v_mul_f32_e32 v23, v84, v23
	s_delay_alu instid0(VALU_DEP_2) | instskip(NEXT) | instid1(VALU_DEP_1)
	v_rcp_f32_e32 v87, v47
	v_dual_min_num_f32 v23, 0x7cf0bdc2, v23 :: v_dual_add_nc_u32 v0, s2, v0
	s_delay_alu instid0(VALU_DEP_1) | instskip(NEXT) | instid1(VALU_DEP_2)
	v_lshlrev_b64_e32 v[2:3], 2, v[0:1]
	v_mul_f32_e32 v44, v44, v23
	s_clause 0x1
	global_load_b32 v89, v[64:65], off
	global_load_b32 v23, v[64:65], off
	v_fma_f32 v64, -v47, v87, 1.0
	v_mul_f32_e32 v22, 0x49776020, v22
	global_load_b32 v66, v[66:67], off
	global_store_b32 v[53:54], v44, off
	v_fmac_f32_e32 v87, v64, v87
	v_mul_f32_e32 v83, v22, v40
	s_delay_alu instid0(VALU_DEP_1) | instskip(NEXT) | instid1(VALU_DEP_1)
	v_div_scale_f32 v40, null, v83, v83, 1.0
	v_rcp_f32_e32 v86, v40
	s_delay_alu instid0(TRANS32_DEP_1) | instskip(NEXT) | instid1(VALU_DEP_1)
	v_fma_f32 v43, -v40, v86, 1.0
	v_fmac_f32_e32 v86, v43, v86
	v_div_scale_f32 v88, vcc_lo, 1.0, v83, 1.0
	s_delay_alu instid0(VALU_DEP_1) | instskip(NEXT) | instid1(VALU_DEP_1)
	v_dual_mul_f32 v53, v88, v86 :: v_dual_add_nc_u32 v0, s2, v0
	v_lshlrev_b64_e32 v[4:5], 2, v[0:1]
	v_add_nc_u32_e32 v0, s2, v0
	s_delay_alu instid0(VALU_DEP_3) | instskip(NEXT) | instid1(VALU_DEP_2)
	v_fma_f32 v65, -v40, v53, v88
	v_mad_co_u64_u32 v[76:77], null, 0xffffffcc, s2, v[0:1]
	v_mov_b32_e32 v77, v1
	s_delay_alu instid0(VALU_DEP_3) | instskip(NEXT) | instid1(VALU_DEP_2)
	v_fmac_f32_e32 v53, v65, v86
	v_lshlrev_b64_e32 v[77:78], 2, v[76:77]
	s_delay_alu instid0(VALU_DEP_2)
	v_fma_f32 v40, -v40, v53, v88
	s_clause 0x1
	global_load_b32 v88, v[48:49], off
	global_load_b32 v90, v[48:49], off
	;; [unrolled: 1-line block ×3, first 2 shown]
	v_add_co_u32 v43, s0, s10, v77
	s_wait_alu 0xf1ff
	v_add_co_ci_u32_e64 v44, null, s11, v78, s0
	v_div_scale_f32 v65, s0, 1.0, v85, 1.0
	s_wait_alu 0xfffd
	v_div_fmas_f32 v78, v40, v86, v53
	v_mul_f32_e32 v86, v33, v41
	s_mov_b32 vcc_lo, s0
	v_mul_f32_e32 v77, v65, v87
	v_mov_b32_e32 v53, v1
	s_delay_alu instid0(VALU_DEP_3) | instskip(NEXT) | instid1(VALU_DEP_3)
	v_div_scale_f32 v48, null, v86, v86, 1.0
	v_fma_f32 v40, -v47, v77, v65
	s_delay_alu instid0(VALU_DEP_2) | instskip(NEXT) | instid1(VALU_DEP_1)
	v_rcp_f32_e32 v49, v48
	v_fmac_f32_e32 v77, v40, v87
	s_delay_alu instid0(VALU_DEP_1) | instskip(SKIP_1) | instid1(VALU_DEP_1)
	v_fma_f32 v40, -v47, v77, v65
	s_wait_alu 0xfffe
	v_div_fmas_f32 v65, v40, v87, v77
	s_delay_alu instid0(TRANS32_DEP_1) | instskip(SKIP_2) | instid1(VALU_DEP_4)
	v_fma_f32 v40, -v48, v49, 1.0
	v_mul_f32_e32 v54, v37, v39
	v_div_scale_f32 v87, null, v42, v42, 1.0
	v_div_fixup_f32 v65, v65, v85, 1.0
	s_delay_alu instid0(VALU_DEP_4) | instskip(NEXT) | instid1(VALU_DEP_4)
	v_fmac_f32_e32 v49, v40, v49
	v_div_scale_f32 v64, null, v54, v54, 1.0
	s_delay_alu instid0(VALU_DEP_4) | instskip(NEXT) | instid1(VALU_DEP_1)
	v_rcp_f32_e32 v91, v87
	v_rcp_f32_e32 v67, v64
	s_delay_alu instid0(TRANS32_DEP_1) | instskip(NEXT) | instid1(VALU_DEP_1)
	v_fma_f32 v41, -v64, v67, 1.0
	v_fmac_f32_e32 v67, v41, v67
	v_div_scale_f32 v41, s1, 1.0, v54, 1.0
	s_mov_b32 vcc_lo, s1
	v_mul_f32_e32 v47, v41, v67
	s_delay_alu instid0(VALU_DEP_1) | instskip(NEXT) | instid1(VALU_DEP_1)
	v_fma_f32 v40, -v64, v47, v41
	v_fmac_f32_e32 v47, v40, v67
	v_div_scale_f32 v77, s0, 1.0, v86, 1.0
	s_delay_alu instid0(VALU_DEP_2) | instskip(SKIP_1) | instid1(VALU_DEP_1)
	v_fma_f32 v40, -v64, v47, v41
	s_wait_alu 0xfffe
	v_div_fmas_f32 v67, v40, v67, v47
	v_fma_f32 v47, -v87, v91, 1.0
	v_mul_f32_e32 v64, v77, v49
	s_mov_b32 vcc_lo, s0
	s_delay_alu instid0(VALU_DEP_2) | instskip(NEXT) | instid1(VALU_DEP_2)
	v_fmac_f32_e32 v91, v47, v91
	v_fma_f32 v40, -v48, v64, v77
	s_delay_alu instid0(VALU_DEP_1) | instskip(SKIP_2) | instid1(VALU_DEP_3)
	v_fmac_f32_e32 v64, v40, v49
	v_lshlrev_b64_e32 v[40:41], 2, v[52:53]
	v_div_scale_f32 v52, s1, 1.0, v42, 1.0
	v_fma_f32 v48, -v48, v64, v77
	s_delay_alu instid0(VALU_DEP_2) | instskip(SKIP_1) | instid1(VALU_DEP_2)
	v_mul_f32_e32 v53, v52, v91
	s_wait_alu 0xfffe
	v_div_fmas_f32 v49, v48, v49, v64
	v_add_co_u32 v47, vcc_lo, s6, v40
	s_wait_alu 0xfffd
	v_add_co_ci_u32_e64 v48, null, s7, v41, vcc_lo
	v_mov_b32_e32 v64, v1
	v_div_fixup_f32 v49, v49, v86, 1.0
	global_load_b32 v71, v[47:48], off
	v_fma_f32 v47, -v87, v53, v52
	s_delay_alu instid0(VALU_DEP_1)
	v_fmac_f32_e32 v53, v47, v91
	v_add_co_u32 v47, vcc_lo, s6, v55
	s_wait_alu 0xfffd
	v_add_co_ci_u32_e64 v48, null, s7, v56, vcc_lo
	global_load_b32 v77, v[47:48], off
	s_clause 0x1
	global_load_b32 v92, v[74:75], off
	global_load_b32 v74, v[74:75], off
	v_add_co_u32 v47, vcc_lo, s6, v18
	v_fma_f32 v52, -v87, v53, v52
	s_wait_alu 0xfffd
	v_add_co_ci_u32_e64 v48, null, s7, v19, vcc_lo
	s_mov_b32 vcc_lo, s1
	s_wait_alu 0xfffe
	v_div_fmas_f32 v87, v52, v91, v53
	global_load_b32 v75, v[47:48], off
	v_add_co_u32 v47, vcc_lo, s6, v16
	v_lshlrev_b64_e32 v[52:53], 2, v[63:64]
	s_wait_alu 0xfffd
	v_add_co_ci_u32_e64 v48, null, s7, v17, vcc_lo
	v_div_fixup_f32 v42, v87, v42, 1.0
	global_load_b32 v63, v[47:48], off
	v_add_co_u32 v47, vcc_lo, s6, v52
	s_wait_alu 0xfffd
	v_add_co_ci_u32_e64 v48, null, s7, v53, vcc_lo
	global_load_b32 v64, v[47:48], off
	v_add_co_u32 v47, vcc_lo, s6, v12
	s_wait_alu 0xfffd
	v_add_co_ci_u32_e64 v48, null, s7, v13, vcc_lo
	;; [unrolled: 4-line block ×3, first 2 shown]
	global_load_b32 v93, v[47:48], off
	global_load_b32 v94, v[26:27], off
	v_div_fixup_f32 v48, v78, v83, 1.0
	s_delay_alu instid0(VALU_DEP_1)
	v_dual_mov_b32 v47, v1 :: v_dual_mul_f32 v48, v84, v48
	global_load_b32 v84, v[43:44], off
	v_div_fixup_f32 v44, v67, v54, 1.0
	global_load_b32 v67, v[59:60], off
	v_lshlrev_b64_e32 v[26:27], 2, v[46:47]
	s_wait_loadcnt 0x12
	v_mul_f32_e32 v54, v82, v32
	s_delay_alu instid0(VALU_DEP_2) | instskip(SKIP_1) | instid1(VALU_DEP_3)
	v_add_co_u32 v46, vcc_lo, s6, v26
	s_wait_alu 0xfffd
	v_add_co_ci_u32_e64 v47, null, s7, v27, vcc_lo
	global_load_b32 v78, v[46:47], off
	v_add_co_u32 v46, vcc_lo, s6, v10
	s_wait_alu 0xfffd
	v_add_co_ci_u32_e64 v47, null, s7, v11, vcc_lo
	global_load_b32 v83, v[46:47], off
	v_min_num_f32_e32 v46, 0x7cf0bdc2, v48
	v_mul_f32_e32 v48, v38, v33
	s_delay_alu instid0(VALU_DEP_2)
	v_mul_f32_e32 v46, v79, v46
	global_store_b32 v[50:51], v46, off
	v_add_co_u32 v46, vcc_lo, s6, v8
	v_mul_f32_e32 v51, v36, v82
	v_mul_f32_e32 v50, v48, v65
	s_wait_alu 0xfffd
	v_add_co_ci_u32_e64 v47, null, s7, v9, vcc_lo
	v_mul_f32_e32 v44, v48, v44
	s_delay_alu instid0(VALU_DEP_3)
	v_min_num_f32_e32 v50, 0x7cf0bdc2, v50
	global_load_b32 v79, v[46:47], off
	v_add_co_u32 v46, vcc_lo, s6, v6
	s_wait_alu 0xfffd
	v_add_co_ci_u32_e64 v47, null, s7, v7, vcc_lo
	v_mul_f32_e32 v50, v80, v50
	v_min_num_f32_e32 v44, 0x7cf0bdc2, v44
	global_load_b32 v80, v[46:47], off
	v_add_co_u32 v46, vcc_lo, s6, v2
	global_store_b32 v[57:58], v50, off
	s_wait_alu 0xfffd
	v_add_co_ci_u32_e64 v47, null, s7, v3, vcc_lo
	v_div_scale_f32 v50, null, v51, v51, 1.0
	global_load_b32 v58, v[46:47], off
	v_rcp_f32_e32 v46, v50
	s_delay_alu instid0(TRANS32_DEP_1) | instskip(NEXT) | instid1(VALU_DEP_1)
	v_fma_f32 v43, -v50, v46, 1.0
	v_fmac_f32_e32 v46, v43, v46
	v_div_scale_f32 v43, vcc_lo, 1.0, v51, 1.0
	s_delay_alu instid0(VALU_DEP_1) | instskip(NEXT) | instid1(VALU_DEP_1)
	v_mul_f32_e32 v47, v43, v46
	v_fma_f32 v48, -v50, v47, v43
	s_delay_alu instid0(VALU_DEP_1) | instskip(NEXT) | instid1(VALU_DEP_1)
	v_fmac_f32_e32 v47, v48, v46
	v_fma_f32 v48, -v50, v47, v43
	v_mul_f32_e32 v50, v81, v44
	v_add_co_u32 v43, s0, s6, v4
	s_wait_alu 0xf1ff
	v_add_co_ci_u32_e64 v44, null, s7, v5, s0
	s_wait_alu 0xfffd
	v_div_fmas_f32 v48, v48, v46, v47
	v_lshlrev_b64_e32 v[46:47], 2, v[0:1]
	v_div_scale_f32 v0, null, v54, v54, 1.0
	global_store_b32 v[61:62], v50, off
	v_div_scale_f32 v61, null, v38, v38, 1.0
	v_rcp_f32_e32 v57, v0
	global_load_b32 v81, v[43:44], off
	v_add_co_u32 v43, vcc_lo, s6, v46
	s_wait_alu 0xfffd
	v_add_co_ci_u32_e64 v44, null, s7, v47, vcc_lo
	s_wait_loadcnt 0x17
	v_mul_f32_e32 v62, v38, v89
	v_rcp_f32_e32 v85, v61
	v_div_fixup_f32 v48, v48, v51, 1.0
	global_load_b32 v82, v[43:44], off
	v_fma_f32 v44, -v0, v57, 1.0
	v_mul_f32_e32 v43, v49, v62
	v_dual_mul_f32 v49, v38, v39 :: v_dual_mul_f32 v62, v39, v32
	s_delay_alu instid0(VALU_DEP_3) | instskip(NEXT) | instid1(VALU_DEP_2)
	v_fmac_f32_e32 v57, v44, v57
	v_dual_min_num_f32 v43, 0x7cf0bdc2, v43 :: v_dual_mul_f32 v44, v49, v48
	v_fma_f32 v48, -v61, v85, 1.0
	s_wait_loadcnt 0x16
	s_delay_alu instid0(VALU_DEP_2) | instskip(SKIP_3) | instid1(VALU_DEP_1)
	v_mul_f32_e32 v43, v66, v43
	v_div_scale_f32 v66, null, v62, v62, 1.0
	s_wait_loadcnt 0x15
	v_dual_fmac_f32 v85, v48, v85 :: v_dual_mul_f32 v50, v38, v88
	v_mul_f32_e32 v50, v22, v50
	s_delay_alu instid0(VALU_DEP_1) | instskip(SKIP_1) | instid1(VALU_DEP_1)
	v_mul_f32_e32 v42, v50, v42
	v_div_scale_f32 v50, vcc_lo, 1.0, v54, 1.0
	v_dual_min_num_f32 v42, 0x7cf0bdc2, v42 :: v_dual_mul_f32 v49, v50, v57
	s_delay_alu instid0(VALU_DEP_1) | instskip(NEXT) | instid1(VALU_DEP_1)
	v_fma_f32 v39, -v0, v49, v50
	v_fmac_f32_e32 v49, v39, v57
	v_add_co_u32 v39, s1, s8, v40
	s_wait_alu 0xf1ff
	v_add_co_ci_u32_e64 v40, null, s9, v41, s1
	v_dual_mul_f32 v41, v38, v38 :: v_dual_min_num_f32 v44, 0x7cf0bdc2, v44
	v_fma_f32 v0, -v0, v49, v50
	s_wait_alu 0xfffd
	s_delay_alu instid0(VALU_DEP_1) | instskip(NEXT) | instid1(VALU_DEP_1)
	v_div_fmas_f32 v0, v0, v57, v49
	v_div_fixup_f32 v0, v0, v54, 1.0
	s_wait_loadcnt 0x12
	v_mul_f32_e32 v51, v71, v44
	v_dual_mul_f32 v71, v88, v32 :: v_dual_mul_f32 v42, v70, v42
	s_clause 0x1
	global_store_b32 v[68:69], v43, off
	global_store_b32 v[72:73], v42, off
	v_rcp_f32_e32 v69, v66
	v_div_scale_f32 v68, s0, 1.0, v38, 1.0
	v_div_scale_f32 v70, s1, 1.0, v62, 1.0
	s_wait_loadcnt 0x11
	v_mad_co_u64_u32 v[42:43], null, s2, 53, v[76:77]
	s_delay_alu instid0(VALU_DEP_3)
	v_dual_mov_b32 v43, v1 :: v_dual_mul_f32 v50, v68, v85
	global_store_b32 v[39:40], v51, off
	v_fma_f32 v48, -v66, v69, 1.0
	v_mul_f32_e32 v76, v41, v0
	v_div_scale_f32 v73, null, v71, v71, 1.0
	v_lshlrev_b64_e32 v[43:44], 2, v[42:43]
	s_delay_alu instid0(VALU_DEP_4)
	v_fmac_f32_e32 v69, v48, v69
	v_fma_f32 v57, -v61, v50, v68
	v_min_num_f32_e32 v76, 0x7cf0bdc2, v76
	global_load_b32 v59, v[59:60], off
	s_wait_loadcnt 0x11
	v_mul_f32_e32 v32, v32, v92
	v_add_co_u32 v48, vcc_lo, s6, v43
	s_wait_alu 0xfffd
	v_add_co_ci_u32_e64 v49, null, s7, v44, vcc_lo
	v_fmac_f32_e32 v50, v57, v85
	v_mul_f32_e32 v76, v77, v76
	v_mul_f32_e32 v77, v36, v92
	global_load_b32 v72, v[48:49], off
	v_mul_f32_e32 v48, v70, v69
	v_fma_f32 v0, -v61, v50, v68
	v_rcp_f32_e32 v61, v73
	s_mov_b32 vcc_lo, s0
	s_delay_alu instid0(VALU_DEP_2) | instskip(SKIP_2) | instid1(VALU_DEP_2)
	v_fma_f32 v39, -v66, v48, v70
	s_wait_alu 0xfffe
	v_div_fmas_f32 v41, v0, v85, v50
	v_fmac_f32_e32 v48, v39, v69
	s_delay_alu instid0(VALU_DEP_2) | instskip(NEXT) | instid1(TRANS32_DEP_1)
	v_div_fixup_f32 v38, v41, v38, 1.0
	v_fma_f32 v50, -v73, v61, 1.0
	v_add_co_u32 v39, vcc_lo, s8, v55
	s_delay_alu instid0(VALU_DEP_4) | instskip(SKIP_1) | instid1(VALU_DEP_4)
	v_fma_f32 v49, -v66, v48, v70
	v_div_scale_f32 v70, null, v35, v35, 1.0
	v_fmac_f32_e32 v61, v50, v61
	s_wait_alu 0xfffd
	v_add_co_ci_u32_e64 v40, null, s9, v56, vcc_lo
	s_delay_alu instid0(VALU_DEP_3)
	v_rcp_f32_e32 v85, v70
	v_add_nc_u32_e32 v0, s2, v42
	s_mov_b32 vcc_lo, s1
	v_mul_f32_e32 v38, v38, v92
	s_wait_alu 0xfffe
	v_div_fmas_f32 v66, v49, v69, v48
	global_store_b32 v[39:40], v76, off
	v_lshlrev_b64_e32 v[41:42], 2, v[0:1]
	v_add_nc_u32_e32 v0, s2, v0
	v_min_num_f32_e32 v38, 0x7cf0bdc2, v38
	v_add_co_u32 v14, s1, s8, v14
	s_wait_alu 0xf1ff
	v_add_co_ci_u32_e64 v15, null, s9, v15, s1
	v_lshlrev_b64_e32 v[50:51], 2, v[0:1]
	v_add_co_u32 v48, vcc_lo, s6, v41
	s_wait_alu 0xfffd
	v_add_co_ci_u32_e64 v49, null, s7, v42, vcc_lo
	v_add_nc_u32_e32 v0, s2, v0
	s_delay_alu instid0(VALU_DEP_4)
	v_add_co_u32 v54, s0, s6, v50
	s_wait_alu 0xf1ff
	v_add_co_ci_u32_e64 v55, null, s7, v51, s0
	global_load_b32 v68, v[48:49], off
	v_div_scale_f32 v60, vcc_lo, 1.0, v71, 1.0
	global_load_b32 v69, v[54:55], off
	v_lshlrev_b64_e32 v[48:49], 2, v[0:1]
	v_add_nc_u32_e32 v0, s2, v0
	s_wait_loadcnt 0x12
	v_mul_f32_e32 v38, v75, v38
	s_delay_alu instid0(VALU_DEP_2) | instskip(NEXT) | instid1(VALU_DEP_4)
	v_lshlrev_b64_e32 v[0:1], 2, v[0:1]
	v_add_co_u32 v56, s0, s6, v48
	s_wait_alu 0xf1ff
	v_add_co_ci_u32_e64 v57, null, s7, v49, s0
	s_delay_alu instid0(VALU_DEP_3)
	v_add_co_u32 v54, s0, s6, v0
	s_wait_alu 0xf1ff
	v_add_co_ci_u32_e64 v55, null, s7, v1, s0
	s_clause 0x1
	global_load_b32 v56, v[56:57], off
	global_load_b32 v54, v[54:55], off
	v_mul_f32_e32 v57, v60, v61
	v_div_fixup_f32 v62, v66, v62, 1.0
	s_delay_alu instid0(VALU_DEP_2) | instskip(NEXT) | instid1(VALU_DEP_1)
	v_fma_f32 v55, -v73, v57, v60
	v_fmac_f32_e32 v57, v55, v61
	v_fma_f32 v55, -v70, v85, 1.0
	s_delay_alu instid0(VALU_DEP_2) | instskip(NEXT) | instid1(VALU_DEP_2)
	v_fma_f32 v60, -v73, v57, v60
	v_fmac_f32_e32 v85, v55, v85
	v_div_scale_f32 v55, s0, 1.0, v35, 1.0
	s_wait_alu 0xfffd
	s_delay_alu instid0(VALU_DEP_3) | instskip(SKIP_1) | instid1(VALU_DEP_3)
	v_div_fmas_f32 v57, v60, v61, v57
	v_add_co_u32 v18, vcc_lo, s8, v18
	v_mul_f32_e32 v60, v55, v85
	s_wait_loadcnt 0xd
	v_dual_mul_f32 v61, v62, v77 :: v_dual_mul_f32 v62, v92, v67
	v_div_fixup_f32 v57, v57, v71, 1.0
	s_wait_alu 0xfffd
	v_add_co_ci_u32_e64 v19, null, s9, v19, vcc_lo
	v_fma_f32 v66, -v70, v60, v55
	s_mov_b32 vcc_lo, s0
	v_mul_f32_e32 v40, v57, v62
	global_store_b32 v[18:19], v38, off
	v_mul_f32_e32 v38, v36, v94
	v_fmac_f32_e32 v60, v66, v85
	v_mul_f32_e32 v36, v33, v36
	v_dual_min_num_f32 v18, 0x7cf0bdc2, v40 :: v_dual_min_num_f32 v39, 0x7cf0bdc2, v61
	s_delay_alu instid0(VALU_DEP_4) | instskip(NEXT) | instid1(VALU_DEP_4)
	v_div_scale_f32 v40, null, v38, v38, 1.0
	v_fma_f32 v19, -v70, v60, v55
	s_delay_alu instid0(VALU_DEP_3) | instskip(SKIP_1) | instid1(VALU_DEP_4)
	v_mul_f32_e32 v57, v64, v18
	v_mul_f32_e32 v36, v36, v88
	v_rcp_f32_e32 v55, v40
	v_mul_f32_e32 v39, v63, v39
	s_wait_alu 0xfffe
	v_div_fmas_f32 v19, v19, v85, v60
	v_add_co_u32 v16, vcc_lo, s8, v16
	s_wait_alu 0xfffd
	v_add_co_ci_u32_e64 v17, null, s9, v17, vcc_lo
	v_add_co_u32 v18, vcc_lo, s8, v52
	v_div_fixup_f32 v35, v19, v35, 1.0
	s_delay_alu instid0(TRANS32_DEP_1)
	v_fma_f32 v52, -v40, v55, 1.0
	s_wait_alu 0xfffd
	v_add_co_ci_u32_e64 v19, null, s9, v53, vcc_lo
	v_mul_f32_e32 v36, v22, v36
	v_mul_f32_e32 v33, v33, v92
	v_fmac_f32_e32 v55, v52, v55
	v_div_scale_f32 v52, vcc_lo, 1.0, v38, 1.0
	s_clause 0x1
	global_store_b32 v[16:17], v39, off
	global_store_b32 v[18:19], v57, off
	v_mul_f32_e32 v19, v37, v88
	v_mul_f32_e32 v17, v52, v55
	v_div_scale_f32 v53, null, v36, v36, 1.0
	v_mul_f32_e32 v16, v65, v33
	s_delay_alu instid0(VALU_DEP_4) | instskip(NEXT) | instid1(VALU_DEP_4)
	v_div_scale_f32 v37, null, v19, v19, 1.0
	v_fma_f32 v33, -v40, v17, v52
	v_mul_f32_e32 v35, v35, v62
	v_rcp_f32_e32 v60, v53
	v_add_co_u32 v12, s0, s8, v12
	s_delay_alu instid0(VALU_DEP_3)
	v_fmac_f32_e32 v17, v33, v55
	v_rcp_f32_e32 v33, v37
	v_min_num_f32_e32 v35, 0x7cf0bdc2, v35
	s_wait_alu 0xf1ff
	v_add_co_ci_u32_e64 v13, null, s9, v13, s0
	v_fma_f32 v39, -v40, v17, v52
	v_min_num_f32_e32 v16, 0x7cf0bdc2, v16
	v_mul_f32_e32 v18, v91, v35
	v_fma_f32 v35, -v53, v60, 1.0
	s_wait_alu 0xfffd
	v_div_fmas_f32 v17, v39, v55, v17
	v_fma_f32 v52, -v37, v33, 1.0
	v_div_scale_f32 v39, null, v28, v28, 1.0
	v_fmac_f32_e32 v60, v35, v60
	v_div_scale_f32 v35, s0, 1.0, v36, 1.0
	s_delay_alu instid0(VALU_DEP_4) | instskip(SKIP_1) | instid1(VALU_DEP_3)
	v_fmac_f32_e32 v33, v52, v33
	v_div_scale_f32 v52, s1, 1.0, v19, 1.0
	v_mul_f32_e32 v40, v35, v60
	v_rcp_f32_e32 v57, v39
	v_div_fixup_f32 v17, v17, v38, 1.0
	s_delay_alu instid0(VALU_DEP_3)
	v_mul_f32_e32 v38, v52, v33
	v_mul_f32_e32 v16, v16, v93
	v_fma_f32 v55, -v53, v40, v35
	s_clause 0x1
	global_store_b32 v[12:13], v18, off
	global_store_b32 v[14:15], v16, off
	v_fma_f32 v14, -v37, v38, v52
	v_fmac_f32_e32 v40, v55, v60
	v_fma_f32 v15, -v39, v57, 1.0
	s_mov_b32 vcc_lo, s0
	v_mul_f32_e32 v18, v90, v20
	v_fmac_f32_e32 v38, v14, v33
	v_fma_f32 v13, -v53, v40, v35
	v_fmac_f32_e32 v57, v15, v57
	v_div_scale_f32 v14, s0, 1.0, v28, 1.0
	s_delay_alu instid0(VALU_DEP_4)
	v_fma_f32 v16, -v37, v38, v52
	s_wait_alu 0xfffe
	v_div_fmas_f32 v13, v13, v60, v40
	s_mov_b32 vcc_lo, s1
	v_mul_f32_e32 v12, v32, v17
	v_mul_f32_e32 v17, v14, v57
	s_wait_alu 0xfffe
	v_div_fmas_f32 v16, v16, v33, v38
	v_div_scale_f32 v33, null, v18, v18, 1.0
	v_min_num_f32_e32 v12, 0x7cf0bdc2, v12
	v_fma_f32 v32, -v39, v17, v14
	s_delay_alu instid0(VALU_DEP_4) | instskip(NEXT) | instid1(VALU_DEP_4)
	v_div_fixup_f32 v16, v16, v19, 1.0
	v_rcp_f32_e32 v19, v33
	v_mul_f32_e32 v15, v34, v92
	v_div_fixup_f32 v13, v13, v36, 1.0
	s_wait_loadcnt 0xc
	v_dual_fmac_f32 v17, v32, v57 :: v_dual_mul_f32 v34, v78, v12
	v_add_co_u32 v12, vcc_lo, s8, v26
	s_delay_alu instid0(VALU_DEP_3)
	v_mul_f32_e32 v35, v13, v15
	s_wait_alu 0xfffd
	v_add_co_ci_u32_e64 v13, null, s9, v27, vcc_lo
	v_fma_f32 v14, -v39, v17, v14
	v_mul_f32_e32 v15, v16, v15
	v_fma_f32 v16, -v33, v19, 1.0
	s_mov_b32 vcc_lo, s0
	v_min_num_f32_e32 v26, 0x7cf0bdc2, v35
	s_wait_alu 0xfffe
	v_div_fmas_f32 v14, v14, v57, v17
	global_store_b32 v[12:13], v34, off
	v_min_num_f32_e32 v13, 0x7cf0bdc2, v15
	v_fmac_f32_e32 v19, v16, v19
	v_div_scale_f32 v15, vcc_lo, 1.0, v18, 1.0
	v_add_co_u32 v10, s0, s8, v10
	s_wait_alu 0xf1ff
	v_add_co_ci_u32_e64 v11, null, s9, v11, s0
	v_add_co_u32 v8, s0, s8, v8
	s_wait_loadcnt 0xb
	v_mul_f32_e32 v12, v26, v83
	v_div_fixup_f32 v14, v14, v28, 1.0
	s_wait_loadcnt 0xa
	v_mul_f32_e32 v13, v13, v79
	v_mul_f32_e32 v17, v15, v19
	s_wait_alu 0xf1ff
	v_add_co_ci_u32_e64 v9, null, s9, v9, s0
	v_mul_f32_e32 v16, v92, v14
	global_store_b32 v[10:11], v12, off
	v_fma_f32 v10, -v33, v17, v15
	global_store_b32 v[8:9], v13, off
	v_mul_f32_e32 v13, v31, v24
	v_div_scale_f32 v26, null, v84, v84, 1.0
	v_dual_min_num_f32 v16, 0x7cf0bdc2, v16 :: v_dual_mul_f32 v9, v74, v14
	v_fmac_f32_e32 v17, v10, v19
	s_delay_alu instid0(VALU_DEP_4)
	v_div_scale_f32 v14, null, v13, v13, 1.0
	v_add_co_u32 v6, s0, s8, v6
	v_rcp_f32_e32 v11, v26
	s_wait_loadcnt 0x9
	v_mul_f32_e32 v8, v80, v16
	s_wait_alu 0xf1ff
	v_add_co_ci_u32_e64 v7, null, s9, v7, s0
	v_fma_f32 v10, -v33, v17, v15
	v_min_num_f32_e32 v9, 0x7cf0bdc2, v9
	v_rcp_f32_e32 v15, v14
	v_add_co_u32 v2, s0, s8, v2
	global_store_b32 v[6:7], v8, off
	s_wait_loadcnt 0x8
	v_mul_f32_e32 v6, v58, v9
	s_wait_alu 0xf1ff
	v_add_co_ci_u32_e64 v3, null, s9, v3, s0
	v_fma_f32 v12, -v26, v11, 1.0
	s_wait_alu 0xfffd
	v_div_fmas_f32 v10, v10, v19, v17
	v_mul_f32_e32 v7, v74, v45
	global_store_b32 v[2:3], v6, off
	v_fma_f32 v3, -v14, v15, 1.0
	v_fmac_f32_e32 v11, v12, v11
	v_div_scale_f32 v12, vcc_lo, 1.0, v84, 1.0
	v_add_co_u32 v4, s0, s8, v4
	s_delay_alu instid0(VALU_DEP_4)
	v_fmac_f32_e32 v15, v3, v15
	v_div_fixup_f32 v8, v10, v18, 1.0
	s_wait_loadcnt 0x7
	v_dual_mul_f32 v10, v12, v11 :: v_dual_mul_f32 v9, v81, v9
	s_wait_alu 0xf1ff
	v_add_co_ci_u32_e64 v5, null, s9, v5, s0
	v_mul_f32_e32 v7, v7, v8
	s_delay_alu instid0(VALU_DEP_3)
	v_fma_f32 v8, -v26, v10, v12
	v_mul_f32_e32 v6, v30, v20
	global_store_b32 v[4:5], v9, off
	v_dual_mul_f32 v4, v21, v24 :: v_dual_min_num_f32 v7, 0x7cf0bdc2, v7
	v_dual_fmac_f32 v10, v8, v11 :: v_dual_mul_f32 v9, v29, v24
	s_wait_loadcnt 0x6
	s_delay_alu instid0(VALU_DEP_2) | instskip(NEXT) | instid1(VALU_DEP_3)
	v_mul_f32_e32 v5, v82, v7
	v_div_scale_f32 v7, null, v4, v4, 1.0
	s_delay_alu instid0(VALU_DEP_3) | instskip(SKIP_2) | instid1(VALU_DEP_4)
	v_fma_f32 v2, -v26, v10, v12
	v_mul_f32_e32 v12, v22, v6
	v_mul_f32_e32 v22, v23, v24
	v_rcp_f32_e32 v8, v7
	s_wait_alu 0xfffd
	v_div_fmas_f32 v2, v2, v11, v10
	v_div_scale_f32 v10, vcc_lo, 1.0, v13, 1.0
	v_div_scale_f32 v11, null, v9, v9, 1.0
	s_delay_alu instid0(VALU_DEP_3) | instskip(NEXT) | instid1(VALU_DEP_3)
	v_div_fixup_f32 v16, v2, v84, 1.0
	v_mul_f32_e32 v17, v10, v15
	v_add_co_u32 v2, s0, s8, v46
	s_delay_alu instid0(TRANS32_DEP_1) | instskip(NEXT) | instid1(VALU_DEP_4)
	v_fma_f32 v18, -v7, v8, 1.0
	v_mul_f32_e32 v12, v12, v16
	s_delay_alu instid0(VALU_DEP_4)
	v_fma_f32 v16, -v14, v17, v10
	v_rcp_f32_e32 v19, v11
	s_wait_alu 0xf1ff
	v_add_co_ci_u32_e64 v3, null, s9, v47, s0
	v_fmac_f32_e32 v8, v18, v8
	v_div_scale_f32 v18, null, v22, v22, 1.0
	v_div_scale_f32 v23, s0, 1.0, v4, 1.0
	v_fmac_f32_e32 v17, v16, v15
	s_delay_alu instid0(VALU_DEP_3) | instskip(NEXT) | instid1(TRANS32_DEP_2)
	v_rcp_f32_e32 v16, v18
	v_fma_f32 v24, -v11, v19, 1.0
	s_delay_alu instid0(VALU_DEP_3)
	v_mul_f32_e32 v26, v23, v8
	global_store_b32 v[2:3], v5, off
	v_fma_f32 v2, -v14, v17, v10
	v_dual_min_num_f32 v12, 0x7cf0bdc2, v12 :: v_dual_fmac_f32 v19, v24, v19
	v_fma_f32 v3, -v7, v26, v23
	v_div_scale_f32 v24, s1, 1.0, v9, 1.0
	v_fma_f32 v10, -v18, v16, 1.0
	s_wait_alu 0xfffd
	v_div_fmas_f32 v14, v2, v15, v17
	s_delay_alu instid0(VALU_DEP_3)
	v_dual_fmac_f32 v26, v3, v8 :: v_dual_mul_f32 v5, v24, v19
	v_add_co_u32 v2, vcc_lo, s8, v43
	v_fmac_f32_e32 v16, v10, v16
	v_div_scale_f32 v10, s2, 1.0, v22, 1.0
	v_div_fixup_f32 v13, v14, v13, 1.0
	v_fma_f32 v7, -v7, v26, v23
	v_fma_f32 v15, -v11, v5, v24
	s_delay_alu instid0(VALU_DEP_4)
	v_mul_f32_e32 v14, v10, v16
	s_wait_alu 0xfffd
	v_add_co_ci_u32_e64 v3, null, s9, v44, vcc_lo
	s_mov_b32 vcc_lo, s0
	v_fmac_f32_e32 v5, v15, v19
	s_wait_alu 0xfffe
	v_div_fmas_f32 v7, v7, v8, v26
	v_fma_f32 v8, -v18, v14, v10
	s_mov_b32 vcc_lo, s1
	s_wait_loadcnt 0x4
	v_mul_f32_e32 v12, v72, v12
	v_fma_f32 v11, -v11, v5, v24
	v_div_fixup_f32 v4, v7, v4, 1.0
	v_fmac_f32_e32 v14, v8, v16
	v_mul_f32_e32 v8, v21, v20
	s_wait_alu 0xfffe
	v_div_fmas_f32 v5, v11, v19, v5
	s_mov_b32 vcc_lo, s2
	v_fma_f32 v7, -v18, v14, v10
	s_delay_alu instid0(VALU_DEP_2) | instskip(SKIP_2) | instid1(VALU_DEP_3)
	v_div_fixup_f32 v5, v5, v9, 1.0
	v_mul_f32_e32 v9, v25, v20
	s_wait_alu 0xfffe
	v_div_fmas_f32 v7, v7, v16, v14
	s_delay_alu instid0(VALU_DEP_3) | instskip(NEXT) | instid1(VALU_DEP_2)
	v_mul_f32_e32 v8, v8, v5
	v_div_fixup_f32 v7, v7, v22, 1.0
	s_delay_alu instid0(VALU_DEP_1) | instskip(SKIP_1) | instid1(VALU_DEP_2)
	v_dual_min_num_f32 v8, 0x7cf0bdc2, v8 :: v_dual_mul_f32 v9, v9, v7
	v_dual_mul_f32 v6, v6, v13 :: v_dual_mul_f32 v13, v59, v20
	v_min_num_f32_e32 v14, 0x7cf0bdc2, v9
	s_delay_alu instid0(VALU_DEP_2) | instskip(NEXT) | instid1(VALU_DEP_3)
	v_min_num_f32_e32 v6, 0x7cf0bdc2, v6
	v_mul_f32_e32 v4, v13, v4
	s_wait_loadcnt 0x3
	s_delay_alu instid0(VALU_DEP_2) | instskip(NEXT) | instid1(VALU_DEP_2)
	v_mul_f32_e32 v10, v68, v6
	v_min_num_f32_e32 v6, 0x7cf0bdc2, v4
	v_add_co_u32 v4, vcc_lo, s8, v41
	s_wait_alu 0xfffd
	v_add_co_ci_u32_e64 v5, null, s9, v42, vcc_lo
	s_wait_loadcnt 0x2
	v_mul_f32_e32 v11, v69, v6
	v_add_co_u32 v6, vcc_lo, s8, v50
	s_wait_alu 0xfffd
	v_add_co_ci_u32_e64 v7, null, s9, v51, vcc_lo
	s_wait_loadcnt 0x1
	v_mul_f32_e32 v13, v56, v8
	v_add_co_u32 v8, vcc_lo, s8, v48
	s_wait_alu 0xfffd
	v_add_co_ci_u32_e64 v9, null, s9, v49, vcc_lo
	v_add_co_u32 v0, vcc_lo, s8, v0
	s_wait_loadcnt 0x0
	v_mul_f32_e32 v14, v54, v14
	s_wait_alu 0xfffd
	v_add_co_ci_u32_e64 v1, null, s9, v1, vcc_lo
	s_clause 0x4
	global_store_b32 v[2:3], v12, off
	global_store_b32 v[4:5], v10, off
	;; [unrolled: 1-line block ×5, first 2 shown]
	s_endpgm
	.section	.rodata,"a",@progbits
	.p2align	6, 0x0
	.amdhsa_kernel _Z12ratt4_kernelIfEvPKT_S2_PS0_S2_S0_
		.amdhsa_group_segment_fixed_size 0
		.amdhsa_private_segment_fixed_size 0
		.amdhsa_kernarg_size 296
		.amdhsa_user_sgpr_count 2
		.amdhsa_user_sgpr_dispatch_ptr 0
		.amdhsa_user_sgpr_queue_ptr 0
		.amdhsa_user_sgpr_kernarg_segment_ptr 1
		.amdhsa_user_sgpr_dispatch_id 0
		.amdhsa_user_sgpr_private_segment_size 0
		.amdhsa_wavefront_size32 1
		.amdhsa_uses_dynamic_stack 0
		.amdhsa_enable_private_segment 0
		.amdhsa_system_sgpr_workgroup_id_x 1
		.amdhsa_system_sgpr_workgroup_id_y 0
		.amdhsa_system_sgpr_workgroup_id_z 0
		.amdhsa_system_sgpr_workgroup_info 0
		.amdhsa_system_vgpr_workitem_id 0
		.amdhsa_next_free_vgpr 95
		.amdhsa_next_free_sgpr 13
		.amdhsa_reserve_vcc 1
		.amdhsa_float_round_mode_32 0
		.amdhsa_float_round_mode_16_64 0
		.amdhsa_float_denorm_mode_32 3
		.amdhsa_float_denorm_mode_16_64 3
		.amdhsa_fp16_overflow 0
		.amdhsa_workgroup_processor_mode 1
		.amdhsa_memory_ordered 1
		.amdhsa_forward_progress 1
		.amdhsa_inst_pref_size 46
		.amdhsa_round_robin_scheduling 0
		.amdhsa_exception_fp_ieee_invalid_op 0
		.amdhsa_exception_fp_denorm_src 0
		.amdhsa_exception_fp_ieee_div_zero 0
		.amdhsa_exception_fp_ieee_overflow 0
		.amdhsa_exception_fp_ieee_underflow 0
		.amdhsa_exception_fp_ieee_inexact 0
		.amdhsa_exception_int_div_zero 0
	.end_amdhsa_kernel
	.section	.text._Z12ratt4_kernelIfEvPKT_S2_PS0_S2_S0_,"axG",@progbits,_Z12ratt4_kernelIfEvPKT_S2_PS0_S2_S0_,comdat
.Lfunc_end5:
	.size	_Z12ratt4_kernelIfEvPKT_S2_PS0_S2_S0_, .Lfunc_end5-_Z12ratt4_kernelIfEvPKT_S2_PS0_S2_S0_
                                        ; -- End function
	.set _Z12ratt4_kernelIfEvPKT_S2_PS0_S2_S0_.num_vgpr, 95
	.set _Z12ratt4_kernelIfEvPKT_S2_PS0_S2_S0_.num_agpr, 0
	.set _Z12ratt4_kernelIfEvPKT_S2_PS0_S2_S0_.numbered_sgpr, 13
	.set _Z12ratt4_kernelIfEvPKT_S2_PS0_S2_S0_.num_named_barrier, 0
	.set _Z12ratt4_kernelIfEvPKT_S2_PS0_S2_S0_.private_seg_size, 0
	.set _Z12ratt4_kernelIfEvPKT_S2_PS0_S2_S0_.uses_vcc, 1
	.set _Z12ratt4_kernelIfEvPKT_S2_PS0_S2_S0_.uses_flat_scratch, 0
	.set _Z12ratt4_kernelIfEvPKT_S2_PS0_S2_S0_.has_dyn_sized_stack, 0
	.set _Z12ratt4_kernelIfEvPKT_S2_PS0_S2_S0_.has_recursion, 0
	.set _Z12ratt4_kernelIfEvPKT_S2_PS0_S2_S0_.has_indirect_call, 0
	.section	.AMDGPU.csdata,"",@progbits
; Kernel info:
; codeLenInByte = 5884
; TotalNumSgprs: 15
; NumVgprs: 95
; ScratchSize: 0
; MemoryBound: 0
; FloatMode: 240
; IeeeMode: 1
; LDSByteSize: 0 bytes/workgroup (compile time only)
; SGPRBlocks: 0
; VGPRBlocks: 11
; NumSGPRsForWavesPerEU: 15
; NumVGPRsForWavesPerEU: 95
; Occupancy: 16
; WaveLimiterHint : 0
; COMPUTE_PGM_RSRC2:SCRATCH_EN: 0
; COMPUTE_PGM_RSRC2:USER_SGPR: 2
; COMPUTE_PGM_RSRC2:TRAP_HANDLER: 0
; COMPUTE_PGM_RSRC2:TGID_X_EN: 1
; COMPUTE_PGM_RSRC2:TGID_Y_EN: 0
; COMPUTE_PGM_RSRC2:TGID_Z_EN: 0
; COMPUTE_PGM_RSRC2:TIDIG_COMP_CNT: 0
	.section	.text._Z12ratt5_kernelIfEvPKT_S2_PS0_S2_S0_,"axG",@progbits,_Z12ratt5_kernelIfEvPKT_S2_PS0_S2_S0_,comdat
	.protected	_Z12ratt5_kernelIfEvPKT_S2_PS0_S2_S0_ ; -- Begin function _Z12ratt5_kernelIfEvPKT_S2_PS0_S2_S0_
	.globl	_Z12ratt5_kernelIfEvPKT_S2_PS0_S2_S0_
	.p2align	8
	.type	_Z12ratt5_kernelIfEvPKT_S2_PS0_S2_S0_,@function
_Z12ratt5_kernelIfEvPKT_S2_PS0_S2_S0_:  ; @_Z12ratt5_kernelIfEvPKT_S2_PS0_S2_S0_
; %bb.0:
	s_clause 0x3
	s_load_b32 s2, s[0:1], 0x34
	s_load_b32 s3, s[0:1], 0x28
	s_load_b256 s[4:11], s[0:1], 0x0
	s_load_b32 s0, s[0:1], 0x20
	s_wait_kmcnt 0x0
	s_and_b32 s2, s2, 0xffff
	s_delay_alu instid0(SALU_CYCLE_1)
	v_mad_co_u64_u32 v[0:1], null, ttmp9, s2, v[0:1]
	s_mul_i32 s2, s3, s2
	v_mov_b32_e32 v1, 0
	s_wait_alu 0xfffe
	s_mul_i32 s3, s2, 0x46
	s_mul_i32 s12, s2, 0xffffffbc
	s_mul_i32 s13, s2, 0x45
	v_lshlrev_b64_e32 v[2:3], 2, v[0:1]
	v_mad_co_u64_u32 v[4:5], null, s2, 6, v[0:1]
	v_dual_mov_b32 v11, v1 :: v_dual_add_nc_u32 v0, s2, v0
	s_delay_alu instid0(VALU_DEP_3) | instskip(NEXT) | instid1(VALU_DEP_1)
	v_add_co_u32 v12, vcc_lo, s4, v2
	v_add_co_ci_u32_e64 v13, null, s5, v3, vcc_lo
	s_mul_i32 s5, s2, 0xffffffbf
	v_mov_b32_e32 v5, v1
	s_mul_i32 s4, s2, 0xffffffbb
	global_load_b32 v27, v[12:13], off
	v_mad_co_u64_u32 v[6:7], null, s2, 10, v[4:5]
	v_mov_b32_e32 v7, v1
	s_delay_alu instid0(VALU_DEP_1) | instskip(SKIP_1) | instid1(VALU_DEP_2)
	v_mad_co_u64_u32 v[8:9], null, s2, -9, v[6:7]
	v_mov_b32_e32 v9, v1
	v_lshl_add_u32 v10, s2, 3, v8
	s_delay_alu instid0(VALU_DEP_2) | instskip(NEXT) | instid1(VALU_DEP_2)
	v_lshlrev_b64_e32 v[8:9], 2, v[8:9]
	v_lshlrev_b64_e32 v[11:12], 2, v[10:11]
	s_delay_alu instid0(VALU_DEP_2) | instskip(SKIP_1) | instid1(VALU_DEP_3)
	v_add_co_u32 v8, vcc_lo, s10, v8
	s_wait_alu 0xfffd
	v_add_co_ci_u32_e64 v9, null, s11, v9, vcc_lo
	s_delay_alu instid0(VALU_DEP_3)
	v_add_co_u32 v11, vcc_lo, s10, v11
	s_wait_alu 0xfffd
	v_add_co_ci_u32_e64 v12, null, s11, v12, vcc_lo
	s_clause 0x1
	global_load_b32 v21, v[8:9], off
	global_load_b32 v20, v[11:12], off
	v_mad_co_u64_u32 v[8:9], null, s2, 24, v[0:1]
	v_mov_b32_e32 v9, v1
	v_lshlrev_b64_e32 v[11:12], 2, v[0:1]
	s_delay_alu instid0(VALU_DEP_2) | instskip(SKIP_1) | instid1(VALU_DEP_3)
	v_mad_co_u64_u32 v[18:19], null, s2, 51, v[8:9]
	v_lshlrev_b64_e32 v[8:9], 2, v[8:9]
	v_mad_co_u64_u32 v[30:31], null, s2, 60, v[10:11]
	v_mov_b32_e32 v31, v1
	s_wait_alu 0xfffe
	s_delay_alu instid0(VALU_DEP_4) | instskip(SKIP_1) | instid1(VALU_DEP_2)
	v_dual_mov_b32 v19, v1 :: v_dual_add_nc_u32 v0, s5, v18
	v_lshlrev_b64_e32 v[4:5], 2, v[4:5]
	v_lshlrev_b64_e32 v[18:19], 2, v[18:19]
	s_delay_alu instid0(VALU_DEP_3)
	v_lshlrev_b64_e32 v[14:15], 2, v[0:1]
	v_add_nc_u32_e32 v0, s2, v0
	v_lshlrev_b64_e32 v[6:7], 2, v[6:7]
	v_add_co_u32 v4, vcc_lo, s10, v4
	s_wait_alu 0xfffd
	v_add_co_ci_u32_e64 v5, null, s11, v5, vcc_lo
	s_delay_alu instid0(VALU_DEP_3)
	v_add_co_u32 v6, vcc_lo, s10, v6
	s_wait_alu 0xfffd
	v_add_co_ci_u32_e64 v7, null, s11, v7, vcc_lo
	v_add_co_u32 v16, vcc_lo, s10, v8
	s_wait_alu 0xfffd
	v_add_co_ci_u32_e64 v17, null, s11, v9, vcc_lo
	s_clause 0x1
	global_load_b32 v26, v[4:5], off
	global_load_b32 v22, v[6:7], off
	v_add_co_u32 v4, vcc_lo, s10, v11
	s_wait_alu 0xfffd
	v_add_co_ci_u32_e64 v5, null, s11, v12, vcc_lo
	s_clause 0x1
	global_load_b32 v29, v[16:17], off
	global_load_b32 v23, v[4:5], off
	v_lshlrev_b64_e32 v[10:11], 2, v[0:1]
	v_lshlrev_b64_e32 v[8:9], 2, v[30:31]
	v_mad_co_u64_u32 v[16:17], null, 0x41, s2, v[0:1]
	v_mov_b32_e32 v17, v1
	s_delay_alu instid0(VALU_DEP_4)
	v_add_co_u32 v10, vcc_lo, s10, v10
	s_wait_alu 0xfffd
	v_add_co_ci_u32_e64 v11, null, s11, v11, vcc_lo
	v_add_co_u32 v12, vcc_lo, s6, v8
	s_wait_alu 0xfffd
	v_add_co_ci_u32_e64 v13, null, s7, v9, vcc_lo
	global_load_b32 v24, v[10:11], off
	global_load_b32 v28, v[12:13], off
	v_mad_co_u64_u32 v[10:11], null, 0xffffffbd, s2, v[30:31]
	v_mov_b32_e32 v11, v1
	v_lshlrev_b64_e32 v[37:38], 2, v[16:17]
	s_delay_alu instid0(VALU_DEP_2) | instskip(SKIP_2) | instid1(VALU_DEP_3)
	v_lshlrev_b64_e32 v[12:13], 2, v[10:11]
	v_mad_co_u64_u32 v[10:11], null, 0xffffffb5, s2, v[16:17]
	v_mov_b32_e32 v11, v1
	v_add_co_u32 v12, vcc_lo, s10, v12
	s_wait_alu 0xfffd
	s_delay_alu instid0(VALU_DEP_4)
	v_add_co_ci_u32_e64 v13, null, s11, v13, vcc_lo
	v_add_co_u32 v30, vcc_lo, s6, v18
	s_wait_alu 0xfffd
	v_add_co_ci_u32_e64 v31, null, s7, v19, vcc_lo
	global_load_b32 v25, v[12:13], off
	v_mad_co_u64_u32 v[12:13], null, 0x4c, s2, v[10:11]
	v_mov_b32_e32 v13, v1
	v_add_co_u32 v18, vcc_lo, s8, v18
	s_wait_alu 0xfffd
	v_add_co_ci_u32_e64 v19, null, s9, v19, vcc_lo
	global_load_b32 v36, v[30:31], off
	v_mad_co_u64_u32 v[33:34], null, 0xffffffb6, s2, v[12:13]
	v_add_co_u32 v30, vcc_lo, s10, v14
	s_wait_alu 0xfffd
	v_add_co_ci_u32_e64 v31, null, s11, v15, vcc_lo
	s_clause 0x2
	global_load_b32 v14, v[6:7], off
	global_load_b32 v17, v[30:31], off
	;; [unrolled: 1-line block ×3, first 2 shown]
	v_add_nc_u32_e32 v0, s2, v33
	s_delay_alu instid0(VALU_DEP_1) | instskip(SKIP_1) | instid1(VALU_DEP_1)
	v_lshlrev_b64_e32 v[34:35], 2, v[0:1]
	v_lshl_add_u32 v0, s2, 2, v0
	v_lshlrev_b64_e32 v[6:7], 2, v[0:1]
	s_delay_alu instid0(VALU_DEP_3) | instskip(SKIP_1) | instid1(VALU_DEP_4)
	v_add_co_u32 v39, vcc_lo, s10, v34
	s_wait_alu 0xfffd
	v_add_co_ci_u32_e64 v40, null, s11, v35, vcc_lo
	v_add_nc_u32_e32 v0, s3, v0
	s_delay_alu instid0(VALU_DEP_4)
	v_add_co_u32 v6, vcc_lo, s10, v6
	s_wait_alu 0xfffd
	v_add_co_ci_u32_e64 v7, null, s11, v7, vcc_lo
	s_clause 0x1
	global_load_b32 v72, v[39:40], off
	global_load_b32 v32, v[6:7], off
	v_add_co_u32 v41, vcc_lo, s8, v8
	s_wait_alu 0xfffd
	v_add_co_ci_u32_e64 v42, null, s9, v9, vcc_lo
	v_add_co_u32 v6, vcc_lo, s6, v37
	s_wait_alu 0xfffd
	v_add_co_ci_u32_e64 v7, null, s7, v38, vcc_lo
	v_lshlrev_b64_e32 v[8:9], 2, v[10:11]
	v_add_co_u32 v37, vcc_lo, s8, v37
	global_load_b32 v73, v[6:7], off
	v_lshlrev_b64_e32 v[6:7], 2, v[0:1]
	v_add_nc_u32_e32 v0, s4, v0
	s_wait_alu 0xfffd
	v_add_co_ci_u32_e64 v38, null, s9, v38, vcc_lo
	v_add_co_u32 v8, vcc_lo, s10, v8
	v_lshlrev_b64_e32 v[10:11], 2, v[12:13]
	s_wait_alu 0xfffd
	v_add_co_ci_u32_e64 v9, null, s11, v9, vcc_lo
	v_lshlrev_b64_e32 v[12:13], 2, v[0:1]
	s_clause 0x2
	global_load_b32 v16, v[4:5], off
	global_load_b32 v74, v[8:9], off
	;; [unrolled: 1-line block ×3, first 2 shown]
	v_add_co_u32 v8, vcc_lo, s6, v10
	s_wait_alu 0xfffd
	v_add_co_ci_u32_e64 v9, null, s7, v11, vcc_lo
	v_add_co_u32 v43, vcc_lo, s8, v10
	s_wait_alu 0xfffd
	v_add_co_ci_u32_e64 v44, null, s9, v11, vcc_lo
	;; [unrolled: 3-line block ×3, first 2 shown]
	v_add_nc_u32_e32 v0, s3, v0
	global_load_b32 v75, v[8:9], off
	v_mov_b32_e32 v34, v1
	global_load_b32 v35, v[47:48], off
	v_mad_co_u64_u32 v[4:5], null, 0xffffffb3, s2, v[0:1]
	v_mov_b32_e32 v5, v1
	v_lshlrev_b64_e32 v[8:9], 2, v[0:1]
	v_lshlrev_b64_e32 v[10:11], 2, v[33:34]
	s_delay_alu instid0(VALU_DEP_3) | instskip(NEXT) | instid1(VALU_DEP_2)
	v_mad_co_u64_u32 v[45:46], null, s2, 14, v[4:5]
	v_add_co_u32 v10, vcc_lo, s10, v10
	s_wait_alu 0xfffd
	s_delay_alu instid0(VALU_DEP_3) | instskip(SKIP_1) | instid1(VALU_DEP_4)
	v_add_co_ci_u32_e64 v11, null, s11, v11, vcc_lo
	v_add_co_u32 v12, vcc_lo, s6, v6
	v_lshl_add_u32 v0, s2, 6, v45
	s_wait_alu 0xfffd
	v_add_co_ci_u32_e64 v13, null, s7, v7, vcc_lo
	s_clause 0x2
	global_load_b32 v76, v[10:11], off
	global_load_b32 v33, v[39:40], off
	global_load_b32 v31, v[10:11], off
	global_load_b32 v77, v[12:13], off
	v_add_co_u32 v53, vcc_lo, s8, v6
	v_lshlrev_b64_e32 v[49:50], 2, v[0:1]
	v_add_nc_u32_e32 v0, s2, v0
	v_mov_b32_e32 v46, v1
	s_wait_alu 0xfffd
	v_add_co_ci_u32_e64 v54, null, s9, v7, vcc_lo
	v_add_co_u32 v6, vcc_lo, s6, v8
	v_lshlrev_b64_e32 v[51:52], 2, v[0:1]
	v_add_nc_u32_e32 v0, s2, v0
	s_wait_alu 0xfffd
	v_add_co_ci_u32_e64 v7, null, s7, v9, vcc_lo
	v_add_co_u32 v39, vcc_lo, s8, v8
	s_delay_alu instid0(VALU_DEP_3)
	v_lshlrev_b64_e32 v[55:56], 2, v[0:1]
	v_add_nc_u32_e32 v0, s2, v0
	s_wait_alu 0xfffd
	v_add_co_ci_u32_e64 v40, null, s9, v9, vcc_lo
	v_lshlrev_b64_e32 v[8:9], 2, v[45:46]
	v_lshlrev_b64_e32 v[4:5], 2, v[4:5]
	;; [unrolled: 1-line block ×3, first 2 shown]
	v_add_nc_u32_e32 v0, s2, v0
	global_load_b32 v34, v[47:48], off
	v_add_co_u32 v8, vcc_lo, s10, v8
	v_lshlrev_b64_e32 v[10:11], 2, v[0:1]
	v_add_nc_u32_e32 v0, s5, v0
	s_wait_alu 0xfffd
	v_add_co_ci_u32_e64 v9, null, s11, v9, vcc_lo
	v_add_co_u32 v4, vcc_lo, s10, v4
	s_wait_alu 0xfffd
	v_add_co_ci_u32_e64 v5, null, s11, v5, vcc_lo
	v_add_co_u32 v59, vcc_lo, s6, v49
	;; [unrolled: 3-line block ×3, first 2 shown]
	global_load_b32 v78, v[8:9], off
	s_wait_alu 0xfffd
	v_add_co_ci_u32_e64 v64, null, s7, v52, vcc_lo
	s_wait_loadcnt 0x1b
	v_mul_f32_e32 v27, s0, v27
	v_mad_co_u64_u32 v[45:46], null, 0x42, s2, v[0:1]
	s_delay_alu instid0(VALU_DEP_2)
	v_dual_mov_b32 v46, v1 :: v_dual_mul_f32 v79, 0x4c9e9632, v27
	global_load_b32 v81, v[6:7], off
	s_clause 0x1
	global_load_b32 v82, v[4:5], off
	global_load_b32 v27, v[8:9], off
	s_clause 0x1
	global_load_b32 v83, v[59:60], off
	global_load_b32 v84, v[63:64], off
	v_lshlrev_b64_e32 v[4:5], 2, v[0:1]
	v_add_co_u32 v59, s1, s6, v55
	v_div_scale_f32 v69, null, v79, v79, 1.0
	v_mad_co_u64_u32 v[47:48], null, 0xffffffb7, s2, v[45:46]
	v_div_scale_f32 v85, vcc_lo, 1.0, v79, 1.0
	s_delay_alu instid0(VALU_DEP_3)
	v_rcp_f32_e32 v71, v69
	s_wait_alu 0xf1ff
	v_add_co_ci_u32_e64 v60, null, s7, v56, s1
	v_add_co_u32 v63, s1, s10, v4
	s_wait_alu 0xf1ff
	v_add_co_ci_u32_e64 v64, null, s11, v5, s1
	v_lshlrev_b64_e32 v[45:46], 2, v[45:46]
	global_load_b32 v63, v[63:64], off
	v_fma_f32 v6, -v69, v71, 1.0
	s_delay_alu instid0(VALU_DEP_1) | instskip(NEXT) | instid1(VALU_DEP_1)
	v_dual_mov_b32 v48, v1 :: v_dual_fmac_f32 v71, v6, v71
	v_mad_co_u64_u32 v[57:58], null, 0x4a, s2, v[47:48]
	v_lshlrev_b64_e32 v[4:5], 2, v[47:48]
	s_wait_loadcnt 0x1f
	v_mul_f32_e32 v68, v21, v20
	v_mul_f32_e32 v87, v85, v71
	s_delay_alu instid0(VALU_DEP_2) | instskip(SKIP_1) | instid1(VALU_DEP_3)
	v_div_scale_f32 v70, null, v68, v68, 1.0
	v_div_scale_f32 v86, s0, 1.0, v68, 1.0
	v_fma_f32 v6, -v69, v87, v85
	s_delay_alu instid0(VALU_DEP_3) | instskip(NEXT) | instid1(VALU_DEP_1)
	v_rcp_f32_e32 v80, v70
	v_dual_mov_b32 v58, v1 :: v_dual_fmac_f32 v87, v6, v71
	s_delay_alu instid0(VALU_DEP_1) | instskip(SKIP_2) | instid1(TRANS32_DEP_1)
	v_mad_co_u64_u32 v[61:62], null, 0xffffffc4, s2, v[57:58]
	v_lshlrev_b64_e32 v[57:58], 2, v[57:58]
	v_mov_b32_e32 v62, v1
	v_fma_f32 v7, -v70, v80, 1.0
	s_delay_alu instid0(VALU_DEP_2) | instskip(NEXT) | instid1(VALU_DEP_2)
	v_mad_co_u64_u32 v[65:66], null, s2, 61, v[61:62]
	v_fmac_f32_e32 v80, v7, v80
	v_add_co_u32 v66, s1, s10, v4
	v_fma_f32 v4, -v69, v87, v85
	s_wait_alu 0xf1ff
	v_add_co_ci_u32_e64 v67, null, s11, v5, s1
	v_mul_f32_e32 v88, v86, v80
	v_add_nc_u32_e32 v0, s2, v65
	s_wait_alu 0xfffd
	v_div_fmas_f32 v85, v4, v71, v87
	s_mov_b32 vcc_lo, s0
	v_fma_f32 v7, -v70, v88, v86
	v_lshlrev_b64_e32 v[8:9], 2, v[0:1]
	s_delay_alu instid0(VALU_DEP_2) | instskip(NEXT) | instid1(VALU_DEP_1)
	v_fmac_f32_e32 v88, v7, v80
	v_fma_f32 v5, -v70, v88, v86
	s_wait_loadcnt 0x1d
	v_mul_f32_e32 v70, v26, v22
	s_wait_alu 0xfffe
	s_delay_alu instid0(VALU_DEP_2) | instskip(SKIP_2) | instid1(VALU_DEP_2)
	v_div_fmas_f32 v69, v5, v80, v88
	s_wait_loadcnt 0x1b
	v_mul_f32_e32 v80, v23, v29
	v_div_fixup_f32 v71, v69, v68, 1.0
	s_delay_alu instid0(VALU_DEP_2) | instskip(SKIP_2) | instid1(VALU_DEP_3)
	v_div_scale_f32 v86, null, v80, v80, 1.0
	s_wait_loadcnt 0x1a
	v_div_scale_f32 v88, null, v24, v24, 1.0
	v_mul_f32_e32 v29, v70, v71
	s_delay_alu instid0(VALU_DEP_3) | instskip(NEXT) | instid1(VALU_DEP_1)
	v_rcp_f32_e32 v87, v86
	v_dual_min_num_f32 v29, 0x7cf0bdc2, v29 :: v_dual_add_nc_u32 v0, s12, v0
	v_lshlrev_b64_e32 v[61:62], 2, v[61:62]
	s_wait_loadcnt 0x19
	s_delay_alu instid0(VALU_DEP_2) | instskip(NEXT) | instid1(VALU_DEP_3)
	v_mul_f32_e32 v89, v28, v29
	v_lshlrev_b64_e32 v[47:48], 2, v[0:1]
	s_delay_alu instid0(VALU_DEP_3)
	v_add_co_u32 v61, vcc_lo, s10, v61
	global_store_b32 v[41:42], v89, off
	v_fma_f32 v89, -v86, v87, 1.0
	s_wait_alu 0xfffd
	v_add_co_ci_u32_e64 v62, null, s11, v62, vcc_lo
	v_add_co_u32 v47, vcc_lo, s10, v47
	s_delay_alu instid0(VALU_DEP_3)
	v_dual_fmac_f32 v87, v89, v87 :: v_dual_add_nc_u32 v0, s13, v0
	s_wait_alu 0xfffd
	v_add_co_ci_u32_e64 v48, null, s11, v48, vcc_lo
	global_load_b32 v89, v[59:60], off
	v_lshlrev_b64_e32 v[6:7], 2, v[0:1]
	v_add_nc_u32_e32 v0, s2, v0
	s_delay_alu instid0(VALU_DEP_1) | instskip(SKIP_2) | instid1(VALU_DEP_1)
	v_lshlrev_b64_e32 v[4:5], 2, v[0:1]
	s_wait_loadcnt 0x16
	v_dual_mul_f32 v21, v21, v17 :: v_dual_add_nc_u32 v0, s12, v0
	v_lshlrev_b64_e32 v[68:69], 2, v[0:1]
	v_add_nc_u32_e32 v0, s13, v0
	s_delay_alu instid0(VALU_DEP_1) | instskip(SKIP_1) | instid1(VALU_DEP_4)
	v_mad_co_u64_u32 v[70:71], null, 0xffffffba, s2, v[0:1]
	v_mov_b32_e32 v71, v1
	v_add_co_u32 v41, vcc_lo, s10, v68
	s_wait_alu 0xfffd
	v_add_co_ci_u32_e64 v42, null, s11, v69, vcc_lo
	v_div_scale_f32 v90, vcc_lo, 1.0, v80, 1.0
	v_lshlrev_b64_e32 v[28:29], 2, v[70:71]
	v_rcp_f32_e32 v71, v88
	s_delay_alu instid0(VALU_DEP_1) | instskip(SKIP_1) | instid1(VALU_DEP_2)
	v_add_co_u32 v68, s0, s10, v28
	s_wait_alu 0xf1ff
	v_add_co_ci_u32_e64 v69, null, s11, v29, s0
	v_mul_f32_e32 v29, v90, v87
	s_delay_alu instid0(TRANS32_DEP_1) | instskip(NEXT) | instid1(VALU_DEP_1)
	v_fma_f32 v28, -v88, v71, 1.0
	v_fmac_f32_e32 v71, v28, v71
	s_delay_alu instid0(VALU_DEP_3) | instskip(NEXT) | instid1(VALU_DEP_1)
	v_fma_f32 v28, -v86, v29, v90
	v_fmac_f32_e32 v29, v28, v87
	s_delay_alu instid0(VALU_DEP_1) | instskip(SKIP_1) | instid1(VALU_DEP_1)
	v_fma_f32 v28, -v86, v29, v90
	s_wait_alu 0xfffd
	v_div_fmas_f32 v87, v28, v87, v29
	v_add_co_u32 v28, vcc_lo, s6, v12
	s_wait_alu 0xfffd
	v_add_co_ci_u32_e64 v29, null, s7, v13, vcc_lo
	global_load_b32 v90, v[28:29], off
	v_div_scale_f32 v59, s0, 1.0, v24, 1.0
	s_mov_b32 vcc_lo, s0
	v_mul_f32_e32 v60, v59, v71
	s_delay_alu instid0(VALU_DEP_1) | instskip(NEXT) | instid1(VALU_DEP_1)
	v_fma_f32 v86, -v88, v60, v59
	v_fmac_f32_e32 v60, v86, v71
	v_mul_f32_e32 v86, v22, v23
	s_delay_alu instid0(VALU_DEP_2) | instskip(NEXT) | instid1(VALU_DEP_2)
	v_fma_f32 v59, -v88, v60, v59
	v_div_scale_f32 v88, null, v86, v86, 1.0
	s_wait_alu 0xfffe
	s_delay_alu instid0(VALU_DEP_2) | instskip(NEXT) | instid1(VALU_DEP_2)
	v_div_fmas_f32 v71, v59, v71, v60
	v_rcp_f32_e32 v91, v88
	v_add_co_u32 v28, vcc_lo, s6, v10
	s_wait_alu 0xfffd
	v_add_co_ci_u32_e64 v29, null, s7, v11, vcc_lo
	v_div_scale_f32 v59, vcc_lo, 1.0, v86, 1.0
	global_load_b32 v92, v[28:29], off
	v_fma_f32 v28, -v88, v91, 1.0
	s_delay_alu instid0(VALU_DEP_1) | instskip(NEXT) | instid1(VALU_DEP_1)
	v_fmac_f32_e32 v91, v28, v91
	v_mul_f32_e32 v60, v59, v91
	s_delay_alu instid0(VALU_DEP_1) | instskip(NEXT) | instid1(VALU_DEP_1)
	v_fma_f32 v28, -v88, v60, v59
	v_fmac_f32_e32 v60, v28, v91
	v_add_co_u32 v28, s0, s6, v45
	s_wait_alu 0xf1ff
	v_add_co_ci_u32_e64 v29, null, s7, v46, s0
	s_delay_alu instid0(VALU_DEP_3)
	v_fma_f32 v59, -v88, v60, v59
	global_load_b32 v29, v[28:29], off
	s_clause 0x2
	global_load_b32 v64, v[66:67], off
	global_load_b32 v28, v[66:67], off
	;; [unrolled: 1-line block ×3, first 2 shown]
	s_wait_alu 0xfffd
	v_div_fmas_f32 v67, v59, v91, v60
	v_add_co_u32 v59, vcc_lo, s6, v57
	s_wait_loadcnt 0x19
	v_mul_f32_e32 v91, v72, v32
	s_wait_alu 0xfffd
	v_add_co_ci_u32_e64 v60, null, s7, v58, vcc_lo
	v_mov_b32_e32 v66, v1
	s_wait_loadcnt 0x13
	v_mul_f32_e32 v72, v72, v35
	v_div_scale_f32 v62, null, v91, v91, 1.0
	global_load_b32 v88, v[59:60], off
	v_mul_f32_e32 v59, v22, v25
	v_div_fixup_f32 v60, v87, v80, 1.0
	v_rcp_f32_e32 v80, v62
	s_clause 0x1
	global_load_b32 v68, v[68:69], off
	global_load_b32 v93, v[41:42], off
	v_div_fixup_f32 v42, v85, v79, 1.0
	v_mul_f32_e32 v59, v59, v60
	v_div_fixup_f32 v67, v67, v86, 1.0
	s_wait_loadcnt 0x15
	v_mul_f32_e32 v79, v17, v76
	v_mul_f32_e32 v25, v25, v17
	;; [unrolled: 1-line block ×3, first 2 shown]
	v_min_num_f32_e32 v59, 0x7cf0bdc2, v59
	v_fma_f32 v87, -v62, v80, 1.0
	s_delay_alu instid0(VALU_DEP_2) | instskip(SKIP_1) | instid1(VALU_DEP_3)
	v_mul_f32_e32 v36, v36, v59
	v_lshlrev_b64_e32 v[59:60], 2, v[65:66]
	v_fmac_f32_e32 v80, v87, v80
	v_div_scale_f32 v65, vcc_lo, 1.0, v91, 1.0
	global_store_b32 v[18:19], v36, off
	v_add_co_u32 v18, s0, s6, v59
	s_wait_alu 0xf1ff
	v_add_co_ci_u32_e64 v19, null, s7, v60, s0
	v_mul_f32_e32 v36, v65, v80
	global_load_b32 v66, v[18:19], off
	v_fma_f32 v18, -v62, v36, v65
	s_delay_alu instid0(VALU_DEP_1)
	v_fmac_f32_e32 v36, v18, v80
	v_add_co_u32 v18, s0, s6, v8
	s_wait_alu 0xf1ff
	v_add_co_ci_u32_e64 v19, null, s7, v9, s0
	global_load_b32 v87, v[18:19], off
	v_fma_f32 v18, -v62, v36, v65
	v_div_scale_f32 v62, null, v72, v72, 1.0
	global_load_b32 v65, v[47:48], off
	s_wait_alu 0xfffd
	v_div_fmas_f32 v36, v18, v80, v36
	v_rcp_f32_e32 v47, v62
	v_add_co_u32 v18, vcc_lo, s6, v6
	s_wait_alu 0xfffd
	v_add_co_ci_u32_e64 v19, null, s7, v7, vcc_lo
	v_div_fixup_f32 v36, v36, v91, 1.0
	global_load_b32 v80, v[18:19], off
	v_fma_f32 v18, -v62, v47, 1.0
	s_delay_alu instid0(VALU_DEP_1) | instskip(SKIP_1) | instid1(VALU_DEP_1)
	v_fmac_f32_e32 v47, v18, v47
	v_div_scale_f32 v18, vcc_lo, 1.0, v72, 1.0
	v_mul_f32_e32 v19, v18, v47
	s_delay_alu instid0(VALU_DEP_1) | instskip(NEXT) | instid1(VALU_DEP_1)
	v_fma_f32 v41, -v62, v19, v18
	v_fmac_f32_e32 v19, v41, v47
	s_delay_alu instid0(VALU_DEP_1) | instskip(SKIP_1) | instid1(VALU_DEP_1)
	v_fma_f32 v18, -v62, v19, v18
	s_wait_alu 0xfffd
	v_div_fmas_f32 v18, v18, v47, v19
	v_dual_mul_f32 v47, v23, v17 :: v_dual_mul_f32 v48, v22, v76
	v_mul_f32_e32 v22, v22, v17
	s_delay_alu instid0(VALU_DEP_3) | instskip(NEXT) | instid1(VALU_DEP_3)
	v_div_fixup_f32 v18, v18, v72, 1.0
	v_div_scale_f32 v41, null, v48, v48, 1.0
	s_delay_alu instid0(VALU_DEP_2) | instskip(NEXT) | instid1(VALU_DEP_2)
	v_mul_f32_e32 v18, v79, v18
	v_rcp_f32_e32 v62, v41
	s_delay_alu instid0(VALU_DEP_1) | instskip(SKIP_1) | instid1(VALU_DEP_1)
	v_min_num_f32_e32 v18, 0x7cf0bdc2, v18
	s_wait_loadcnt 0x13
	v_mul_f32_e32 v18, v81, v18
	s_delay_alu instid0(TRANS32_DEP_1) | instskip(NEXT) | instid1(VALU_DEP_1)
	v_fma_f32 v19, -v41, v62, 1.0
	v_dual_fmac_f32 v62, v19, v62 :: v_dual_mul_f32 v19, v69, v47
	v_div_fixup_f32 v47, v71, v24, 1.0
	s_delay_alu instid0(VALU_DEP_1) | instskip(NEXT) | instid1(VALU_DEP_1)
	v_dual_mul_f32 v19, v19, v47 :: v_dual_mul_f32 v42, v74, v78
	v_dual_mul_f32 v74, v17, v74 :: v_dual_min_num_f32 v19, 0x7cf0bdc2, v19
	s_delay_alu instid0(VALU_DEP_2) | instskip(NEXT) | instid1(VALU_DEP_2)
	v_div_scale_f32 v71, null, v42, v42, 1.0
	v_mul_f32_e32 v67, v67, v74
	s_delay_alu instid0(VALU_DEP_3) | instskip(NEXT) | instid1(VALU_DEP_3)
	v_dual_mul_f32 v36, v79, v36 :: v_dual_mul_f32 v19, v73, v19
	v_rcp_f32_e32 v47, v71
	s_delay_alu instid0(VALU_DEP_1) | instskip(NEXT) | instid1(VALU_DEP_1)
	v_dual_min_num_f32 v67, 0x7cf0bdc2, v67 :: v_dual_min_num_f32 v36, 0x7cf0bdc2, v36
	v_dual_mul_f32 v67, v75, v67 :: v_dual_mul_f32 v36, v77, v36
	s_clause 0x2
	global_store_b32 v[37:38], v19, off
	global_store_b32 v[43:44], v67, off
	;; [unrolled: 1-line block ×3, first 2 shown]
	v_fma_f32 v74, -v71, v47, 1.0
	s_wait_loadcnt 0x12
	v_mul_f32_e32 v43, v24, v82
	v_div_scale_f32 v36, s0, 1.0, v48, 1.0
	global_store_b32 v[39:40], v18, off
	v_fmac_f32_e32 v47, v74, v47
	v_div_scale_f32 v74, vcc_lo, 1.0, v42, 1.0
	v_div_scale_f32 v40, null, v43, v43, 1.0
	v_mul_f32_e32 v38, v36, v62
	s_delay_alu instid0(VALU_DEP_3) | instskip(NEXT) | instid1(VALU_DEP_3)
	v_mul_f32_e32 v72, v74, v47
	v_rcp_f32_e32 v44, v40
	s_delay_alu instid0(VALU_DEP_2) | instskip(NEXT) | instid1(VALU_DEP_2)
	v_fma_f32 v39, -v41, v38, v36
	v_fma_f32 v79, -v71, v72, v74
	s_delay_alu instid0(VALU_DEP_2) | instskip(NEXT) | instid1(TRANS32_DEP_1)
	v_fmac_f32_e32 v38, v39, v62
	v_fma_f32 v39, -v40, v44, 1.0
	s_delay_alu instid0(VALU_DEP_2) | instskip(NEXT) | instid1(VALU_DEP_2)
	v_fma_f32 v41, -v41, v38, v36
	v_fmac_f32_e32 v44, v39, v44
	v_fmac_f32_e32 v72, v79, v47
	s_delay_alu instid0(VALU_DEP_1) | instskip(SKIP_1) | instid1(VALU_DEP_1)
	v_fma_f32 v19, -v71, v72, v74
	s_wait_alu 0xfffd
	v_div_fmas_f32 v37, v19, v47, v72
	v_add_co_u32 v18, vcc_lo, s6, v4
	s_wait_alu 0xfffd
	v_add_co_ci_u32_e64 v19, null, s7, v5, vcc_lo
	v_add_co_u32 v2, vcc_lo, s10, v2
	s_wait_alu 0xfffd
	v_add_co_ci_u32_e64 v3, null, s11, v3, vcc_lo
	global_load_b32 v53, v[18:19], off
	v_lshlrev_b64_e32 v[18:19], 2, v[0:1]
	v_mul_f32_e32 v47, v17, v82
	v_div_fixup_f32 v37, v37, v42, 1.0
	global_load_b32 v54, v[2:3], off
	v_div_scale_f32 v42, s1, 1.0, v43, 1.0
	v_add_co_u32 v2, vcc_lo, s6, v18
	s_wait_alu 0xfffd
	v_add_co_ci_u32_e64 v3, null, s7, v19, vcc_lo
	v_mul_f32_e32 v0, v47, v37
	v_mad_co_u64_u32 v[36:37], null, 0x47, s2, v[70:71]
	global_load_b32 v67, v[2:3], off
	v_mov_b32_e32 v37, v1
	s_mov_b32 vcc_lo, s0
	v_mul_f32_e32 v71, v76, v78
	s_wait_alu 0xfffe
	v_div_fmas_f32 v38, v41, v62, v38
	v_min_num_f32_e32 v62, 0x7cf0bdc2, v0
	v_add_nc_u32_e32 v0, s4, v36
	v_lshlrev_b64_e32 v[2:3], 2, v[36:37]
	v_mul_f32_e32 v41, v42, v44
	v_div_fixup_f32 v48, v38, v48, 1.0
	v_div_scale_f32 v72, null, v71, v71, 1.0
	v_lshlrev_b64_e32 v[36:37], 2, v[0:1]
	v_add_co_u32 v38, vcc_lo, s6, v2
	s_wait_alu 0xfffd
	v_add_co_ci_u32_e64 v39, null, s7, v3, vcc_lo
	v_fma_f32 v70, -v40, v41, v42
	s_delay_alu instid0(VALU_DEP_4) | instskip(SKIP_2) | instid1(VALU_DEP_3)
	v_add_co_u32 v36, vcc_lo, s10, v36
	s_wait_alu 0xfffd
	v_add_co_ci_u32_e64 v37, null, s11, v37, vcc_lo
	v_fmac_f32_e32 v41, v70, v44
	global_load_b32 v70, v[38:39], off
	global_load_b32 v73, v[36:37], off
	v_mul_f32_e32 v47, v48, v47
	v_rcp_f32_e32 v48, v72
	v_add_nc_u32_e32 v0, s3, v0
	v_fma_f32 v38, -v40, v41, v42
	s_mov_b32 vcc_lo, s1
	v_min_num_f32_e32 v47, 0x7cf0bdc2, v47
	s_delay_alu instid0(VALU_DEP_3) | instskip(SKIP_3) | instid1(TRANS32_DEP_1)
	v_lshlrev_b64_e32 v[36:37], 2, v[0:1]
	s_wait_alu 0xfffe
	v_div_fmas_f32 v40, v38, v44, v41
	v_add_nc_u32_e32 v0, s2, v0
	v_fma_f32 v41, -v72, v48, 1.0
	s_delay_alu instid0(VALU_DEP_4) | instskip(SKIP_2) | instid1(VALU_DEP_3)
	v_add_co_u32 v38, vcc_lo, s6, v36
	s_wait_alu 0xfffd
	v_add_co_ci_u32_e64 v39, null, s7, v37, vcc_lo
	v_fmac_f32_e32 v48, v41, v48
	v_div_scale_f32 v42, vcc_lo, 1.0, v71, 1.0
	v_div_fixup_f32 v40, v40, v43, 1.0
	global_load_b32 v44, v[38:39], off
	v_add_co_u32 v38, s0, s8, v49
	v_mul_f32_e32 v49, v42, v48
	s_wait_loadcnt 0x15
	v_dual_mul_f32 v74, v26, v17 :: v_dual_mul_f32 v43, v47, v84
	v_mul_f32_e32 v26, v26, v24
	s_wait_alu 0xf1ff
	v_add_co_ci_u32_e64 v39, null, s9, v50, s0
	s_delay_alu instid0(VALU_DEP_3) | instskip(SKIP_2) | instid1(VALU_DEP_3)
	v_mul_f32_e32 v47, v74, v40
	v_add_co_u32 v40, s0, s8, v51
	v_div_scale_f32 v50, null, v26, v26, 1.0
	v_min_num_f32_e32 v47, 0x7cf0bdc2, v47
	s_wait_alu 0xf1ff
	v_add_co_ci_u32_e64 v41, null, s9, v52, s0
	v_fma_f32 v51, -v72, v49, v42
	s_wait_loadcnt 0x13
	v_mul_f32_e32 v47, v47, v89
	v_mul_f32_e32 v62, v83, v62
	s_delay_alu instid0(VALU_DEP_3)
	v_fmac_f32_e32 v49, v51, v48
	global_store_b32 v[38:39], v62, off
	v_rcp_f32_e32 v62, v50
	v_add_co_u32 v38, s0, s8, v55
	v_mul_f32_e32 v55, v23, v63
	global_store_b32 v[40:41], v43, off
	s_wait_alu 0xf1ff
	v_add_co_ci_u32_e64 v39, null, s9, v56, s0
	v_lshlrev_b64_e32 v[40:41], 2, v[0:1]
	v_div_scale_f32 v56, null, v55, v55, 1.0
	v_fma_f32 v43, -v50, v62, 1.0
	v_div_scale_f32 v52, s0, 1.0, v26, 1.0
	s_delay_alu instid0(VALU_DEP_3) | instskip(SKIP_1) | instid1(VALU_DEP_3)
	v_rcp_f32_e32 v63, v56
	v_fma_f32 v51, -v72, v49, v42
	v_fmac_f32_e32 v62, v43, v62
	v_add_co_u32 v42, s1, s6, v40
	s_wait_alu 0xf1ff
	v_add_co_ci_u32_e64 v43, null, s7, v41, s1
	s_delay_alu instid0(VALU_DEP_3)
	v_mul_f32_e32 v72, v52, v62
	v_add_nc_u32_e32 v0, s2, v0
	s_wait_alu 0xfffd
	v_div_fmas_f32 v48, v51, v48, v49
	global_load_b32 v75, v[42:43], off
	v_fma_f32 v43, -v56, v63, 1.0
	v_fma_f32 v42, -v50, v72, v52
	global_store_b32 v[38:39], v47, off
	v_lshlrev_b64_e32 v[38:39], 2, v[0:1]
	v_add_nc_u32_e32 v0, s2, v0
	v_div_fixup_f32 v47, v48, v71, 1.0
	v_dual_fmac_f32 v72, v42, v62 :: v_dual_fmac_f32 v63, v43, v63
	v_div_scale_f32 v71, s1, 1.0, v55, 1.0
	s_delay_alu instid0(VALU_DEP_4)
	v_lshlrev_b64_e32 v[42:43], 2, v[0:1]
	v_add_nc_u32_e32 v0, s2, v0
	v_mul_f32_e32 v74, v74, v47
	v_add_co_u32 v47, vcc_lo, s6, v38
	v_fma_f32 v76, -v50, v72, v52
	s_wait_alu 0xfffd
	v_add_co_ci_u32_e64 v48, null, s7, v39, vcc_lo
	v_add_co_u32 v49, vcc_lo, s6, v42
	v_lshlrev_b64_e32 v[51:52], 2, v[0:1]
	s_wait_alu 0xfffd
	v_add_co_ci_u32_e64 v50, null, s7, v43, vcc_lo
	s_clause 0x1
	global_load_b32 v79, v[47:48], off
	global_load_b32 v49, v[49:50], off
	v_add_co_u32 v47, vcc_lo, s6, v51
	s_wait_alu 0xfffd
	v_add_co_ci_u32_e64 v48, null, s7, v52, vcc_lo
	s_mov_b32 vcc_lo, s0
	v_add_nc_u32_e32 v0, s2, v0
	s_wait_alu 0xfffe
	v_div_fmas_f32 v50, v76, v62, v72
	global_load_b32 v76, v[47:48], off
	v_min_num_f32_e32 v74, 0x7cf0bdc2, v74
	v_add_co_u32 v12, s0, s8, v12
	v_div_fixup_f32 v26, v50, v26, 1.0
	v_lshlrev_b64_e32 v[0:1], 2, v[0:1]
	s_wait_alu 0xf1ff
	v_add_co_ci_u32_e64 v13, null, s9, v13, s0
	v_add_co_u32 v10, s0, s8, v10
	v_mul_f32_e32 v21, v21, v26
	s_delay_alu instid0(VALU_DEP_4) | instskip(SKIP_2) | instid1(VALU_DEP_3)
	v_add_co_u32 v47, vcc_lo, s6, v0
	s_wait_alu 0xfffd
	v_add_co_ci_u32_e64 v48, null, s7, v1, vcc_lo
	v_min_num_f32_e32 v21, 0x7cf0bdc2, v21
	s_wait_alu 0xf1ff
	v_add_co_ci_u32_e64 v11, null, s9, v11, s0
	global_load_b32 v47, v[47:48], off
	s_wait_loadcnt 0x16
	v_dual_mul_f32 v48, v74, v90 :: v_dual_mul_f32 v21, v21, v92
	s_clause 0x1
	global_store_b32 v[12:13], v48, off
	global_store_b32 v[10:11], v21, off
	s_wait_loadcnt 0x12
	v_div_scale_f32 v13, s0, 1.0, v61, 1.0
	v_dual_mul_f32 v64, v24, v64 :: v_dual_mul_f32 v77, v71, v63
	s_mov_b32 vcc_lo, s1
	s_wait_loadcnt 0xc
	v_dual_mul_f32 v24, v20, v24 :: v_dual_mul_f32 v21, v23, v65
	s_delay_alu instid0(VALU_DEP_2) | instskip(SKIP_1) | instid1(VALU_DEP_2)
	v_div_scale_f32 v78, null, v64, v64, 1.0
	v_fma_f32 v62, -v56, v77, v71
	v_rcp_f32_e32 v72, v78
	s_delay_alu instid0(VALU_DEP_1) | instskip(NEXT) | instid1(VALU_DEP_1)
	v_fmac_f32_e32 v77, v62, v63
	v_fma_f32 v50, -v56, v77, v71
	s_delay_alu instid0(TRANS32_DEP_1) | instskip(SKIP_1) | instid1(VALU_DEP_2)
	v_fma_f32 v56, -v78, v72, 1.0
	s_wait_alu 0xfffe
	v_div_fmas_f32 v26, v50, v63, v77
	v_div_scale_f32 v50, vcc_lo, 1.0, v64, 1.0
	s_delay_alu instid0(VALU_DEP_3) | instskip(SKIP_1) | instid1(VALU_DEP_4)
	v_fmac_f32_e32 v72, v56, v72
	v_div_scale_f32 v56, null, v61, v61, 1.0
	v_div_fixup_f32 v26, v26, v55, 1.0
	v_div_scale_f32 v63, null, v24, v24, 1.0
	s_delay_alu instid0(VALU_DEP_4) | instskip(NEXT) | instid1(VALU_DEP_4)
	v_mul_f32_e32 v55, v50, v72
	v_rcp_f32_e32 v62, v56
	s_delay_alu instid0(VALU_DEP_3) | instskip(NEXT) | instid1(VALU_DEP_3)
	v_mul_f32_e32 v25, v25, v26
	v_rcp_f32_e32 v71, v63
	s_delay_alu instid0(VALU_DEP_2) | instskip(NEXT) | instid1(VALU_DEP_2)
	v_fma_f32 v26, -v78, v55, v50
	v_min_num_f32_e32 v25, 0x7cf0bdc2, v25
	s_delay_alu instid0(VALU_DEP_2) | instskip(NEXT) | instid1(TRANS32_DEP_2)
	v_fmac_f32_e32 v55, v26, v72
	v_fma_f32 v26, -v56, v62, 1.0
	s_delay_alu instid0(VALU_DEP_3) | instskip(NEXT) | instid1(TRANS32_DEP_1)
	v_mul_f32_e32 v12, v29, v25
	v_fma_f32 v11, -v63, v71, 1.0
	v_div_scale_f32 v25, null, v21, v21, 1.0
	s_delay_alu instid0(VALU_DEP_4) | instskip(SKIP_1) | instid1(VALU_DEP_4)
	v_fmac_f32_e32 v62, v26, v62
	v_fma_f32 v10, -v78, v55, v50
	v_fmac_f32_e32 v71, v11, v71
	v_div_scale_f32 v26, s1, 1.0, v24, 1.0
	s_delay_alu instid0(VALU_DEP_4) | instskip(SKIP_1) | instid1(VALU_DEP_1)
	v_mul_f32_e32 v23, v13, v62
	v_rcp_f32_e32 v48, v25
	v_fma_f32 v50, -v56, v23, v13
	s_delay_alu instid0(VALU_DEP_1) | instskip(SKIP_3) | instid1(VALU_DEP_2)
	v_fmac_f32_e32 v23, v50, v62
	s_wait_alu 0xfffd
	v_div_fmas_f32 v10, v10, v72, v55
	v_mul_f32_e32 v55, v26, v71
	v_div_fixup_f32 v29, v10, v64, 1.0
	v_add_co_u32 v10, vcc_lo, s8, v45
	s_wait_alu 0xfffd
	v_add_co_ci_u32_e64 v11, null, s9, v46, vcc_lo
	v_fma_f32 v45, -v63, v55, v26
	s_mov_b32 vcc_lo, s0
	v_fma_f32 v46, -v25, v48, 1.0
	global_store_b32 v[10:11], v12, off
	v_fma_f32 v11, -v56, v23, v13
	v_fmac_f32_e32 v55, v45, v71
	v_div_scale_f32 v12, s2, 1.0, v21, 1.0
	s_wait_alu 0xfffe
	s_delay_alu instid0(VALU_DEP_3) | instskip(NEXT) | instid1(VALU_DEP_3)
	v_div_fmas_f32 v11, v11, v62, v23
	v_fma_f32 v13, -v63, v55, v26
	s_mov_b32 vcc_lo, s1
	s_delay_alu instid0(VALU_DEP_2) | instskip(SKIP_3) | instid1(VALU_DEP_2)
	v_div_fixup_f32 v11, v11, v61, 1.0
	v_mul_f32_e32 v20, v20, v17
	s_wait_alu 0xfffe
	v_div_fmas_f32 v13, v13, v71, v55
	v_mul_f32_e32 v29, v20, v29
	s_delay_alu instid0(VALU_DEP_2) | instskip(NEXT) | instid1(VALU_DEP_2)
	v_div_fixup_f32 v13, v13, v24, 1.0
	v_min_num_f32_e32 v10, 0x7cf0bdc2, v29
	v_fmac_f32_e32 v48, v46, v48
	v_div_scale_f32 v29, null, v93, v93, 1.0
	s_delay_alu instid0(VALU_DEP_4) | instskip(NEXT) | instid1(VALU_DEP_4)
	v_mul_f32_e32 v13, v22, v13
	v_dual_mul_f32 v23, v88, v10 :: v_dual_mul_f32 v10, v69, v20
	s_delay_alu instid0(VALU_DEP_4) | instskip(NEXT) | instid1(VALU_DEP_4)
	v_mul_f32_e32 v20, v12, v48
	v_rcp_f32_e32 v24, v29
	s_delay_alu instid0(VALU_DEP_2) | instskip(NEXT) | instid1(VALU_DEP_2)
	v_mul_f32_e32 v45, v10, v11
	v_fma_f32 v26, -v25, v20, v12
	v_add_co_u32 v10, vcc_lo, s8, v57
	s_wait_alu 0xfffd
	v_add_co_ci_u32_e64 v11, null, s9, v58, vcc_lo
	s_delay_alu instid0(VALU_DEP_3) | instskip(NEXT) | instid1(TRANS32_DEP_1)
	v_fmac_f32_e32 v20, v26, v48
	v_fma_f32 v22, -v29, v24, 1.0
	v_mul_f32_e32 v26, v17, v32
	v_mul_f32_e32 v32, v16, v68
	s_mov_b32 vcc_lo, s2
	v_fma_f32 v12, -v25, v20, v12
	v_dual_min_num_f32 v25, 0x7cf0bdc2, v45 :: v_dual_fmac_f32 v24, v22, v24
	s_delay_alu instid0(VALU_DEP_3) | instskip(SKIP_1) | instid1(VALU_DEP_3)
	v_div_scale_f32 v45, null, v32, v32, 1.0
	s_wait_alu 0xfffe
	v_div_fmas_f32 v12, v12, v48, v20
	v_div_scale_f32 v22, vcc_lo, 1.0, v93, 1.0
	s_delay_alu instid0(VALU_DEP_3) | instskip(SKIP_1) | instid1(VALU_DEP_2)
	v_rcp_f32_e32 v48, v45
	v_mul_f32_e32 v20, v66, v25
	v_dual_min_num_f32 v25, 0x7cf0bdc2, v13 :: v_dual_mul_f32 v46, v22, v24
	v_div_fixup_f32 v21, v12, v21, 1.0
	v_add_co_u32 v12, s0, s8, v59
	s_wait_alu 0xf1ff
	v_add_co_ci_u32_e64 v13, null, s9, v60, s0
	v_add_co_u32 v8, s0, s8, v8
	v_fma_f32 v50, -v29, v46, v22
	v_mul_f32_e32 v25, v25, v87
	s_wait_alu 0xf1ff
	v_add_co_ci_u32_e64 v9, null, s9, v9, s0
	s_clause 0x2
	global_store_b32 v[10:11], v23, off
	global_store_b32 v[12:13], v20, off
	;; [unrolled: 1-line block ×3, first 2 shown]
	v_fmac_f32_e32 v46, v50, v24
	v_fma_f32 v9, -v45, v48, 1.0
	v_dual_mul_f32 v13, v28, v65 :: v_dual_mul_f32 v10, v17, v35
	v_mul_f32_e32 v11, v15, v15
	s_delay_alu instid0(VALU_DEP_4) | instskip(NEXT) | instid1(VALU_DEP_4)
	v_fma_f32 v12, -v29, v46, v22
	v_fmac_f32_e32 v48, v9, v48
	v_div_scale_f32 v9, s0, 1.0, v32, 1.0
	v_div_scale_f32 v17, null, v13, v13, 1.0
	v_mul_f32_e32 v26, v26, v21
	s_wait_alu 0xfffd
	v_div_fmas_f32 v12, v12, v24, v46
	v_mul_f32_e32 v20, v9, v48
	v_rcp_f32_e32 v22, v17
	v_mul_f32_e32 v10, v10, v21
	v_dual_min_num_f32 v26, 0x7cf0bdc2, v26 :: v_dual_mul_f32 v21, v69, v11
	v_div_fixup_f32 v12, v12, v93, 1.0
	v_fma_f32 v23, -v45, v20, v9
	v_add_co_u32 v6, vcc_lo, s8, v6
	s_wait_loadcnt 0xb
	v_mul_f32_e32 v8, v80, v26
	s_wait_alu 0xfffd
	v_add_co_ci_u32_e64 v7, null, s9, v7, vcc_lo
	v_mul_f32_e32 v12, v21, v12
	v_fmac_f32_e32 v20, v23, v48
	v_fma_f32 v21, -v17, v22, 1.0
	global_store_b32 v[6:7], v8, off
	s_mov_b32 vcc_lo, s0
	v_min_num_f32_e32 v6, 0x7cf0bdc2, v12
	v_fma_f32 v7, -v45, v20, v9
	v_fmac_f32_e32 v22, v21, v22
	v_div_scale_f32 v9, s1, 1.0, v13, 1.0
	v_min_num_f32_e32 v10, 0x7cf0bdc2, v10
	s_wait_alu 0xfffe
	v_div_fmas_f32 v7, v7, v48, v20
	v_add_co_u32 v4, vcc_lo, s8, v4
	v_mul_f32_e32 v12, v9, v22
	s_wait_alu 0xfffd
	v_add_co_ci_u32_e64 v5, null, s9, v5, vcc_lo
	s_wait_loadcnt 0x8
	v_mul_f32_e32 v21, v67, v6
	v_add_co_u32 v6, vcc_lo, s8, v18
	v_mul_f32_e32 v8, v53, v10
	v_div_fixup_f32 v24, v7, v32, 1.0
	v_fma_f32 v25, -v17, v12, v9
	s_wait_alu 0xfffd
	v_add_co_ci_u32_e64 v7, null, s9, v19, vcc_lo
	global_store_b32 v[4:5], v8, off
	s_mov_b32 vcc_lo, s1
	v_fmac_f32_e32 v12, v25, v22
	global_store_b32 v[6:7], v21, off
	v_mul_f32_e32 v7, v31, v15
	v_mul_f32_e32 v11, v11, v24
	v_fma_f32 v6, -v17, v12, v9
	s_delay_alu instid0(VALU_DEP_3) | instskip(NEXT) | instid1(VALU_DEP_3)
	v_div_scale_f32 v8, null, v7, v7, 1.0
	v_min_num_f32_e32 v5, 0x7cf0bdc2, v11
	s_wait_alu 0xfffe
	s_delay_alu instid0(VALU_DEP_3)
	v_div_fmas_f32 v6, v6, v22, v12
	s_wait_loadcnt 0x6
	v_mul_f32_e32 v11, v15, v73
	v_rcp_f32_e32 v12, v8
	v_add_co_u32 v2, vcc_lo, s8, v2
	v_div_fixup_f32 v6, v6, v13, 1.0
	v_mul_f32_e32 v5, v70, v5
	s_wait_alu 0xfffd
	v_add_co_ci_u32_e64 v3, null, s9, v3, vcc_lo
	v_mul_f32_e32 v15, v33, v34
	v_mul_f32_e32 v6, v11, v6
	s_delay_alu instid0(TRANS32_DEP_1)
	v_fma_f32 v11, -v8, v12, 1.0
	global_store_b32 v[2:3], v5, off
	v_div_scale_f32 v5, s1, 1.0, v7, 1.0
	v_min_num_f32_e32 v2, 0x7cf0bdc2, v6
	v_fmac_f32_e32 v12, v11, v12
	v_dual_mul_f32 v10, v54, v14 :: v_dual_mul_f32 v11, v16, v27
	v_mul_f32_e32 v16, v31, v14
	s_wait_loadcnt 0x5
	v_mul_f32_e32 v6, v44, v2
	v_mul_f32_e32 v14, v33, v14
	v_div_scale_f32 v20, null, v10, v10, 1.0
	v_div_scale_f32 v18, null, v16, v16, 1.0
	s_delay_alu instid0(VALU_DEP_3) | instskip(NEXT) | instid1(VALU_DEP_3)
	v_div_scale_f32 v21, null, v14, v14, 1.0
	v_rcp_f32_e32 v23, v20
	s_delay_alu instid0(TRANS32_DEP_1) | instskip(NEXT) | instid1(VALU_DEP_1)
	v_fma_f32 v4, -v20, v23, 1.0
	v_fmac_f32_e32 v23, v4, v23
	v_div_scale_f32 v4, s0, 1.0, v10, 1.0
	s_mov_b32 vcc_lo, s0
	v_div_scale_f32 v19, s0, 1.0, v15, 1.0
	v_mul_f32_e32 v9, v4, v23
	s_delay_alu instid0(VALU_DEP_1) | instskip(NEXT) | instid1(VALU_DEP_1)
	v_fma_f32 v13, -v20, v9, v4
	v_fmac_f32_e32 v9, v13, v23
	v_div_scale_f32 v13, null, v15, v15, 1.0
	s_delay_alu instid0(VALU_DEP_2) | instskip(NEXT) | instid1(VALU_DEP_2)
	v_fma_f32 v3, -v20, v9, v4
	v_rcp_f32_e32 v4, v13
	v_rcp_f32_e32 v20, v18
	s_wait_alu 0xfffe
	s_delay_alu instid0(VALU_DEP_1) | instskip(SKIP_1) | instid1(VALU_DEP_2)
	v_div_fmas_f32 v2, v3, v23, v9
	v_mul_f32_e32 v9, v5, v12
	v_div_fixup_f32 v10, v2, v10, 1.0
	s_delay_alu instid0(TRANS32_DEP_2) | instskip(NEXT) | instid1(VALU_DEP_3)
	v_fma_f32 v3, -v13, v4, 1.0
	v_fma_f32 v17, -v8, v9, v5
	v_add_co_u32 v2, vcc_lo, s8, v36
	s_delay_alu instid0(TRANS32_DEP_1) | instskip(NEXT) | instid1(VALU_DEP_4)
	v_fma_f32 v23, -v18, v20, 1.0
	v_fmac_f32_e32 v4, v3, v4
	s_delay_alu instid0(VALU_DEP_4)
	v_fmac_f32_e32 v9, v17, v12
	v_rcp_f32_e32 v17, v21
	s_wait_alu 0xfffd
	v_add_co_ci_u32_e64 v3, null, s9, v37, vcc_lo
	v_mul_f32_e32 v22, v19, v4
	v_fmac_f32_e32 v20, v23, v20
	s_mov_b32 vcc_lo, s1
	global_store_b32 v[2:3], v6, off
	v_fma_f32 v3, -v8, v9, v5
	v_fma_f32 v5, -v13, v22, v19
	v_div_scale_f32 v6, s2, 1.0, v16, 1.0
	v_fma_f32 v8, -v21, v17, 1.0
	s_wait_alu 0xfffe
	v_div_fmas_f32 v3, v3, v12, v9
	v_fmac_f32_e32 v22, v5, v4
	v_dual_mul_f32 v5, v6, v20 :: v_dual_mul_f32 v10, v11, v10
	v_fmac_f32_e32 v17, v8, v17
	v_div_scale_f32 v8, s1, 1.0, v14, 1.0
	v_div_fixup_f32 v7, v3, v7, 1.0
	s_delay_alu instid0(VALU_DEP_4) | instskip(NEXT) | instid1(VALU_DEP_3)
	v_fma_f32 v3, -v18, v5, v6
	v_dual_min_num_f32 v2, 0x7cf0bdc2, v10 :: v_dual_mul_f32 v9, v8, v17
	s_mov_b32 vcc_lo, s0
	s_delay_alu instid0(VALU_DEP_3) | instskip(NEXT) | instid1(VALU_DEP_3)
	v_mul_f32_e32 v7, v11, v7
	v_fmac_f32_e32 v5, v3, v20
	s_wait_loadcnt 0x4
	v_mul_f32_e32 v10, v75, v2
	v_fma_f32 v12, -v21, v9, v8
	v_fma_f32 v2, -v13, v22, v19
	;; [unrolled: 1-line block ×3, first 2 shown]
	s_delay_alu instid0(VALU_DEP_3) | instskip(SKIP_1) | instid1(VALU_DEP_3)
	v_fmac_f32_e32 v9, v12, v17
	s_wait_alu 0xfffe
	v_div_fmas_f32 v4, v2, v4, v22
	v_add_co_u32 v2, vcc_lo, s8, v40
	s_wait_alu 0xfffd
	v_add_co_ci_u32_e64 v3, null, s9, v41, vcc_lo
	s_mov_b32 vcc_lo, s2
	v_div_fixup_f32 v4, v4, v15, 1.0
	s_wait_alu 0xfffe
	v_div_fmas_f32 v5, v6, v20, v5
	v_min_num_f32_e32 v6, 0x7cf0bdc2, v7
	v_fma_f32 v7, -v21, v9, v8
	s_mov_b32 vcc_lo, s1
	v_mul_f32_e32 v8, v30, v27
	v_div_fixup_f32 v5, v5, v16, 1.0
	v_mul_f32_e32 v4, v11, v4
	s_wait_alu 0xfffe
	v_div_fmas_f32 v7, v7, v17, v9
	v_mul_f32_e32 v9, v31, v27
	s_wait_loadcnt 0x3
	v_dual_mul_f32 v11, v79, v6 :: v_dual_mul_f32 v8, v8, v5
	v_min_num_f32_e32 v6, 0x7cf0bdc2, v4
	v_div_fixup_f32 v7, v7, v14, 1.0
	v_add_co_u32 v4, vcc_lo, s8, v38
	s_delay_alu instid0(VALU_DEP_4)
	v_min_num_f32_e32 v8, 0x7cf0bdc2, v8
	s_wait_alu 0xfffd
	v_add_co_ci_u32_e64 v5, null, s9, v39, vcc_lo
	v_mul_f32_e32 v9, v9, v7
	s_wait_loadcnt 0x2
	v_mul_f32_e32 v12, v49, v6
	v_add_co_u32 v6, vcc_lo, s8, v42
	s_wait_alu 0xfffd
	v_add_co_ci_u32_e64 v7, null, s9, v43, vcc_lo
	s_wait_loadcnt 0x1
	v_dual_min_num_f32 v14, 0x7cf0bdc2, v9 :: v_dual_mul_f32 v13, v76, v8
	v_add_co_u32 v8, vcc_lo, s8, v51
	s_wait_alu 0xfffd
	v_add_co_ci_u32_e64 v9, null, s9, v52, vcc_lo
	v_add_co_u32 v0, vcc_lo, s8, v0
	s_wait_loadcnt 0x0
	v_mul_f32_e32 v14, v47, v14
	s_wait_alu 0xfffd
	v_add_co_ci_u32_e64 v1, null, s9, v1, vcc_lo
	s_clause 0x4
	global_store_b32 v[2:3], v10, off
	global_store_b32 v[4:5], v11, off
	;; [unrolled: 1-line block ×5, first 2 shown]
	s_endpgm
	.section	.rodata,"a",@progbits
	.p2align	6, 0x0
	.amdhsa_kernel _Z12ratt5_kernelIfEvPKT_S2_PS0_S2_S0_
		.amdhsa_group_segment_fixed_size 0
		.amdhsa_private_segment_fixed_size 0
		.amdhsa_kernarg_size 296
		.amdhsa_user_sgpr_count 2
		.amdhsa_user_sgpr_dispatch_ptr 0
		.amdhsa_user_sgpr_queue_ptr 0
		.amdhsa_user_sgpr_kernarg_segment_ptr 1
		.amdhsa_user_sgpr_dispatch_id 0
		.amdhsa_user_sgpr_private_segment_size 0
		.amdhsa_wavefront_size32 1
		.amdhsa_uses_dynamic_stack 0
		.amdhsa_enable_private_segment 0
		.amdhsa_system_sgpr_workgroup_id_x 1
		.amdhsa_system_sgpr_workgroup_id_y 0
		.amdhsa_system_sgpr_workgroup_id_z 0
		.amdhsa_system_sgpr_workgroup_info 0
		.amdhsa_system_vgpr_workitem_id 0
		.amdhsa_next_free_vgpr 94
		.amdhsa_next_free_sgpr 14
		.amdhsa_reserve_vcc 1
		.amdhsa_float_round_mode_32 0
		.amdhsa_float_round_mode_16_64 0
		.amdhsa_float_denorm_mode_32 3
		.amdhsa_float_denorm_mode_16_64 3
		.amdhsa_fp16_overflow 0
		.amdhsa_workgroup_processor_mode 1
		.amdhsa_memory_ordered 1
		.amdhsa_forward_progress 1
		.amdhsa_inst_pref_size 50
		.amdhsa_round_robin_scheduling 0
		.amdhsa_exception_fp_ieee_invalid_op 0
		.amdhsa_exception_fp_denorm_src 0
		.amdhsa_exception_fp_ieee_div_zero 0
		.amdhsa_exception_fp_ieee_overflow 0
		.amdhsa_exception_fp_ieee_underflow 0
		.amdhsa_exception_fp_ieee_inexact 0
		.amdhsa_exception_int_div_zero 0
	.end_amdhsa_kernel
	.section	.text._Z12ratt5_kernelIfEvPKT_S2_PS0_S2_S0_,"axG",@progbits,_Z12ratt5_kernelIfEvPKT_S2_PS0_S2_S0_,comdat
.Lfunc_end6:
	.size	_Z12ratt5_kernelIfEvPKT_S2_PS0_S2_S0_, .Lfunc_end6-_Z12ratt5_kernelIfEvPKT_S2_PS0_S2_S0_
                                        ; -- End function
	.set _Z12ratt5_kernelIfEvPKT_S2_PS0_S2_S0_.num_vgpr, 94
	.set _Z12ratt5_kernelIfEvPKT_S2_PS0_S2_S0_.num_agpr, 0
	.set _Z12ratt5_kernelIfEvPKT_S2_PS0_S2_S0_.numbered_sgpr, 14
	.set _Z12ratt5_kernelIfEvPKT_S2_PS0_S2_S0_.num_named_barrier, 0
	.set _Z12ratt5_kernelIfEvPKT_S2_PS0_S2_S0_.private_seg_size, 0
	.set _Z12ratt5_kernelIfEvPKT_S2_PS0_S2_S0_.uses_vcc, 1
	.set _Z12ratt5_kernelIfEvPKT_S2_PS0_S2_S0_.uses_flat_scratch, 0
	.set _Z12ratt5_kernelIfEvPKT_S2_PS0_S2_S0_.has_dyn_sized_stack, 0
	.set _Z12ratt5_kernelIfEvPKT_S2_PS0_S2_S0_.has_recursion, 0
	.set _Z12ratt5_kernelIfEvPKT_S2_PS0_S2_S0_.has_indirect_call, 0
	.section	.AMDGPU.csdata,"",@progbits
; Kernel info:
; codeLenInByte = 6384
; TotalNumSgprs: 16
; NumVgprs: 94
; ScratchSize: 0
; MemoryBound: 0
; FloatMode: 240
; IeeeMode: 1
; LDSByteSize: 0 bytes/workgroup (compile time only)
; SGPRBlocks: 0
; VGPRBlocks: 11
; NumSGPRsForWavesPerEU: 16
; NumVGPRsForWavesPerEU: 94
; Occupancy: 16
; WaveLimiterHint : 0
; COMPUTE_PGM_RSRC2:SCRATCH_EN: 0
; COMPUTE_PGM_RSRC2:USER_SGPR: 2
; COMPUTE_PGM_RSRC2:TRAP_HANDLER: 0
; COMPUTE_PGM_RSRC2:TGID_X_EN: 1
; COMPUTE_PGM_RSRC2:TGID_Y_EN: 0
; COMPUTE_PGM_RSRC2:TGID_Z_EN: 0
; COMPUTE_PGM_RSRC2:TIDIG_COMP_CNT: 0
	.section	.text._Z12ratt6_kernelIfEvPKT_S2_PS0_S2_S0_,"axG",@progbits,_Z12ratt6_kernelIfEvPKT_S2_PS0_S2_S0_,comdat
	.protected	_Z12ratt6_kernelIfEvPKT_S2_PS0_S2_S0_ ; -- Begin function _Z12ratt6_kernelIfEvPKT_S2_PS0_S2_S0_
	.globl	_Z12ratt6_kernelIfEvPKT_S2_PS0_S2_S0_
	.p2align	8
	.type	_Z12ratt6_kernelIfEvPKT_S2_PS0_S2_S0_,@function
_Z12ratt6_kernelIfEvPKT_S2_PS0_S2_S0_:  ; @_Z12ratt6_kernelIfEvPKT_S2_PS0_S2_S0_
; %bb.0:
	s_clause 0x3
	s_load_b32 s2, s[0:1], 0x34
	s_load_b32 s3, s[0:1], 0x28
	s_load_b256 s[4:11], s[0:1], 0x0
	s_load_b32 s0, s[0:1], 0x20
	s_wait_kmcnt 0x0
	s_and_b32 s2, s2, 0xffff
	s_delay_alu instid0(SALU_CYCLE_1)
	v_mad_co_u64_u32 v[0:1], null, ttmp9, s2, v[0:1]
	s_mul_i32 s3, s3, s2
	v_mov_b32_e32 v1, 0
	s_wait_alu 0xfffe
	s_mul_i32 s14, s3, 11
	s_mul_i32 s2, s3, -11
	s_mul_i32 s15, s3, 0x62
	s_mul_i32 s1, s3, 0xffffffa1
	v_add_nc_u32_e32 v10, s3, v0
	v_mad_co_u64_u32 v[2:3], null, s3, 3, v[0:1]
	v_mov_b32_e32 v3, v1
	v_lshlrev_b64_e32 v[4:5], 2, v[0:1]
	v_dual_mov_b32 v11, v1 :: v_dual_add_nc_u32 v0, s14, v0
	s_mul_i32 s12, s3, 0x60
	s_mul_i32 s13, s3, 0x5e
	s_delay_alu instid0(VALU_DEP_4) | instskip(NEXT) | instid1(VALU_DEP_3)
	v_mad_co_u64_u32 v[14:15], null, s3, 14, v[2:3]
	v_add_co_u32 v6, vcc_lo, s4, v4
	v_mov_b32_e32 v9, v1
	v_lshlrev_b64_e32 v[15:16], 2, v[0:1]
	v_add_co_ci_u32_e64 v7, null, s5, v5, vcc_lo
	s_wait_alu 0xfffe
	v_add_nc_u32_e32 v8, s2, v14
	v_add_co_u32 v18, vcc_lo, s10, v4
	v_mad_co_u64_u32 v[12:13], null, 0x5a, s3, v[0:1]
	s_wait_alu 0xfffd
	v_add_co_ci_u32_e64 v19, null, s11, v5, vcc_lo
	v_mad_co_u64_u32 v[4:5], null, s3, 10, v[8:9]
	global_load_b32 v23, v[6:7], off
	v_mov_b32_e32 v13, v1
	v_add_co_u32 v6, vcc_lo, s10, v15
	v_mov_b32_e32 v5, v1
	s_wait_alu 0xfffd
	v_add_co_ci_u32_e64 v7, null, s11, v16, vcc_lo
	v_lshlrev_b64_e32 v[8:9], 2, v[8:9]
	v_mad_co_u64_u32 v[16:17], null, 0xffffff9d, s3, v[12:13]
	s_clause 0x1
	global_load_b32 v24, v[18:19], off
	global_load_b32 v22, v[6:7], off
	v_lshlrev_b64_e32 v[17:18], 2, v[4:5]
	v_lshlrev_b64_e32 v[2:3], 2, v[2:3]
	v_add_co_u32 v8, vcc_lo, s10, v8
	s_wait_alu 0xfffd
	v_add_co_ci_u32_e64 v9, null, s11, v9, vcc_lo
	s_delay_alu instid0(VALU_DEP_4)
	v_add_co_u32 v17, vcc_lo, s10, v17
	v_lshl_add_u32 v0, s3, 1, v16
	s_wait_alu 0xfffd
	v_add_co_ci_u32_e64 v18, null, s11, v18, vcc_lo
	s_clause 0x1
	global_load_b32 v25, v[8:9], off
	global_load_b32 v26, v[17:18], off
	v_lshlrev_b64_e32 v[8:9], 2, v[0:1]
	v_add_nc_u32_e32 v0, s15, v0
	v_lshlrev_b64_e32 v[28:29], 2, v[12:13]
	s_mul_i32 s4, s3, 0xffffffa5
	s_mul_i32 s5, s3, 0x5c
	s_delay_alu instid0(VALU_DEP_2)
	v_mad_co_u64_u32 v[17:18], null, 0xffffff9f, s3, v[0:1]
	v_mov_b32_e32 v18, v1
	v_add_co_u32 v8, vcc_lo, s10, v8
	s_wait_alu 0xfffd
	v_add_co_ci_u32_e64 v9, null, s11, v9, vcc_lo
	v_lshlrev_b64_e32 v[37:38], 2, v[0:1]
	v_lshlrev_b64_e32 v[18:19], 2, v[17:18]
	v_mad_co_u64_u32 v[4:5], null, 0x54, s3, v[4:5]
	global_load_b32 v21, v[8:9], off
	v_dual_mov_b32 v15, v1 :: v_dual_add_nc_u32 v0, s15, v17
	v_add_co_u32 v18, vcc_lo, s10, v18
	s_wait_alu 0xfffd
	v_add_co_ci_u32_e64 v19, null, s11, v19, vcc_lo
	v_mov_b32_e32 v17, v1
	v_mov_b32_e32 v5, v1
	global_load_b32 v27, v[18:19], off
	v_add_nc_u32_e32 v18, s14, v10
	v_lshlrev_b64_e32 v[10:11], 2, v[10:11]
	v_mov_b32_e32 v19, v1
	v_lshlrev_b64_e32 v[4:5], 2, v[4:5]
	s_delay_alu instid0(VALU_DEP_3) | instskip(SKIP_1) | instid1(VALU_DEP_4)
	v_add_co_u32 v32, vcc_lo, s10, v10
	s_wait_alu 0xfffd
	v_add_co_ci_u32_e64 v33, null, s11, v11, vcc_lo
	v_lshlrev_b64_e32 v[10:11], 2, v[0:1]
	v_add_nc_u32_e32 v0, s1, v0
	v_lshlrev_b64_e32 v[39:40], 2, v[14:15]
	v_lshlrev_b64_e32 v[18:19], 2, v[18:19]
	v_add_co_u32 v12, vcc_lo, s10, v2
	s_delay_alu instid0(VALU_DEP_4)
	v_mad_co_u64_u32 v[14:15], null, s3, 13, v[0:1]
	v_mov_b32_e32 v15, v1
	s_wait_alu 0xfffd
	v_add_co_ci_u32_e64 v13, null, s11, v3, vcc_lo
	v_lshlrev_b64_e32 v[2:3], 2, v[0:1]
	v_add_co_u32 v18, vcc_lo, s10, v18
	v_lshlrev_b64_e32 v[30:31], 2, v[14:15]
	s_wait_alu 0xfffd
	v_add_co_ci_u32_e64 v19, null, s11, v19, vcc_lo
	v_add_co_u32 v41, vcc_lo, s6, v28
	s_wait_alu 0xfffd
	v_add_co_ci_u32_e64 v42, null, s7, v29, vcc_lo
	v_add_co_u32 v34, vcc_lo, s10, v2
	;; [unrolled: 3-line block ×3, first 2 shown]
	s_wait_alu 0xfffd
	v_add_co_ci_u32_e64 v31, null, s11, v31, vcc_lo
	v_lshlrev_b64_e32 v[15:16], 2, v[16:17]
	v_add_co_u32 v2, vcc_lo, s8, v28
	s_wait_alu 0xfffd
	v_add_co_ci_u32_e64 v3, null, s9, v29, vcc_lo
	s_clause 0x5
	global_load_b32 v29, v[34:35], off
	global_load_b32 v36, v[30:31], off
	global_load_b32 v34, v[18:19], off
	global_load_b32 v28, v[32:33], off
	global_load_b32 v31, v[6:7], off
	global_load_b32 v33, v[32:33], off
	v_add_co_u32 v6, vcc_lo, s10, v39
	s_wait_alu 0xfffd
	v_add_co_ci_u32_e64 v7, null, s11, v40, vcc_lo
	v_add_co_u32 v17, vcc_lo, s10, v15
	s_wait_alu 0xfffd
	v_add_co_ci_u32_e64 v18, null, s11, v16, vcc_lo
	;; [unrolled: 3-line block ×3, first 2 shown]
	v_add_co_u32 v15, vcc_lo, s8, v37
	global_load_b32 v41, v[41:42], off
	s_clause 0x2
	global_load_b32 v32, v[17:18], off
	global_load_b32 v30, v[8:9], off
	;; [unrolled: 1-line block ×3, first 2 shown]
	s_wait_alu 0xfffd
	v_add_co_ci_u32_e64 v16, null, s9, v38, vcc_lo
	v_mad_co_u64_u32 v[8:9], null, 0x53, s3, v[14:15]
	s_clause 0x2
	global_load_b32 v66, v[6:7], off
	global_load_b32 v43, v[12:13], off
	;; [unrolled: 1-line block ×4, first 2 shown]
	v_add_co_u32 v6, vcc_lo, s6, v4
	s_wait_alu 0xfffd
	v_add_co_ci_u32_e64 v7, null, s7, v5, vcc_lo
	v_add_co_u32 v45, vcc_lo, s8, v4
	v_add_nc_u32_e32 v0, s1, v8
	s_wait_alu 0xfffd
	v_add_co_ci_u32_e64 v46, null, s9, v5, vcc_lo
	global_load_b32 v68, v[6:7], off
	v_add_co_u32 v6, vcc_lo, s6, v10
	v_lshlrev_b64_e32 v[4:5], 2, v[0:1]
	v_add_nc_u32_e32 v0, s12, v0
	s_wait_alu 0xfffd
	v_add_co_ci_u32_e64 v7, null, s7, v11, vcc_lo
	v_add_co_u32 v47, vcc_lo, s8, v10
	s_delay_alu instid0(VALU_DEP_3)
	v_lshlrev_b64_e32 v[12:13], 2, v[0:1]
	v_dual_mov_b32 v9, v1 :: v_dual_add_nc_u32 v0, s1, v0
	s_wait_alu 0xfffd
	v_add_co_ci_u32_e64 v48, null, s9, v11, vcc_lo
	global_load_b32 v69, v[6:7], off
	v_lshlrev_b64_e32 v[8:9], 2, v[8:9]
	s_delay_alu instid0(VALU_DEP_1) | instskip(SKIP_1) | instid1(VALU_DEP_2)
	v_add_co_u32 v10, vcc_lo, s6, v8
	s_wait_alu 0xfffd
	v_add_co_ci_u32_e64 v11, null, s7, v9, vcc_lo
	v_add_co_u32 v49, vcc_lo, s8, v8
	s_wait_alu 0xfffd
	v_add_co_ci_u32_e64 v50, null, s9, v9, vcc_lo
	global_load_b32 v70, v[10:11], off
	v_lshlrev_b64_e32 v[6:7], 2, v[0:1]
	v_add_nc_u32_e32 v0, s12, v0
	v_add_co_u32 v4, vcc_lo, s10, v4
	s_wait_alu 0xfffd
	v_add_co_ci_u32_e64 v5, null, s11, v5, vcc_lo
	s_delay_alu instid0(VALU_DEP_3)
	v_mad_co_u64_u32 v[17:18], null, 0xffffffae, s3, v[0:1]
	v_lshlrev_b64_e32 v[8:9], 2, v[0:1]
	v_add_co_u32 v10, vcc_lo, s6, v12
	s_wait_alu 0xfffd
	v_add_co_ci_u32_e64 v11, null, s7, v13, vcc_lo
	v_add_co_u32 v51, vcc_lo, s8, v12
	s_wait_alu 0xfffd
	v_add_co_ci_u32_e64 v52, null, s9, v13, vcc_lo
	v_add_co_u32 v6, vcc_lo, s10, v6
	v_mov_b32_e32 v18, v1
	s_wait_alu 0xfffd
	v_add_co_ci_u32_e64 v7, null, s11, v7, vcc_lo
	s_clause 0x2
	global_load_b32 v42, v[4:5], off
	global_load_b32 v40, v[4:5], off
	;; [unrolled: 1-line block ×4, first 2 shown]
	v_add_co_u32 v4, vcc_lo, s6, v8
	v_add_nc_u32_e32 v0, s2, v17
	s_wait_alu 0xfffd
	v_add_co_ci_u32_e64 v5, null, s7, v9, vcc_lo
	v_add_co_u32 v57, vcc_lo, s8, v8
	s_wait_alu 0xfffd
	v_add_co_ci_u32_e64 v58, null, s9, v9, vcc_lo
	v_lshlrev_b64_e32 v[8:9], 2, v[17:18]
	v_lshlrev_b64_e32 v[38:39], 2, v[0:1]
	global_load_b32 v73, v[4:5], off
	v_add_nc_u32_e32 v0, s13, v0
	global_load_b32 v72, v[6:7], off
	v_add_co_u32 v4, vcc_lo, s10, v8
	s_wait_alu 0xfffd
	v_add_co_ci_u32_e64 v5, null, s11, v9, vcc_lo
	v_add_co_u32 v8, vcc_lo, s10, v38
	s_wait_alu 0xfffd
	v_add_co_ci_u32_e64 v9, null, s11, v39, vcc_lo
	s_clause 0x2
	global_load_b32 v44, v[4:5], off
	global_load_b32 v74, v[8:9], off
	;; [unrolled: 1-line block ×3, first 2 shown]
	s_wait_loadcnt 0x1e
	v_mul_f32_e32 v82, v24, v22
	s_wait_loadcnt 0x1c
	v_mul_f32_e32 v85, v25, v26
	v_lshlrev_b64_e32 v[53:54], 2, v[0:1]
	v_add_nc_u32_e32 v0, s3, v0
	s_delay_alu instid0(VALU_DEP_1) | instskip(SKIP_1) | instid1(VALU_DEP_1)
	v_lshlrev_b64_e32 v[19:20], 2, v[0:1]
	v_add_nc_u32_e32 v0, s3, v0
	v_lshlrev_b64_e32 v[55:56], 2, v[0:1]
	s_wait_alu 0xfffe
	v_add_nc_u32_e32 v0, s4, v0
	s_wait_loadcnt 0x1b
	v_mul_f32_e32 v88, v22, v21
	s_delay_alu instid0(VALU_DEP_2) | instskip(SKIP_2) | instid1(VALU_DEP_1)
	v_lshlrev_b64_e32 v[6:7], 2, v[0:1]
	s_wait_loadcnt 0x1a
	v_dual_mul_f32 v27, v22, v27 :: v_dual_add_nc_u32 v0, s5, v0
	v_mad_co_u64_u32 v[59:60], null, 0xffffffa6, s3, v[0:1]
	v_mov_b32_e32 v60, v1
	v_lshlrev_b64_e32 v[17:18], 2, v[0:1]
	s_delay_alu instid0(VALU_DEP_2) | instskip(SKIP_4) | instid1(VALU_DEP_4)
	v_mad_co_u64_u32 v[61:62], null, 0x5b, s3, v[59:60]
	v_add_co_u32 v62, vcc_lo, s6, v53
	s_wait_alu 0xfffd
	v_add_co_ci_u32_e64 v63, null, s7, v54, vcc_lo
	v_add_co_u32 v4, vcc_lo, s6, v19
	v_add_nc_u32_e32 v0, s3, v61
	s_wait_alu 0xfffd
	v_add_co_ci_u32_e64 v5, null, s7, v20, vcc_lo
	v_add_co_u32 v8, vcc_lo, s6, v55
	s_delay_alu instid0(VALU_DEP_3)
	v_mad_co_u64_u32 v[64:65], null, 0xffffffa3, s3, v[0:1]
	s_wait_alu 0xfffd
	v_add_co_ci_u32_e64 v9, null, s7, v56, vcc_lo
	v_add_co_u32 v6, vcc_lo, s10, v6
	s_wait_alu 0xfffd
	v_add_co_ci_u32_e64 v7, null, s11, v7, vcc_lo
	s_clause 0x2
	global_load_b32 v75, v[62:63], off
	global_load_b32 v76, v[4:5], off
	;; [unrolled: 1-line block ×4, first 2 shown]
	v_mul_f32_e32 v6, s0, v23
	v_lshlrev_b64_e32 v[12:13], 2, v[0:1]
	v_add_nc_u32_e32 v0, s13, v64
	v_add_co_u32 v4, vcc_lo, s6, v17
	s_delay_alu instid0(VALU_DEP_4)
	v_mul_f32_e32 v78, 0x4c9e9632, v6
	s_wait_alu 0xfffd
	v_add_co_ci_u32_e64 v5, null, s7, v18, vcc_lo
	v_lshlrev_b64_e32 v[10:11], 2, v[0:1]
	v_lshlrev_b64_e32 v[59:60], 2, v[59:60]
	v_div_scale_f32 v79, null, v78, v78, 1.0
	v_mov_b32_e32 v65, v1
	global_load_b32 v80, v[4:5], off
	s_wait_loadcnt 0x1b
	v_mul_f32_e32 v36, v28, v36
	v_rcp_f32_e32 v81, v79
	v_add_co_u32 v23, vcc_lo, s10, v59
	s_wait_alu 0xfffd
	v_add_co_ci_u32_e64 v24, null, s11, v60, vcc_lo
	v_lshlrev_b64_e32 v[59:60], 2, v[64:65]
	v_div_scale_f32 v64, null, v82, v82, 1.0
	v_div_scale_f32 v83, vcc_lo, 1.0, v78, 1.0
	s_delay_alu instid0(TRANS32_DEP_1) | instskip(NEXT) | instid1(VALU_DEP_3)
	v_fma_f32 v65, -v79, v81, 1.0
	v_rcp_f32_e32 v84, v64
	s_delay_alu instid0(VALU_DEP_4)
	v_add_co_u32 v25, s0, s10, v59
	s_wait_alu 0xf1ff
	v_add_co_ci_u32_e64 v26, null, s11, v60, s0
	v_fmac_f32_e32 v81, v65, v81
	v_div_scale_f32 v65, null, v85, v85, 1.0
	s_wait_loadcnt 0x13
	v_mul_f32_e32 v66, v43, v66
	v_add_nc_u32_e32 v0, s3, v0
	v_mul_f32_e32 v86, v83, v81
	s_delay_alu instid0(VALU_DEP_2) | instskip(SKIP_1) | instid1(VALU_DEP_3)
	v_lshlrev_b64_e32 v[8:9], 2, v[0:1]
	v_add_nc_u32_e32 v0, s3, v0
	v_fma_f32 v87, -v79, v86, v83
	s_delay_alu instid0(VALU_DEP_2) | instskip(SKIP_1) | instid1(VALU_DEP_3)
	v_lshlrev_b64_e32 v[6:7], 2, v[0:1]
	v_add_nc_u32_e32 v0, s3, v0
	v_fmac_f32_e32 v86, v87, v81
	v_div_scale_f32 v87, null, v88, v88, 1.0
	s_delay_alu instid0(VALU_DEP_3) | instskip(SKIP_1) | instid1(VALU_DEP_4)
	v_lshlrev_b64_e32 v[4:5], 2, v[0:1]
	v_add_nc_u32_e32 v0, s4, v0
	v_fma_f32 v79, -v79, v86, v83
	v_div_scale_f32 v83, s1, 1.0, v85, 1.0
	s_delay_alu instid0(VALU_DEP_3) | instskip(SKIP_1) | instid1(VALU_DEP_3)
	v_lshlrev_b64_e32 v[62:63], 2, v[0:1]
	s_wait_alu 0xfffd
	v_div_fmas_f32 v79, v79, v81, v86
	v_rcp_f32_e32 v86, v87
	s_mov_b32 vcc_lo, s1
	s_delay_alu instid0(VALU_DEP_2)
	v_add_co_u32 v59, s0, s10, v62
	s_wait_alu 0xf1ff
	v_add_co_ci_u32_e64 v60, null, s11, v63, s0
	v_rcp_f32_e32 v63, v65
	v_fma_f32 v62, -v64, v84, 1.0
	v_div_scale_f32 v89, s0, 1.0, v82, 1.0
	s_delay_alu instid0(VALU_DEP_2) | instskip(NEXT) | instid1(TRANS32_DEP_1)
	v_fmac_f32_e32 v84, v62, v84
	v_fma_f32 v62, -v65, v63, 1.0
	s_delay_alu instid0(VALU_DEP_1) | instskip(NEXT) | instid1(VALU_DEP_1)
	v_dual_mul_f32 v90, v89, v84 :: v_dual_fmac_f32 v63, v62, v63
	v_fma_f32 v62, -v64, v90, v89
	s_delay_alu instid0(VALU_DEP_1) | instskip(SKIP_1) | instid1(VALU_DEP_2)
	v_dual_mul_f32 v81, v83, v63 :: v_dual_fmac_f32 v90, v62, v84
	v_mov_b32_e32 v62, v1
	v_fma_f32 v91, -v65, v81, v83
	s_delay_alu instid0(VALU_DEP_3) | instskip(NEXT) | instid1(VALU_DEP_3)
	v_fma_f32 v89, -v64, v90, v89
	v_lshlrev_b64_e32 v[61:62], 2, v[61:62]
	s_delay_alu instid0(VALU_DEP_3) | instskip(SKIP_1) | instid1(VALU_DEP_2)
	v_fmac_f32_e32 v81, v91, v63
	v_fma_f32 v91, -v87, v86, 1.0
	v_fma_f32 v65, -v65, v81, v83
	s_delay_alu instid0(VALU_DEP_2) | instskip(SKIP_4) | instid1(VALU_DEP_3)
	v_fmac_f32_e32 v86, v91, v86
	v_div_scale_f32 v91, null, v27, v27, 1.0
	v_div_scale_f32 v83, s2, 1.0, v88, 1.0
	s_wait_alu 0xfffe
	v_div_fmas_f32 v65, v65, v63, v81
	v_rcp_f32_e32 v92, v91
	v_add_co_u32 v63, vcc_lo, s6, v61
	s_wait_alu 0xfffd
	v_add_co_ci_u32_e64 v64, null, s7, v62, vcc_lo
	s_mov_b32 vcc_lo, s0
	s_wait_alu 0xfffe
	v_div_fmas_f32 v81, v89, v84, v90
	v_mul_f32_e32 v84, v83, v86
	global_load_b32 v90, v[63:64], off
	v_fma_f32 v89, -v91, v92, 1.0
	v_div_scale_f32 v64, s0, 1.0, v27, 1.0
	v_fma_f32 v63, -v87, v84, v83
	s_mov_b32 vcc_lo, s2
	s_delay_alu instid0(VALU_DEP_3) | instskip(SKIP_2) | instid1(VALU_DEP_2)
	v_fmac_f32_e32 v92, v89, v92
	s_wait_loadcnt 0x6
	v_dual_mul_f32 v40, v40, v39 :: v_dual_mul_f32 v43, v43, v44
	v_dual_fmac_f32 v84, v63, v86 :: v_dual_mul_f32 v89, v64, v92
	s_delay_alu instid0(VALU_DEP_1) | instskip(SKIP_1) | instid1(VALU_DEP_3)
	v_fma_f32 v63, -v87, v84, v83
	v_mul_f32_e32 v87, v22, v22
	v_fma_f32 v83, -v91, v89, v64
	s_delay_alu instid0(VALU_DEP_2) | instskip(NEXT) | instid1(VALU_DEP_2)
	v_div_scale_f32 v22, null, v87, v87, 1.0
	v_fmac_f32_e32 v89, v83, v92
	s_wait_alu 0xfffe
	v_div_fmas_f32 v83, v63, v86, v84
	v_add_co_u32 v63, vcc_lo, s6, v12
	v_rcp_f32_e32 v84, v22
	v_fma_f32 v86, -v91, v89, v64
	s_wait_alu 0xfffd
	v_add_co_ci_u32_e64 v64, null, s7, v13, vcc_lo
	s_mov_b32 vcc_lo, s0
	s_wait_alu 0xfffe
	v_div_fmas_f32 v86, v86, v92, v89
	global_load_b32 v91, v[63:64], off
	v_add_co_u32 v63, vcc_lo, s6, v10
	v_fma_f32 v93, -v22, v84, 1.0
	s_wait_alu 0xfffd
	v_add_co_ci_u32_e64 v64, null, s7, v11, vcc_lo
	v_div_scale_f32 v89, s0, 1.0, v87, 1.0
	s_delay_alu instid0(VALU_DEP_3)
	v_fmac_f32_e32 v84, v93, v84
	global_load_b32 v63, v[63:64], off
	global_load_b32 v92, v[59:60], off
	v_div_scale_f32 v93, null, v36, v36, 1.0
	v_mul_f32_e32 v64, v89, v84
	v_div_fixup_f32 v60, v81, v82, 1.0
	v_div_fixup_f32 v81, v83, v88, 1.0
	s_delay_alu instid0(VALU_DEP_4) | instskip(SKIP_2) | instid1(VALU_DEP_1)
	v_rcp_f32_e32 v94, v93
	v_div_fixup_f32 v27, v86, v27, 1.0
	v_fma_f32 v59, -v22, v64, v89
	v_fmac_f32_e32 v64, v59, v84
	s_delay_alu instid0(TRANS32_DEP_1) | instskip(NEXT) | instid1(VALU_DEP_2)
	v_fma_f32 v59, -v93, v94, 1.0
	v_fma_f32 v89, -v22, v64, v89
	v_div_fixup_f32 v22, v79, v78, 1.0
	global_load_b32 v78, v[23:24], off
	v_fmac_f32_e32 v94, v59, v94
	v_div_fixup_f32 v59, v65, v85, 1.0
	global_load_b32 v65, v[25:26], off
	v_mul_f32_e32 v79, v28, v34
	v_mul_f32_e32 v85, v28, v74
	;; [unrolled: 1-line block ×4, first 2 shown]
	s_delay_alu instid0(VALU_DEP_4) | instskip(NEXT) | instid1(VALU_DEP_4)
	v_mul_f32_e32 v79, v79, v60
	v_mul_f32_e32 v85, v74, v85
	s_delay_alu instid0(VALU_DEP_3) | instskip(SKIP_4) | instid1(VALU_DEP_4)
	v_dual_min_num_f32 v59, 0x7cf0bdc2, v59 :: v_dual_mul_f32 v66, v66, v81
	v_mul_f32_e32 v81, v34, v21
	v_mul_f32_e32 v21, v21, v74
	v_div_scale_f32 v82, vcc_lo, 1.0, v36, 1.0
	v_min_num_f32_e32 v79, 0x7cf0bdc2, v79
	v_mul_f32_e32 v27, v81, v27
	s_delay_alu instid0(VALU_DEP_4) | instskip(NEXT) | instid1(VALU_DEP_4)
	v_mul_f32_e32 v21, v74, v21
	v_mul_f32_e32 v83, v82, v94
	;; [unrolled: 1-line block ×6, first 2 shown]
	v_min_num_f32_e32 v66, 0x7cf0bdc2, v66
	v_mul_f32_e32 v72, v72, v74
	v_fma_f32 v60, -v93, v83, v82
	v_mul_f32_e32 v68, v68, v59
	v_add_co_u32 v59, s1, s6, v8
	v_mul_f32_e32 v66, v67, v66
	v_div_scale_f32 v67, null, v72, v72, 1.0
	v_fmac_f32_e32 v83, v60, v94
	s_wait_alu 0xf1ff
	v_add_co_ci_u32_e64 v60, null, s7, v9, s1
	s_delay_alu instid0(VALU_DEP_3)
	v_rcp_f32_e32 v86, v67
	global_store_b32 v[45:46], v68, off
	v_fma_f32 v82, -v93, v83, v82
	global_load_b32 v59, v[59:60], off
	v_div_scale_f32 v68, s1, 1.0, v72, 1.0
	global_store_b32 v[2:3], v41, off
	s_wait_alu 0xfffd
	v_div_fmas_f32 v60, v82, v94, v83
	s_mov_b32 vcc_lo, s0
	v_min_num_f32_e32 v27, 0x7cf0bdc2, v27
	s_wait_alu 0xfffe
	v_div_fmas_f32 v64, v89, v84, v64
	v_fma_f32 v82, -v67, v86, 1.0
	v_div_fixup_f32 v2, v60, v36, 1.0
	global_store_b32 v[15:16], v66, off
	v_mul_f32_e32 v29, v29, v44
	v_div_fixup_f32 v3, v64, v87, 1.0
	v_fmac_f32_e32 v86, v82, v86
	v_mul_f32_e32 v2, v81, v2
	v_mul_f32_e32 v16, v69, v27
	s_delay_alu instid0(VALU_DEP_4) | instskip(SKIP_3) | instid1(VALU_DEP_4)
	v_dual_mul_f32 v15, v3, v79 :: v_dual_add_nc_u32 v0, s5, v0
	v_mul_f32_e32 v3, v3, v34
	v_mul_f32_e32 v34, v68, v86
	v_min_num_f32_e32 v2, 0x7cf0bdc2, v2
	v_lshlrev_b64_e32 v[45:46], 2, v[0:1]
	v_min_num_f32_e32 v15, 0x7cf0bdc2, v15
	v_min_num_f32_e32 v3, 0x7cf0bdc2, v3
	v_fma_f32 v27, -v67, v34, v68
	v_add_nc_u32_e32 v0, s3, v0
	s_delay_alu instid0(VALU_DEP_4) | instskip(NEXT) | instid1(VALU_DEP_3)
	v_dual_mul_f32 v2, v70, v2 :: v_dual_mul_f32 v15, v71, v15
	v_dual_mul_f32 v3, v73, v3 :: v_dual_fmac_f32 v34, v27, v86
	s_clause 0x3
	global_store_b32 v[47:48], v16, off
	global_store_b32 v[49:50], v2, off
	;; [unrolled: 1-line block ×4, first 2 shown]
	v_add_co_u32 v2, vcc_lo, s6, v6
	v_mad_co_u64_u32 v[15:16], null, 0xffffff99, s3, v[0:1]
	v_fma_f32 v27, -v67, v34, v68
	s_wait_alu 0xfffd
	v_add_co_ci_u32_e64 v3, null, s7, v7, vcc_lo
	s_mov_b32 vcc_lo, s1
	v_mov_b32_e32 v16, v1
	global_load_b32 v66, v[23:24], off
	s_wait_alu 0xfffe
	v_div_fmas_f32 v23, v27, v86, v34
	global_load_b32 v64, v[2:3], off
	v_mul_f32_e32 v27, v28, v44
	v_mad_co_u64_u32 v[2:3], null, 0x68, s3, v[15:16]
	v_div_fixup_f32 v3, v23, v72, 1.0
	v_lshlrev_b64_e32 v[23:24], 2, v[0:1]
	v_add_co_u32 v47, vcc_lo, s6, v4
	s_wait_alu 0xfffd
	v_add_co_ci_u32_e64 v48, null, s7, v5, vcc_lo
	v_dual_mul_f32 v3, v27, v3 :: v_dual_add_nc_u32 v0, s4, v2
	v_lshlrev_b64_e32 v[15:16], 2, v[15:16]
	global_load_b32 v68, v[47:48], off
	v_min_num_f32_e32 v3, 0x7cf0bdc2, v3
	v_mul_f32_e32 v22, 0x49776020, v22
	v_lshlrev_b64_e32 v[49:50], 2, v[0:1]
	v_add_nc_u32_e32 v0, s5, v0
	v_add_co_u32 v15, s1, s10, v15
	s_wait_alu 0xf1ff
	v_add_co_ci_u32_e64 v16, null, s11, v16, s1
	s_delay_alu instid0(VALU_DEP_4)
	v_add_co_u32 v47, vcc_lo, s10, v49
	s_wait_alu 0xfffd
	v_add_co_ci_u32_e64 v48, null, s11, v50, vcc_lo
	v_lshlrev_b64_e32 v[49:50], 2, v[0:1]
	v_add_nc_u32_e32 v0, s3, v0
	v_add_co_u32 v51, vcc_lo, s6, v45
	s_wait_alu 0xfffd
	v_add_co_ci_u32_e64 v52, null, s7, v46, vcc_lo
	global_load_b32 v69, v[47:48], off
	v_lshlrev_b64_e32 v[47:48], 2, v[0:1]
	v_add_nc_u32_e32 v0, s3, v0
	global_load_b32 v71, v[51:52], off
	v_lshlrev_b64_e32 v[51:52], 2, v[0:1]
	v_add_nc_u32_e32 v0, s3, v0
	s_delay_alu instid0(VALU_DEP_1)
	v_mad_co_u64_u32 v[57:58], null, 0xffffff93, s3, v[0:1]
	s_wait_loadcnt 0x10
	v_dual_mov_b32 v58, v1 :: v_dual_mul_f32 v75, v75, v3
	v_mul_f32_e32 v36, v22, v85
	v_mul_f32_e32 v21, v22, v21
	s_wait_loadcnt 0xd
	v_mul_f32_e32 v81, v74, v38
	s_delay_alu instid0(VALU_DEP_3) | instskip(NEXT) | instid1(VALU_DEP_3)
	v_div_scale_f32 v41, null, v36, v36, 1.0
	v_div_scale_f32 v67, null, v21, v21, 1.0
	v_div_scale_f32 v70, vcc_lo, 1.0, v36, 1.0
	s_delay_alu instid0(VALU_DEP_3) | instskip(SKIP_2) | instid1(TRANS32_DEP_1)
	v_rcp_f32_e32 v60, v41
	v_div_scale_f32 v79, s0, 1.0, v21, 1.0
	v_div_scale_f32 v84, null, v81, v81, 1.0
	v_fma_f32 v34, -v41, v60, 1.0
	s_delay_alu instid0(VALU_DEP_1) | instskip(SKIP_1) | instid1(VALU_DEP_1)
	v_fmac_f32_e32 v60, v34, v60
	v_rcp_f32_e32 v34, v67
	v_mul_f32_e32 v72, v70, v60
	s_delay_alu instid0(VALU_DEP_1) | instskip(NEXT) | instid1(TRANS32_DEP_1)
	v_fma_f32 v3, -v41, v72, v70
	v_fma_f32 v73, -v67, v34, 1.0
	s_delay_alu instid0(VALU_DEP_2) | instskip(NEXT) | instid1(VALU_DEP_2)
	v_fmac_f32_e32 v72, v3, v60
	v_fmac_f32_e32 v34, v73, v34
	global_load_b32 v73, v[25:26], off
	v_lshlrev_b64_e32 v[25:26], 2, v[57:58]
	v_dual_mov_b32 v3, v1 :: v_dual_mul_f32 v58, v79, v34
	s_delay_alu instid0(VALU_DEP_2) | instskip(SKIP_1) | instid1(VALU_DEP_3)
	v_add_co_u32 v25, s1, s10, v25
	s_wait_alu 0xf1ff
	v_add_co_ci_u32_e64 v26, null, s11, v26, s1
	s_clause 0x1
	global_load_b32 v82, v[15:16], off
	global_load_b32 v83, v[25:26], off
	v_add_co_u32 v15, s1, s6, v23
	s_wait_alu 0xf1ff
	v_add_co_ci_u32_e64 v16, null, s7, v24, s1
	v_fma_f32 v25, -v41, v72, v70
	v_lshlrev_b64_e32 v[2:3], 2, v[2:3]
	v_rcp_f32_e32 v70, v84
	global_load_b32 v41, v[15:16], off
	v_fma_f32 v15, -v67, v58, v79
	s_wait_alu 0xfffd
	v_div_fmas_f32 v25, v25, v60, v72
	v_mul_f32_e32 v26, v32, v44
	v_mul_f32_e32 v28, v28, v38
	v_fmac_f32_e32 v58, v15, v34
	v_add_co_u32 v15, vcc_lo, s6, v2
	s_wait_alu 0xfffd
	v_add_co_ci_u32_e64 v16, null, s7, v3, vcc_lo
	v_div_fixup_f32 v25, v25, v36, 1.0
	v_fma_f32 v36, -v67, v58, v79
	s_mov_b32 vcc_lo, s0
	global_load_b32 v67, v[15:16], off
	v_add_co_u32 v15, s0, s8, v53
	s_wait_alu 0xf1ff
	v_add_co_ci_u32_e64 v16, null, s9, v54, s0
	v_mul_f32_e32 v53, v26, v25
	v_add_co_u32 v25, s0, s6, v49
	s_wait_alu 0xf1ff
	v_add_co_ci_u32_e64 v26, null, s7, v50, s0
	global_store_b32 v[15:16], v75, off
	v_add_co_u32 v15, s0, s6, v47
	v_fma_f32 v60, -v84, v70, 1.0
	s_wait_alu 0xfffe
	v_div_fmas_f32 v34, v36, v34, v58
	v_min_num_f32_e32 v58, 0x7cf0bdc2, v53
	s_wait_alu 0xf1ff
	v_add_co_ci_u32_e64 v16, null, s7, v48, s0
	v_fmac_f32_e32 v70, v60, v70
	global_load_b32 v60, v[25:26], off
	v_add_co_u32 v53, s0, s6, v51
	global_load_b32 v75, v[15:16], off
	v_mad_co_u64_u32 v[25:26], null, 0x6e, s3, v[57:58]
	v_lshlrev_b64_e32 v[15:16], 2, v[0:1]
	v_mov_b32_e32 v26, v1
	s_wait_alu 0xf1ff
	v_add_co_ci_u32_e64 v54, null, s7, v52, s0
	v_mul_f32_e32 v58, v76, v58
	v_div_scale_f32 v36, vcc_lo, 1.0, v81, 1.0
	v_add_co_u32 v0, s0, s6, v15
	v_lshlrev_b64_e32 v[25:26], 2, v[25:26]
	s_wait_alu 0xf1ff
	v_add_co_ci_u32_e64 v1, null, s7, v16, s0
	global_load_b32 v53, v[53:54], off
	v_div_fixup_f32 v21, v34, v21, 1.0
	s_delay_alu instid0(VALU_DEP_1) | instskip(NEXT) | instid1(VALU_DEP_1)
	v_dual_mul_f32 v34, v36, v70 :: v_dual_mul_f32 v21, v43, v21
	v_fma_f32 v43, -v84, v34, v36
	s_delay_alu instid0(VALU_DEP_1) | instskip(NEXT) | instid1(VALU_DEP_1)
	v_dual_min_num_f32 v21, 0x7cf0bdc2, v21 :: v_dual_fmac_f32 v34, v43, v70
	v_mul_f32_e32 v21, v77, v21
	s_delay_alu instid0(VALU_DEP_2)
	v_fma_f32 v36, -v84, v34, v36
	s_wait_loadcnt 0xf
	v_mul_f32_e32 v72, v74, v78
	v_mul_f32_e32 v74, v74, v74
	s_wait_loadcnt 0xe
	v_div_scale_f32 v77, null, v65, v65, 1.0
	s_delay_alu instid0(VALU_DEP_3) | instskip(NEXT) | instid1(VALU_DEP_3)
	v_div_scale_f32 v43, null, v72, v72, 1.0
	v_mul_f32_e32 v57, v74, v38
	global_load_b32 v74, v[0:1], off
	v_add_co_u32 v0, s0, s6, v25
	s_wait_alu 0xf1ff
	v_add_co_ci_u32_e64 v1, null, s7, v26, s0
	v_rcp_f32_e32 v54, v43
	v_mul_f32_e32 v57, v22, v57
	global_load_b32 v76, v[0:1], off
	s_wait_alu 0xfffd
	v_div_fmas_f32 v0, v36, v70, v34
	v_div_scale_f32 v70, vcc_lo, 1.0, v72, 1.0
	v_div_scale_f32 v34, null, v57, v57, 1.0
	s_delay_alu instid0(VALU_DEP_3) | instskip(SKIP_2) | instid1(VALU_DEP_4)
	v_div_fixup_f32 v36, v0, v81, 1.0
	v_fma_f32 v1, -v43, v54, 1.0
	v_add_co_u32 v0, s0, s8, v19
	v_rcp_f32_e32 v79, v34
	s_delay_alu instid0(VALU_DEP_3) | instskip(NEXT) | instid1(VALU_DEP_3)
	v_mul_f32_e32 v29, v29, v36
	v_fmac_f32_e32 v54, v1, v54
	s_wait_alu 0xf1ff
	v_add_co_ci_u32_e64 v1, null, s9, v20, s0
	v_add_co_u32 v19, s0, s8, v55
	s_delay_alu instid0(VALU_DEP_3) | instskip(SKIP_2) | instid1(TRANS32_DEP_1)
	v_mul_f32_e32 v36, v70, v54
	s_wait_alu 0xf1ff
	v_add_co_ci_u32_e64 v20, null, s9, v56, s0
	v_fma_f32 v56, -v34, v79, 1.0
	s_clause 0x1
	global_store_b32 v[0:1], v58, off
	global_store_b32 v[19:20], v21, off
	v_fma_f32 v55, -v43, v36, v70
	v_min_num_f32_e32 v29, 0x7cf0bdc2, v29
	v_fmac_f32_e32 v79, v56, v79
	v_rcp_f32_e32 v56, v77
	s_delay_alu instid0(VALU_DEP_3) | instskip(SKIP_3) | instid1(VALU_DEP_4)
	v_fmac_f32_e32 v36, v55, v54
	v_div_scale_f32 v55, s0, 1.0, v57, 1.0
	v_mul_f32_e32 v19, v80, v29
	v_mul_f32_e32 v29, v42, v44
	v_fma_f32 v0, -v43, v36, v70
	s_delay_alu instid0(VALU_DEP_4) | instskip(NEXT) | instid1(TRANS32_DEP_1)
	v_mul_f32_e32 v1, v55, v79
	v_fma_f32 v21, -v77, v56, 1.0
	s_wait_alu 0xfffd
	s_delay_alu instid0(VALU_DEP_3) | instskip(NEXT) | instid1(VALU_DEP_3)
	v_div_fmas_f32 v0, v0, v54, v36
	v_fma_f32 v20, -v34, v1, v55
	s_mov_b32 vcc_lo, s0
	v_fmac_f32_e32 v56, v21, v56
	v_div_scale_f32 v21, s1, 1.0, v65, 1.0
	v_div_fixup_f32 v0, v0, v72, 1.0
	v_dual_fmac_f32 v1, v20, v79 :: v_dual_mul_f32 v20, v22, v28
	s_delay_alu instid0(VALU_DEP_2) | instskip(NEXT) | instid1(VALU_DEP_2)
	v_mul_f32_e32 v28, v29, v0
	v_fma_f32 v0, -v34, v1, v55
	s_delay_alu instid0(VALU_DEP_3) | instskip(SKIP_2) | instid1(VALU_DEP_3)
	v_div_scale_f32 v29, null, v20, v20, 1.0
	v_mul_f32_e32 v34, v21, v56
	s_wait_alu 0xfffe
	v_div_fmas_f32 v36, v0, v79, v1
	s_delay_alu instid0(VALU_DEP_3)
	v_rcp_f32_e32 v42, v29
	v_add_co_u32 v0, vcc_lo, s8, v17
	v_fma_f32 v43, -v77, v34, v21
	s_wait_alu 0xfffd
	v_add_co_ci_u32_e64 v1, null, s9, v18, vcc_lo
	v_min_num_f32_e32 v17, 0x7cf0bdc2, v28
	v_mul_f32_e32 v18, v44, v44
	v_fmac_f32_e32 v34, v43, v56
	v_div_fixup_f32 v28, v36, v57, 1.0
	s_delay_alu instid0(TRANS32_DEP_1)
	v_fma_f32 v36, -v29, v42, 1.0
	global_store_b32 v[0:1], v19, off
	s_mov_b32 vcc_lo, s1
	v_fma_f32 v1, -v77, v34, v21
	v_mul_f32_e32 v0, v18, v28
	v_fmac_f32_e32 v42, v36, v42
	v_div_scale_f32 v18, s0, 1.0, v20, 1.0
	s_wait_alu 0xfffe
	v_div_fmas_f32 v21, v1, v56, v34
	v_div_scale_f32 v34, null, v27, v27, 1.0
	s_delay_alu instid0(VALU_DEP_3) | instskip(SKIP_1) | instid1(VALU_DEP_3)
	v_dual_mul_f32 v28, v18, v42 :: v_dual_min_num_f32 v19, 0x7cf0bdc2, v0
	v_div_scale_f32 v44, null, v40, v40, 1.0
	v_rcp_f32_e32 v36, v34
	s_delay_alu instid0(VALU_DEP_2) | instskip(SKIP_3) | instid1(VALU_DEP_3)
	v_fma_f32 v43, -v29, v28, v18
	v_add_co_u32 v0, vcc_lo, s8, v61
	s_wait_alu 0xfffd
	v_add_co_ci_u32_e64 v1, null, s9, v62, vcc_lo
	v_fmac_f32_e32 v28, v43, v42
	v_add_co_u32 v12, vcc_lo, s8, v12
	v_mul_f32_e32 v17, v90, v17
	s_delay_alu instid0(TRANS32_DEP_1)
	v_fma_f32 v43, -v34, v36, 1.0
	v_mul_f32_e32 v19, v19, v91
	v_div_fixup_f32 v21, v21, v65, 1.0
	s_wait_alu 0xfffd
	v_add_co_ci_u32_e64 v13, null, s9, v13, vcc_lo
	v_fma_f32 v18, -v29, v28, v18
	v_fmac_f32_e32 v36, v43, v36
	v_div_scale_f32 v29, s1, 1.0, v27, 1.0
	v_rcp_f32_e32 v43, v44
	s_mov_b32 vcc_lo, s0
	v_mul_f32_e32 v21, v38, v21
	s_wait_alu 0xfffe
	v_div_fmas_f32 v18, v18, v42, v28
	global_store_b32 v[0:1], v17, off
	v_mul_f32_e32 v17, v29, v36
	global_store_b32 v[12:13], v19, off
	v_mul_f32_e32 v13, v33, v92
	v_min_num_f32_e32 v21, 0x7cf0bdc2, v21
	v_div_fixup_f32 v0, v18, v20, 1.0
	v_fma_f32 v1, -v34, v17, v29
	v_fma_f32 v18, -v44, v43, 1.0
	v_div_scale_f32 v20, null, v13, v13, 1.0
	s_delay_alu instid0(VALU_DEP_3) | instskip(NEXT) | instid1(VALU_DEP_3)
	v_dual_mul_f32 v12, v63, v21 :: v_dual_fmac_f32 v17, v1, v36
	v_fmac_f32_e32 v43, v18, v43
	v_div_scale_f32 v18, s0, 1.0, v40, 1.0
	s_delay_alu instid0(VALU_DEP_4)
	v_rcp_f32_e32 v21, v20
	v_mul_f32_e32 v19, v78, v0
	v_add_co_u32 v0, vcc_lo, s8, v10
	s_wait_alu 0xfffd
	v_add_co_ci_u32_e64 v1, null, s9, v11, vcc_lo
	v_fma_f32 v10, -v34, v17, v29
	v_mul_f32_e32 v11, v18, v43
	s_mov_b32 vcc_lo, s1
	v_min_num_f32_e32 v19, 0x7cf0bdc2, v19
	s_delay_alu instid0(TRANS32_DEP_1)
	v_fma_f32 v28, -v20, v21, 1.0
	s_wait_alu 0xfffe
	v_div_fmas_f32 v10, v10, v36, v17
	v_fma_f32 v17, -v44, v11, v18
	v_mul_f32_e32 v29, v32, v38
	v_add_co_u32 v8, vcc_lo, s8, v8
	s_delay_alu instid0(VALU_DEP_4) | instskip(NEXT) | instid1(VALU_DEP_4)
	v_div_fixup_f32 v10, v10, v27, 1.0
	v_fmac_f32_e32 v11, v17, v43
	v_fmac_f32_e32 v21, v28, v21
	v_div_scale_f32 v17, s1, 1.0, v13, 1.0
	v_mul_f32_e32 v27, v31, v39
	s_delay_alu instid0(VALU_DEP_4)
	v_fma_f32 v18, -v44, v11, v18
	s_wait_alu 0xfffd
	v_add_co_ci_u32_e64 v9, null, s9, v9, vcc_lo
	v_mul_f32_e32 v28, v17, v21
	v_div_scale_f32 v32, null, v27, v27, 1.0
	s_mov_b32 vcc_lo, s0
	s_wait_loadcnt 0xf
	v_mul_f32_e32 v19, v19, v59
	s_wait_alu 0xfffe
	v_div_fmas_f32 v11, v18, v43, v11
	v_fma_f32 v18, -v20, v28, v17
	v_rcp_f32_e32 v33, v32
	s_clause 0x1
	global_store_b32 v[0:1], v12, off
	global_store_b32 v[8:9], v19, off
	v_div_fixup_f32 v11, v11, v40, 1.0
	v_mul_f32_e32 v10, v10, v29
	s_wait_loadcnt 0xe
	v_dual_fmac_f32 v28, v18, v21 :: v_dual_mul_f32 v9, v39, v66
	s_mov_b32 vcc_lo, s1
	s_delay_alu instid0(VALU_DEP_2) | instskip(NEXT) | instid1(VALU_DEP_2)
	v_min_num_f32_e32 v10, 0x7cf0bdc2, v10
	v_fma_f32 v0, -v20, v28, v17
	v_fma_f32 v1, -v32, v33, 1.0
	v_div_scale_f32 v12, null, v9, v9, 1.0
	s_wait_loadcnt 0xd
	v_mul_f32_e32 v8, v10, v64
	v_mul_f32_e32 v10, v29, v11
	s_wait_alu 0xfffe
	v_div_fmas_f32 v17, v0, v21, v28
	v_fmac_f32_e32 v33, v1, v33
	v_rcp_f32_e32 v18, v12
	v_div_scale_f32 v19, vcc_lo, 1.0, v27, 1.0
	v_add_co_u32 v0, s0, s8, v6
	s_wait_alu 0xf1ff
	v_add_co_ci_u32_e64 v1, null, s9, v7, s0
	v_min_num_f32_e32 v6, 0x7cf0bdc2, v10
	v_mul_f32_e32 v7, v30, v38
	v_div_fixup_f32 v10, v17, v13, 1.0
	v_mul_f32_e32 v13, v19, v33
	s_delay_alu instid0(TRANS32_DEP_1)
	v_fma_f32 v17, -v12, v18, 1.0
	global_store_b32 v[0:1], v8, off
	v_add_co_u32 v0, s1, s8, v4
	v_mul_f32_e32 v8, v7, v10
	v_fma_f32 v20, -v32, v13, v19
	s_wait_loadcnt 0xc
	v_mul_f32_e32 v6, v68, v6
	v_fmac_f32_e32 v18, v17, v18
	v_div_scale_f32 v17, s0, 1.0, v9, 1.0
	s_wait_alu 0xf1ff
	v_add_co_ci_u32_e64 v1, null, s9, v5, s1
	v_dual_min_num_f32 v4, 0x7cf0bdc2, v8 :: v_dual_fmac_f32 v13, v20, v33
	s_wait_loadcnt 0xb
	v_div_scale_f32 v8, null, v69, v69, 1.0
	v_mul_f32_e32 v5, v17, v18
	global_store_b32 v[0:1], v6, off
	v_fma_f32 v6, -v32, v13, v19
	v_rcp_f32_e32 v20, v8
	v_add_co_u32 v0, s1, s8, v45
	s_wait_loadcnt 0xa
	v_mul_f32_e32 v4, v71, v4
	v_fma_f32 v19, -v12, v5, v17
	s_wait_alu 0xf1ff
	v_add_co_ci_u32_e64 v1, null, s9, v46, s1
	s_wait_alu 0xfffd
	v_div_fmas_f32 v6, v6, v33, v13
	s_wait_loadcnt 0x9
	v_div_scale_f32 v13, null, v73, v73, 1.0
	v_fmac_f32_e32 v5, v19, v18
	v_fma_f32 v19, -v8, v20, 1.0
	global_store_b32 v[0:1], v4, off
	v_rcp_f32_e32 v4, v13
	v_div_fixup_f32 v0, v6, v27, 1.0
	v_fma_f32 v1, -v12, v5, v17
	v_fmac_f32_e32 v20, v19, v20
	v_div_scale_f32 v6, s1, 1.0, v69, 1.0
	s_mov_b32 vcc_lo, s0
	v_mul_f32_e32 v0, v7, v0
	s_wait_alu 0xfffe
	v_div_fmas_f32 v1, v1, v18, v5
	v_mul_f32_e32 v5, v6, v20
	v_fma_f32 v7, -v13, v4, 1.0
	s_wait_loadcnt 0x7
	v_dual_mul_f32 v17, v37, v83 :: v_dual_min_num_f32 v0, 0x7cf0bdc2, v0
	v_div_fixup_f32 v1, v1, v9, 1.0
	v_fma_f32 v9, -v8, v5, v6
	v_fmac_f32_e32 v4, v7, v4
	v_div_scale_f32 v7, s0, 1.0, v73, 1.0
	v_div_scale_f32 v18, null, v17, v17, 1.0
	s_delay_alu instid0(VALU_DEP_4) | instskip(NEXT) | instid1(VALU_DEP_3)
	v_fmac_f32_e32 v5, v9, v20
	v_dual_mul_f32 v9, v7, v4 :: v_dual_mul_f32 v12, v82, v38
	s_delay_alu instid0(VALU_DEP_3)
	v_rcp_f32_e32 v21, v18
	s_wait_loadcnt 0x6
	v_mul_f32_e32 v19, v41, v0
	v_fma_f32 v6, -v8, v5, v6
	v_fma_f32 v8, -v13, v9, v7
	v_add_co_u32 v0, vcc_lo, s8, v23
	v_mul_f32_e32 v12, v12, v1
	s_wait_alu 0xfffd
	v_add_co_ci_u32_e64 v1, null, s9, v24, vcc_lo
	s_mov_b32 vcc_lo, s1
	v_fmac_f32_e32 v9, v8, v4
	s_wait_alu 0xfffe
	v_div_fmas_f32 v5, v6, v20, v5
	v_fma_f32 v6, -v18, v21, 1.0
	s_mov_b32 vcc_lo, s0
	v_min_num_f32_e32 v12, 0x7cf0bdc2, v12
	v_fma_f32 v7, -v13, v9, v7
	v_mul_f32_e32 v23, v31, v38
	v_fmac_f32_e32 v21, v6, v21
	v_div_scale_f32 v6, s1, 1.0, v17, 1.0
	s_wait_alu 0xfffe
	v_div_fmas_f32 v4, v7, v4, v9
	global_store_b32 v[0:1], v19, off
	s_wait_loadcnt 0x5
	v_dual_mul_f32 v8, v67, v12 :: v_dual_mul_f32 v7, v6, v21
	v_mul_f32_e32 v12, v22, v23
	v_div_fixup_f32 v5, v5, v69, 1.0
	v_add_co_u32 v2, vcc_lo, s8, v2
	s_delay_alu instid0(VALU_DEP_4)
	v_fma_f32 v0, -v18, v7, v6
	s_wait_alu 0xfffd
	v_add_co_ci_u32_e64 v3, null, s9, v3, vcc_lo
	v_div_fixup_f32 v4, v4, v73, 1.0
	v_mul_f32_e32 v5, v12, v5
	v_fmac_f32_e32 v7, v0, v21
	global_store_b32 v[2:3], v8, off
	v_add_co_u32 v0, vcc_lo, s8, v49
	v_mul_f32_e32 v2, v38, v4
	v_fma_f32 v4, -v18, v7, v6
	v_min_num_f32_e32 v5, 0x7cf0bdc2, v5
	v_mul_f32_e32 v3, v35, v73
	s_wait_alu 0xfffd
	v_add_co_ci_u32_e64 v1, null, s9, v50, vcc_lo
	s_mov_b32 vcc_lo, s1
	s_wait_loadcnt 0x4
	v_mul_f32_e32 v12, v60, v5
	s_wait_alu 0xfffe
	v_div_fmas_f32 v4, v4, v21, v7
	v_mul_f32_e32 v3, v3, v11
	v_mul_f32_e32 v5, v30, v73
	v_dual_mul_f32 v7, v14, v73 :: v_dual_min_num_f32 v2, 0x7cf0bdc2, v2
	s_delay_alu instid0(VALU_DEP_4) | instskip(NEXT) | instid1(VALU_DEP_3)
	v_div_fixup_f32 v4, v4, v17, 1.0
	v_dual_min_num_f32 v6, 0x7cf0bdc2, v3 :: v_dual_mul_f32 v5, v5, v10
	s_wait_loadcnt 0x3
	s_delay_alu instid0(VALU_DEP_3) | instskip(SKIP_1) | instid1(VALU_DEP_2)
	v_mul_f32_e32 v11, v75, v2
	s_wait_loadcnt 0x2
	v_dual_mul_f32 v7, v7, v4 :: v_dual_mul_f32 v10, v53, v6
	v_min_num_f32_e32 v6, 0x7cf0bdc2, v5
	v_add_co_u32 v2, vcc_lo, s8, v47
	s_delay_alu instid0(VALU_DEP_3)
	v_min_num_f32_e32 v8, 0x7cf0bdc2, v7
	s_wait_alu 0xfffd
	v_add_co_ci_u32_e64 v3, null, s9, v48, vcc_lo
	v_add_co_u32 v4, vcc_lo, s8, v51
	s_wait_alu 0xfffd
	v_add_co_ci_u32_e64 v5, null, s9, v52, vcc_lo
	s_wait_loadcnt 0x1
	v_mul_f32_e32 v13, v74, v6
	v_add_co_u32 v6, vcc_lo, s8, v15
	s_wait_alu 0xfffd
	v_add_co_ci_u32_e64 v7, null, s9, v16, vcc_lo
	s_wait_loadcnt 0x0
	v_mul_f32_e32 v14, v76, v8
	v_add_co_u32 v8, vcc_lo, s8, v25
	s_wait_alu 0xfffd
	v_add_co_ci_u32_e64 v9, null, s9, v26, vcc_lo
	s_clause 0x4
	global_store_b32 v[0:1], v12, off
	global_store_b32 v[2:3], v11, off
	;; [unrolled: 1-line block ×5, first 2 shown]
	s_endpgm
	.section	.rodata,"a",@progbits
	.p2align	6, 0x0
	.amdhsa_kernel _Z12ratt6_kernelIfEvPKT_S2_PS0_S2_S0_
		.amdhsa_group_segment_fixed_size 0
		.amdhsa_private_segment_fixed_size 0
		.amdhsa_kernarg_size 296
		.amdhsa_user_sgpr_count 2
		.amdhsa_user_sgpr_dispatch_ptr 0
		.amdhsa_user_sgpr_queue_ptr 0
		.amdhsa_user_sgpr_kernarg_segment_ptr 1
		.amdhsa_user_sgpr_dispatch_id 0
		.amdhsa_user_sgpr_private_segment_size 0
		.amdhsa_wavefront_size32 1
		.amdhsa_uses_dynamic_stack 0
		.amdhsa_enable_private_segment 0
		.amdhsa_system_sgpr_workgroup_id_x 1
		.amdhsa_system_sgpr_workgroup_id_y 0
		.amdhsa_system_sgpr_workgroup_id_z 0
		.amdhsa_system_sgpr_workgroup_info 0
		.amdhsa_system_vgpr_workitem_id 0
		.amdhsa_next_free_vgpr 95
		.amdhsa_next_free_sgpr 16
		.amdhsa_reserve_vcc 1
		.amdhsa_float_round_mode_32 0
		.amdhsa_float_round_mode_16_64 0
		.amdhsa_float_denorm_mode_32 3
		.amdhsa_float_denorm_mode_16_64 3
		.amdhsa_fp16_overflow 0
		.amdhsa_workgroup_processor_mode 1
		.amdhsa_memory_ordered 1
		.amdhsa_forward_progress 1
		.amdhsa_inst_pref_size 48
		.amdhsa_round_robin_scheduling 0
		.amdhsa_exception_fp_ieee_invalid_op 0
		.amdhsa_exception_fp_denorm_src 0
		.amdhsa_exception_fp_ieee_div_zero 0
		.amdhsa_exception_fp_ieee_overflow 0
		.amdhsa_exception_fp_ieee_underflow 0
		.amdhsa_exception_fp_ieee_inexact 0
		.amdhsa_exception_int_div_zero 0
	.end_amdhsa_kernel
	.section	.text._Z12ratt6_kernelIfEvPKT_S2_PS0_S2_S0_,"axG",@progbits,_Z12ratt6_kernelIfEvPKT_S2_PS0_S2_S0_,comdat
.Lfunc_end7:
	.size	_Z12ratt6_kernelIfEvPKT_S2_PS0_S2_S0_, .Lfunc_end7-_Z12ratt6_kernelIfEvPKT_S2_PS0_S2_S0_
                                        ; -- End function
	.set _Z12ratt6_kernelIfEvPKT_S2_PS0_S2_S0_.num_vgpr, 95
	.set _Z12ratt6_kernelIfEvPKT_S2_PS0_S2_S0_.num_agpr, 0
	.set _Z12ratt6_kernelIfEvPKT_S2_PS0_S2_S0_.numbered_sgpr, 16
	.set _Z12ratt6_kernelIfEvPKT_S2_PS0_S2_S0_.num_named_barrier, 0
	.set _Z12ratt6_kernelIfEvPKT_S2_PS0_S2_S0_.private_seg_size, 0
	.set _Z12ratt6_kernelIfEvPKT_S2_PS0_S2_S0_.uses_vcc, 1
	.set _Z12ratt6_kernelIfEvPKT_S2_PS0_S2_S0_.uses_flat_scratch, 0
	.set _Z12ratt6_kernelIfEvPKT_S2_PS0_S2_S0_.has_dyn_sized_stack, 0
	.set _Z12ratt6_kernelIfEvPKT_S2_PS0_S2_S0_.has_recursion, 0
	.set _Z12ratt6_kernelIfEvPKT_S2_PS0_S2_S0_.has_indirect_call, 0
	.section	.AMDGPU.csdata,"",@progbits
; Kernel info:
; codeLenInByte = 6128
; TotalNumSgprs: 18
; NumVgprs: 95
; ScratchSize: 0
; MemoryBound: 0
; FloatMode: 240
; IeeeMode: 1
; LDSByteSize: 0 bytes/workgroup (compile time only)
; SGPRBlocks: 0
; VGPRBlocks: 11
; NumSGPRsForWavesPerEU: 18
; NumVGPRsForWavesPerEU: 95
; Occupancy: 16
; WaveLimiterHint : 0
; COMPUTE_PGM_RSRC2:SCRATCH_EN: 0
; COMPUTE_PGM_RSRC2:USER_SGPR: 2
; COMPUTE_PGM_RSRC2:TRAP_HANDLER: 0
; COMPUTE_PGM_RSRC2:TGID_X_EN: 1
; COMPUTE_PGM_RSRC2:TGID_Y_EN: 0
; COMPUTE_PGM_RSRC2:TGID_Z_EN: 0
; COMPUTE_PGM_RSRC2:TIDIG_COMP_CNT: 0
	.section	.text._Z12ratt7_kernelIfEvPKT_S2_PS0_S2_S0_,"axG",@progbits,_Z12ratt7_kernelIfEvPKT_S2_PS0_S2_S0_,comdat
	.protected	_Z12ratt7_kernelIfEvPKT_S2_PS0_S2_S0_ ; -- Begin function _Z12ratt7_kernelIfEvPKT_S2_PS0_S2_S0_
	.globl	_Z12ratt7_kernelIfEvPKT_S2_PS0_S2_S0_
	.p2align	8
	.type	_Z12ratt7_kernelIfEvPKT_S2_PS0_S2_S0_,@function
_Z12ratt7_kernelIfEvPKT_S2_PS0_S2_S0_:  ; @_Z12ratt7_kernelIfEvPKT_S2_PS0_S2_S0_
; %bb.0:
	s_clause 0x3
	s_load_b32 s2, s[0:1], 0x34
	s_load_b32 s3, s[0:1], 0x28
	s_load_b256 s[4:11], s[0:1], 0x0
	s_load_b32 s0, s[0:1], 0x20
	s_wait_kmcnt 0x0
	s_and_b32 s2, s2, 0xffff
	s_delay_alu instid0(SALU_CYCLE_1)
	v_mad_co_u64_u32 v[0:1], null, ttmp9, s2, v[0:1]
	s_mul_i32 s2, s3, s2
	v_mov_b32_e32 v1, 0
	s_wait_alu 0xfffe
	s_mul_i32 s1, s2, 0x72
	s_mul_i32 s3, s2, 0xffffff89
	;; [unrolled: 1-line block ×4, first 2 shown]
	v_lshlrev_b64_e32 v[2:3], 2, v[0:1]
	v_add_nc_u32_e32 v0, s2, v0
	s_mul_i32 s14, s2, 0x83
	s_delay_alu instid0(VALU_DEP_1) | instskip(NEXT) | instid1(VALU_DEP_3)
	v_mad_co_u64_u32 v[12:13], null, s2, 24, v[0:1]
	v_add_co_u32 v4, vcc_lo, s4, v2
	s_delay_alu instid0(VALU_DEP_1) | instskip(SKIP_2) | instid1(VALU_DEP_4)
	v_add_co_ci_u32_e64 v5, null, s5, v3, vcc_lo
	v_lshlrev_b64_e32 v[10:11], 2, v[0:1]
	s_lshl_b32 s5, s2, 1
	v_add_nc_u32_e32 v0, s2, v12
	global_load_b32 v23, v[4:5], off
	v_mov_b32_e32 v13, v1
	s_mul_i32 s4, s2, 0x73
	v_mad_co_u64_u32 v[14:15], null, 0x63, s2, v[0:1]
	v_mov_b32_e32 v15, v1
	v_lshlrev_b64_e32 v[4:5], 2, v[0:1]
	v_lshlrev_b64_e32 v[18:19], 2, v[12:13]
	s_delay_alu instid0(VALU_DEP_2) | instskip(SKIP_1) | instid1(VALU_DEP_3)
	v_add_co_u32 v6, vcc_lo, s10, v4
	s_wait_alu 0xfffd
	v_add_co_ci_u32_e64 v7, null, s11, v5, vcc_lo
	v_mad_co_u64_u32 v[4:5], null, 0xffffff9b, s2, v[14:15]
	v_mov_b32_e32 v5, v1
	v_add_co_u32 v2, vcc_lo, s10, v2
	s_wait_alu 0xfffd
	v_add_co_ci_u32_e64 v3, null, s11, v3, vcc_lo
	global_load_b32 v20, v[6:7], off
	v_lshlrev_b64_e32 v[8:9], 2, v[4:5]
	v_mad_co_u64_u32 v[4:5], null, 0x66, s2, v[4:5]
	v_mov_b32_e32 v5, v1
	v_lshlrev_b64_e32 v[14:15], 2, v[14:15]
	s_delay_alu instid0(VALU_DEP_4)
	v_add_co_u32 v8, vcc_lo, s10, v8
	s_wait_alu 0xfffd
	v_add_co_ci_u32_e64 v9, null, s11, v9, vcc_lo
	s_clause 0x1
	global_load_b32 v21, v[2:3], off
	global_load_b32 v22, v[8:9], off
	v_mad_co_u64_u32 v[8:9], null, 0xffffff8d, s2, v[4:5]
	v_add_co_u32 v16, vcc_lo, s10, v10
	s_wait_alu 0xfffd
	v_add_co_ci_u32_e64 v17, null, s11, v11, vcc_lo
	v_add_co_u32 v18, vcc_lo, s10, v18
	s_wait_alu 0xfffe
	s_delay_alu instid0(VALU_DEP_4)
	v_add_nc_u32_e32 v0, s5, v8
	s_wait_alu 0xfffd
	v_add_co_ci_u32_e64 v19, null, s11, v19, vcc_lo
	s_clause 0x4
	global_load_b32 v25, v[16:17], off
	global_load_b32 v26, v[18:19], off
	;; [unrolled: 1-line block ×5, first 2 shown]
	v_lshlrev_b64_e32 v[12:13], 2, v[0:1]
	v_add_nc_u32_e32 v0, s1, v0
	v_lshlrev_b64_e32 v[4:5], 2, v[4:5]
	s_delay_alu instid0(VALU_DEP_2) | instskip(SKIP_1) | instid1(VALU_DEP_2)
	v_mad_co_u64_u32 v[10:11], null, 0xffffff83, s2, v[0:1]
	v_lshlrev_b64_e32 v[27:28], 2, v[0:1]
	v_dual_mov_b32 v11, v1 :: v_dual_add_nc_u32 v0, s5, v10
	s_delay_alu instid0(VALU_DEP_1) | instskip(NEXT) | instid1(VALU_DEP_2)
	v_lshlrev_b64_e32 v[10:11], 2, v[10:11]
	v_mad_co_u64_u32 v[29:30], null, 0x7c, s2, v[0:1]
	v_mov_b32_e32 v9, v1
	v_lshlrev_b64_e32 v[31:32], 2, v[0:1]
	v_mov_b32_e32 v30, v1
	s_delay_alu instid0(VALU_DEP_4) | instskip(NEXT) | instid1(VALU_DEP_4)
	v_add_nc_u32_e32 v0, s3, v29
	v_lshlrev_b64_e32 v[6:7], 2, v[8:9]
	v_add_co_u32 v8, vcc_lo, s6, v14
	s_wait_alu 0xfffd
	v_add_co_ci_u32_e64 v9, null, s7, v15, vcc_lo
	v_mad_co_u64_u32 v[34:35], null, s2, 5, v[0:1]
	s_delay_alu instid0(VALU_DEP_4)
	v_add_co_u32 v6, vcc_lo, s10, v6
	s_wait_alu 0xfffd
	v_add_co_ci_u32_e64 v7, null, s11, v7, vcc_lo
	v_add_co_u32 v12, vcc_lo, s10, v12
	s_wait_alu 0xfffd
	v_add_co_ci_u32_e64 v13, null, s11, v13, vcc_lo
	s_clause 0x1
	global_load_b32 v70, v[6:7], off
	global_load_b32 v71, v[12:13], off
	v_add_co_u32 v14, vcc_lo, s8, v14
	s_wait_alu 0xfffd
	v_add_co_ci_u32_e64 v15, null, s9, v15, vcc_lo
	global_load_b32 v72, v[8:9], off
	global_load_b32 v17, v[2:3], off
	v_add_co_u32 v2, vcc_lo, s6, v4
	s_wait_alu 0xfffd
	v_add_co_ci_u32_e64 v3, null, s7, v5, vcc_lo
	v_lshlrev_b64_e32 v[8:9], 2, v[0:1]
	v_add_nc_u32_e32 v0, s4, v34
	v_add_co_u32 v36, vcc_lo, s8, v4
	global_load_b32 v73, v[2:3], off
	s_wait_alu 0xfffd
	v_add_co_ci_u32_e64 v37, null, s9, v5, vcc_lo
	v_mad_co_u64_u32 v[2:3], null, 0xffffff84, s2, v[0:1]
	v_mov_b32_e32 v3, v1
	v_add_co_u32 v4, vcc_lo, s6, v27
	s_wait_alu 0xfffd
	v_add_co_ci_u32_e64 v5, null, s7, v28, vcc_lo
	v_add_co_u32 v40, vcc_lo, s8, v27
	v_mad_co_u64_u32 v[38:39], null, 0x7d, s2, v[2:3]
	v_mov_b32_e32 v39, v1
	s_clause 0x1
	global_load_b32 v27, v[12:13], off
	global_load_b32 v19, v[6:7], off
	;; [unrolled: 1-line block ×3, first 2 shown]
	s_wait_alu 0xfffd
	v_add_co_ci_u32_e64 v41, null, s9, v28, vcc_lo
	v_lshlrev_b64_e32 v[28:29], 2, v[29:30]
	v_lshlrev_b64_e32 v[12:13], 2, v[0:1]
	v_mad_co_u64_u32 v[4:5], null, 0xffffff92, s2, v[38:39]
	v_add_co_u32 v5, vcc_lo, s10, v10
	s_wait_alu 0xfffd
	v_add_co_ci_u32_e64 v6, null, s11, v11, vcc_lo
	v_add_co_u32 v10, vcc_lo, s10, v31
	s_wait_alu 0xfffd
	v_add_co_ci_u32_e64 v11, null, s11, v32, vcc_lo
	s_clause 0x1
	global_load_b32 v33, v[5:6], off
	global_load_b32 v30, v[10:11], off
	v_add_nc_u32_e32 v0, s2, v4
	v_add_co_u32 v10, vcc_lo, s6, v28
	s_wait_alu 0xfffd
	v_add_co_ci_u32_e64 v11, null, s7, v29, vcc_lo
	s_delay_alu instid0(VALU_DEP_3) | instskip(SKIP_4) | instid1(VALU_DEP_3)
	v_mad_co_u64_u32 v[6:7], null, 0x6e, s2, v[0:1]
	v_mov_b32_e32 v35, v1
	v_add_co_u32 v7, vcc_lo, s10, v8
	s_wait_alu 0xfffd
	v_add_co_ci_u32_e64 v8, null, s11, v9, vcc_lo
	v_lshlrev_b64_e32 v[31:32], 2, v[34:35]
	v_lshlrev_b64_e32 v[34:35], 2, v[0:1]
	v_add_nc_u32_e32 v0, s12, v6
	v_lshlrev_b64_e32 v[2:3], 2, v[2:3]
	v_lshlrev_b64_e32 v[38:39], 2, v[38:39]
	v_mov_b32_e32 v5, v1
	v_add_co_u32 v31, vcc_lo, s10, v31
	s_wait_alu 0xfffd
	v_add_co_ci_u32_e64 v32, null, s11, v32, vcc_lo
	v_add_co_u32 v46, vcc_lo, s8, v28
	s_wait_alu 0xfffd
	v_add_co_ci_u32_e64 v47, null, s9, v29, vcc_lo
	global_load_b32 v75, v[10:11], off
	s_clause 0x1
	global_load_b32 v76, v[7:8], off
	global_load_b32 v77, v[31:32], off
	v_add_co_u32 v7, vcc_lo, s6, v12
	s_wait_alu 0xfffd
	v_add_co_ci_u32_e64 v8, null, s7, v13, vcc_lo
	v_add_co_u32 v52, vcc_lo, s8, v12
	v_lshlrev_b64_e32 v[42:43], 2, v[0:1]
	v_add_nc_u32_e32 v0, s1, v0
	s_wait_alu 0xfffd
	v_add_co_ci_u32_e64 v53, null, s9, v13, vcc_lo
	v_add_co_u32 v2, vcc_lo, s10, v2
	global_load_b32 v78, v[7:8], off
	s_wait_alu 0xfffd
	v_add_co_ci_u32_e64 v3, null, s11, v3, vcc_lo
	v_add_co_u32 v7, vcc_lo, s6, v38
	v_lshlrev_b64_e32 v[44:45], 2, v[0:1]
	v_add_nc_u32_e32 v0, s12, v0
	s_wait_alu 0xfffd
	v_add_co_ci_u32_e64 v8, null, s7, v39, vcc_lo
	global_load_b32 v79, v[2:3], off
	v_lshlrev_b64_e32 v[2:3], 2, v[4:5]
	global_load_b32 v80, v[7:8], off
	v_mov_b32_e32 v7, v1
	v_lshlrev_b64_e32 v[48:49], 2, v[0:1]
	v_add_nc_u32_e32 v0, s1, v0
	v_add_co_u32 v2, vcc_lo, s10, v2
	s_wait_alu 0xfffd
	v_add_co_ci_u32_e64 v3, null, s11, v3, vcc_lo
	s_delay_alu instid0(VALU_DEP_3)
	v_lshlrev_b64_e32 v[50:51], 2, v[0:1]
	v_add_nc_u32_e32 v0, s2, v0
	v_add_co_u32 v4, vcc_lo, s10, v34
	v_lshlrev_b64_e32 v[58:59], 2, v[6:7]
	s_wait_alu 0xfffd
	v_add_co_ci_u32_e64 v5, null, s11, v35, vcc_lo
	v_lshlrev_b64_e32 v[54:55], 2, v[0:1]
	v_add_nc_u32_e32 v0, s2, v0
	s_delay_alu instid0(VALU_DEP_4)
	v_add_co_u32 v6, vcc_lo, s6, v58
	s_wait_alu 0xfffd
	v_add_co_ci_u32_e64 v7, null, s7, v59, vcc_lo
	s_clause 0x3
	global_load_b32 v29, v[2:3], off
	global_load_b32 v81, v[4:5], off
	;; [unrolled: 1-line block ×5, first 2 shown]
	v_add_co_u32 v2, vcc_lo, s10, v42
	s_wait_alu 0xfffd
	v_add_co_ci_u32_e64 v3, null, s11, v43, vcc_lo
	v_add_co_u32 v4, vcc_lo, s6, v44
	s_wait_alu 0xfffd
	v_add_co_ci_u32_e64 v5, null, s7, v45, vcc_lo
	s_clause 0x1
	global_load_b32 v83, v[2:3], off
	global_load_b32 v31, v[2:3], off
	v_add_co_u32 v2, vcc_lo, s10, v48
	s_wait_alu 0xfffd
	v_add_co_ci_u32_e64 v3, null, s11, v49, vcc_lo
	v_add_co_u32 v48, vcc_lo, s6, v50
	global_load_b32 v84, v[4:5], off
	s_wait_alu 0xfffd
	v_add_co_ci_u32_e64 v49, null, s7, v51, vcc_lo
	global_load_b32 v85, v[2:3], off
	global_load_b32 v86, v[48:49], off
	s_wait_loadcnt 0x22
	v_mul_f32_e32 v23, s0, v23
	v_lshlrev_b64_e32 v[12:13], 2, v[0:1]
	s_delay_alu instid0(VALU_DEP_2) | instskip(NEXT) | instid1(VALU_DEP_1)
	v_dual_mul_f32 v23, 0x4c9e9632, v23 :: v_dual_add_nc_u32 v0, s2, v0
	v_lshlrev_b64_e32 v[10:11], 2, v[0:1]
	v_add_nc_u32_e32 v0, s13, v0
	s_delay_alu instid0(VALU_DEP_1) | instskip(SKIP_1) | instid1(VALU_DEP_2)
	v_mad_co_u64_u32 v[56:57], null, s2, 3, v[0:1]
	v_lshlrev_b64_e32 v[60:61], 2, v[0:1]
	v_dual_mov_b32 v57, v1 :: v_dual_add_nc_u32 v0, s14, v56
	s_delay_alu instid0(VALU_DEP_1) | instskip(NEXT) | instid1(VALU_DEP_3)
	v_lshlrev_b64_e32 v[2:3], 2, v[56:57]
	v_add_co_u32 v48, vcc_lo, s10, v60
	s_wait_alu 0xfffd
	s_delay_alu instid0(VALU_DEP_4)
	v_add_co_ci_u32_e64 v49, null, s11, v61, vcc_lo
	v_lshlrev_b64_e32 v[8:9], 2, v[0:1]
	v_add_nc_u32_e32 v0, s2, v0
	v_add_co_u32 v60, vcc_lo, s10, v2
	s_wait_alu 0xfffd
	v_add_co_ci_u32_e64 v61, null, s11, v3, vcc_lo
	s_delay_alu instid0(VALU_DEP_3)
	v_mad_co_u64_u32 v[34:35], null, 0xffffff85, s2, v[0:1]
	v_lshlrev_b64_e32 v[6:7], 2, v[0:1]
	v_mov_b32_e32 v35, v1
	s_wait_loadcnt 0x21
	v_div_scale_f32 v87, null, v20, v20, 1.0
	global_load_b32 v60, v[60:61], off
	v_add_nc_u32_e32 v0, s2, v34
	v_lshlrev_b64_e32 v[34:35], 2, v[34:35]
	v_rcp_f32_e32 v88, v87
	s_delay_alu instid0(VALU_DEP_2) | instskip(SKIP_2) | instid1(VALU_DEP_4)
	v_mad_co_u64_u32 v[42:43], null, 0x7b, s2, v[0:1]
	v_lshlrev_b64_e32 v[62:63], 2, v[0:1]
	v_div_scale_f32 v43, null, v23, v23, 1.0
	v_add_co_u32 v34, vcc_lo, s10, v34
	s_wait_alu 0xfffd
	v_add_co_ci_u32_e64 v35, null, s11, v35, vcc_lo
	v_add_nc_u32_e32 v0, s2, v42
	v_add_co_u32 v62, vcc_lo, s10, v62
	s_wait_alu 0xfffd
	v_add_co_ci_u32_e64 v63, null, s11, v63, vcc_lo
	s_delay_alu instid0(VALU_DEP_3) | instskip(SKIP_1) | instid1(VALU_DEP_1)
	v_lshlrev_b64_e32 v[4:5], 2, v[0:1]
	v_add_nc_u32_e32 v0, s13, v0
	v_mad_co_u64_u32 v[56:57], null, 0x86, s2, v[0:1]
	v_rcp_f32_e32 v57, v43
	v_lshlrev_b64_e32 v[2:3], 2, v[0:1]
	s_delay_alu instid0(VALU_DEP_2) | instskip(NEXT) | instid1(VALU_DEP_2)
	v_add_nc_u32_e32 v0, s2, v56
	v_add_co_u32 v66, vcc_lo, s10, v2
	s_wait_alu 0xfffd
	s_delay_alu instid0(VALU_DEP_3) | instskip(NEXT) | instid1(VALU_DEP_3)
	v_add_co_ci_u32_e64 v67, null, s11, v3, vcc_lo
	v_mad_co_u64_u32 v[64:65], null, 0xffffff7e, s2, v[0:1]
	v_mov_b32_e32 v65, v1
	s_delay_alu instid0(TRANS32_DEP_1)
	v_fma_f32 v89, -v43, v57, 1.0
	v_div_scale_f32 v90, vcc_lo, 1.0, v23, 1.0
	v_lshlrev_b64_e32 v[2:3], 2, v[0:1]
	global_load_b32 v66, v[66:67], off
	v_lshlrev_b64_e32 v[68:69], 2, v[64:65]
	v_dual_fmac_f32 v57, v89, v57 :: v_dual_add_nc_u32 v0, s14, v64
	s_delay_alu instid0(VALU_DEP_2) | instskip(SKIP_1) | instid1(VALU_DEP_3)
	v_add_co_u32 v64, s0, s10, v68
	v_fma_f32 v68, -v87, v88, 1.0
	v_mul_f32_e32 v89, v90, v57
	s_wait_alu 0xf1ff
	v_add_co_ci_u32_e64 v65, null, s11, v69, s0
	v_div_scale_f32 v91, s0, 1.0, v20, 1.0
	v_fmac_f32_e32 v88, v68, v88
	v_fma_f32 v68, -v43, v89, v90
	s_wait_loadcnt 0x1a
	v_dual_mul_f32 v70, v70, v71 :: v_dual_mul_f32 v71, v25, v26
	s_wait_loadcnt 0x18
	v_mul_f32_e32 v17, v17, v18
	v_fmac_f32_e32 v89, v68, v57
	s_delay_alu instid0(VALU_DEP_1) | instskip(SKIP_2) | instid1(VALU_DEP_2)
	v_fma_f32 v43, -v43, v89, v90
	v_mul_f32_e32 v90, v91, v88
	s_wait_alu 0xfffd
	v_div_fmas_f32 v43, v43, v57, v89
	s_delay_alu instid0(VALU_DEP_2) | instskip(SKIP_2) | instid1(VALU_DEP_3)
	v_fma_f32 v68, -v87, v90, v91
	v_mul_f32_e32 v57, v21, v22
	s_mov_b32 vcc_lo, s0
	v_div_fixup_f32 v23, v43, v23, 1.0
	s_delay_alu instid0(VALU_DEP_1)
	v_dual_mul_f32 v23, 0x49776020, v23 :: v_dual_fmac_f32 v90, v68, v88
	v_add_co_u32 v68, s1, s6, v54
	s_wait_alu 0xf1ff
	v_add_co_ci_u32_e64 v69, null, s7, v55, s1
	global_load_b32 v92, v[68:69], off
	v_fma_f32 v68, -v87, v90, v91
	s_wait_alu 0xfffe
	s_delay_alu instid0(VALU_DEP_1) | instskip(SKIP_4) | instid1(VALU_DEP_3)
	v_div_fmas_f32 v87, v68, v88, v90
	v_div_scale_f32 v88, null, v57, v57, 1.0
	v_add_co_u32 v68, vcc_lo, s6, v12
	s_wait_alu 0xfffd
	v_add_co_ci_u32_e64 v69, null, s7, v13, vcc_lo
	v_rcp_f32_e32 v90, v88
	v_div_scale_f32 v91, vcc_lo, 1.0, v57, 1.0
	global_load_b32 v89, v[68:69], off
	v_fma_f32 v68, -v88, v90, 1.0
	s_delay_alu instid0(VALU_DEP_1) | instskip(NEXT) | instid1(VALU_DEP_1)
	v_fmac_f32_e32 v90, v68, v90
	v_mul_f32_e32 v93, v91, v90
	s_delay_alu instid0(VALU_DEP_1) | instskip(NEXT) | instid1(VALU_DEP_1)
	v_fma_f32 v68, -v88, v93, v91
	v_fmac_f32_e32 v93, v68, v90
	v_add_co_u32 v68, s0, s6, v10
	s_wait_alu 0xf1ff
	v_add_co_ci_u32_e64 v69, null, s7, v11, s0
	s_delay_alu instid0(VALU_DEP_3)
	v_fma_f32 v43, -v88, v93, v91
	s_wait_loadcnt 0x14
	v_mul_f32_e32 v91, v22, v30
	global_load_b32 v68, v[68:69], off
	global_load_b32 v69, v[48:49], off
	v_div_fixup_f32 v48, v87, v20, 1.0
	s_wait_alu 0xfffd
	v_div_fmas_f32 v87, v43, v90, v93
	v_mul_f32_e32 v43, v71, v23
	s_wait_loadcnt 0x11
	v_mul_f32_e32 v22, v22, v79
	s_delay_alu instid0(VALU_DEP_2) | instskip(NEXT) | instid1(VALU_DEP_1)
	v_mul_f32_e32 v43, v48, v43
	v_min_num_f32_e32 v43, 0x7cf0bdc2, v43
	s_delay_alu instid0(VALU_DEP_1)
	v_mul_f32_e32 v43, v72, v43
	global_store_b32 v[14:15], v43, off
	v_mov_b32_e32 v43, v1
	v_div_scale_f32 v49, null, v70, v70, 1.0
	v_div_scale_f32 v72, vcc_lo, 1.0, v70, 1.0
	v_add_co_u32 v14, s0, s6, v8
	s_delay_alu instid0(VALU_DEP_3)
	v_rcp_f32_e32 v48, v49
	s_wait_alu 0xf1ff
	v_add_co_ci_u32_e64 v15, null, s7, v9, s0
	v_lshlrev_b64_e32 v[42:43], 2, v[42:43]
	global_load_b32 v90, v[14:15], off
	v_fma_f32 v88, -v49, v48, 1.0
	s_delay_alu instid0(VALU_DEP_1) | instskip(NEXT) | instid1(VALU_DEP_1)
	v_fmac_f32_e32 v48, v88, v48
	v_mul_f32_e32 v88, v72, v48
	s_delay_alu instid0(VALU_DEP_1) | instskip(NEXT) | instid1(VALU_DEP_1)
	v_fma_f32 v61, -v49, v88, v72
	v_fmac_f32_e32 v88, v61, v48
	s_delay_alu instid0(VALU_DEP_1) | instskip(SKIP_1) | instid1(VALU_DEP_1)
	v_fma_f32 v49, -v49, v88, v72
	s_wait_alu 0xfffd
	v_div_fmas_f32 v72, v49, v48, v88
	v_add_co_u32 v48, vcc_lo, s6, v4
	s_wait_alu 0xfffd
	v_add_co_ci_u32_e64 v49, null, s7, v5, vcc_lo
	s_delay_alu instid0(VALU_DEP_3)
	v_div_fixup_f32 v70, v72, v70, 1.0
	v_mul_f32_e32 v72, v76, v77
	global_load_b32 v93, v[48:49], off
	v_add_co_u32 v14, s0, s6, v6
	s_wait_alu 0xf1ff
	v_add_co_ci_u32_e64 v15, null, s7, v7, s0
	global_load_b32 v61, v[14:15], off
	v_add_co_u32 v14, s0, s6, v42
	s_wait_alu 0xf1ff
	v_add_co_ci_u32_e64 v15, null, s7, v43, s0
	global_load_b32 v88, v[14:15], off
	v_div_scale_f32 v14, null, v91, v91, 1.0
	v_div_fixup_f32 v15, v87, v57, 1.0
	s_clause 0x2
	global_load_b32 v62, v[62:63], off
	global_load_b32 v63, v[34:35], off
	;; [unrolled: 1-line block ×3, first 2 shown]
	v_rcp_f32_e32 v48, v14
	s_wait_loadcnt 0x15
	v_div_scale_f32 v87, null, v81, v81, 1.0
	v_mul_f32_e32 v15, v71, v15
	s_delay_alu instid0(VALU_DEP_1) | instskip(NEXT) | instid1(TRANS32_DEP_1)
	v_min_num_f32_e32 v15, 0x7cf0bdc2, v15
	v_fma_f32 v49, -v14, v48, 1.0
	s_delay_alu instid0(VALU_DEP_2) | instskip(NEXT) | instid1(VALU_DEP_2)
	v_mul_f32_e32 v57, v73, v15
	v_fmac_f32_e32 v48, v49, v48
	v_div_scale_f32 v49, vcc_lo, 1.0, v91, 1.0
	global_store_b32 v[36:37], v57, off
	v_div_scale_f32 v57, null, v72, v72, 1.0
	v_mul_f32_e32 v67, v49, v48
	s_delay_alu instid0(VALU_DEP_2) | instskip(NEXT) | instid1(VALU_DEP_1)
	v_rcp_f32_e32 v73, v57
	v_fma_f32 v15, -v14, v67, v49
	s_delay_alu instid0(VALU_DEP_1) | instskip(NEXT) | instid1(VALU_DEP_1)
	v_fmac_f32_e32 v67, v15, v48
	v_fma_f32 v49, -v14, v67, v49
	v_lshlrev_b64_e32 v[14:15], 2, v[0:1]
	s_wait_alu 0xfffd
	s_delay_alu instid0(VALU_DEP_2) | instskip(SKIP_2) | instid1(VALU_DEP_3)
	v_div_fmas_f32 v67, v49, v48, v67
	v_mad_co_u64_u32 v[48:49], null, 0xffffff8e, s2, v[0:1]
	v_mul_f32_e32 v0, v71, v70
	v_div_fixup_f32 v49, v67, v91, 1.0
	v_mul_f32_e32 v67, v26, v33
	v_mul_f32_e32 v26, v26, v30
	s_delay_alu instid0(VALU_DEP_4) | instskip(NEXT) | instid1(VALU_DEP_3)
	v_min_num_f32_e32 v36, 0x7cf0bdc2, v0
	v_dual_mul_f32 v37, v67, v49 :: v_dual_add_nc_u32 v0, s4, v48
	s_delay_alu instid0(VALU_DEP_2) | instskip(NEXT) | instid1(VALU_DEP_2)
	v_dual_mov_b32 v49, v1 :: v_dual_mul_f32 v74, v74, v36
	v_min_num_f32_e32 v76, 0x7cf0bdc2, v37
	s_delay_alu instid0(VALU_DEP_3) | instskip(SKIP_1) | instid1(VALU_DEP_4)
	v_mad_co_u64_u32 v[36:37], null, 0xffffff8c, s2, v[0:1]
	v_mov_b32_e32 v37, v1
	v_lshlrev_b64_e32 v[48:49], 2, v[48:49]
	s_delay_alu instid0(VALU_DEP_4)
	v_mul_f32_e32 v75, v75, v76
	global_store_b32 v[40:41], v74, off
	v_div_scale_f32 v76, null, v22, v22, 1.0
	v_lshlrev_b64_e32 v[40:41], 2, v[36:37]
	v_fma_f32 v37, -v57, v73, 1.0
	global_store_b32 v[46:47], v75, off
	v_add_co_u32 v46, vcc_lo, s10, v48
	s_wait_alu 0xfffd
	v_add_co_ci_u32_e64 v47, null, s11, v49, vcc_lo
	v_div_scale_f32 v48, vcc_lo, 1.0, v72, 1.0
	v_fmac_f32_e32 v73, v37, v73
	v_rcp_f32_e32 v74, v76
	v_add_co_u32 v40, s0, s10, v40
	s_wait_alu 0xf1ff
	v_add_co_ci_u32_e64 v41, null, s11, v41, s0
	v_mul_f32_e32 v37, v48, v73
	v_div_scale_f32 v75, s0, 1.0, v22, 1.0
	s_delay_alu instid0(VALU_DEP_2) | instskip(NEXT) | instid1(TRANS32_DEP_1)
	v_fma_f32 v65, -v57, v37, v48
	v_fma_f32 v49, -v76, v74, 1.0
	s_delay_alu instid0(VALU_DEP_2) | instskip(NEXT) | instid1(VALU_DEP_2)
	v_fmac_f32_e32 v37, v65, v73
	v_fmac_f32_e32 v74, v49, v74
	s_delay_alu instid0(VALU_DEP_2) | instskip(NEXT) | instid1(VALU_DEP_2)
	v_fma_f32 v77, -v57, v37, v48
	v_mul_f32_e32 v65, v75, v74
	s_wait_alu 0xfffd
	s_delay_alu instid0(VALU_DEP_2) | instskip(SKIP_3) | instid1(VALU_DEP_2)
	v_div_fmas_f32 v37, v77, v73, v37
	v_rcp_f32_e32 v73, v87
	s_wait_loadcnt 0xe
	v_mul_f32_e32 v77, v21, v85
	v_div_fixup_f32 v37, v37, v72, 1.0
	v_mul_f32_e32 v72, v25, v29
	v_fma_f32 v48, -v76, v65, v75
	s_delay_alu instid0(VALU_DEP_4) | instskip(NEXT) | instid1(VALU_DEP_4)
	v_div_scale_f32 v85, null, v77, v77, 1.0
	v_mul_f32_e32 v25, v67, v37
	v_mov_b32_e32 v57, v1
	s_delay_alu instid0(VALU_DEP_4) | instskip(NEXT) | instid1(VALU_DEP_2)
	v_fmac_f32_e32 v65, v48, v74
	v_lshlrev_b64_e32 v[48:49], 2, v[56:57]
	s_delay_alu instid0(VALU_DEP_2)
	v_fma_f32 v75, -v76, v65, v75
	global_load_b32 v76, v[46:47], off
	v_add_co_u32 v56, vcc_lo, s6, v48
	s_wait_alu 0xfffd
	v_add_co_ci_u32_e64 v57, null, s7, v49, vcc_lo
	s_mov_b32 vcc_lo, s0
	s_wait_alu 0xfffe
	v_div_fmas_f32 v65, v75, v74, v65
	v_mul_f32_e32 v74, v21, v83
	global_load_b32 v56, v[56:57], off
	v_fma_f32 v75, -v87, v73, 1.0
	v_div_fixup_f32 v22, v65, v22, 1.0
	v_div_scale_f32 v57, null, v74, v74, 1.0
	v_mul_f32_e32 v65, v23, v72
	v_div_scale_f32 v67, s0, 1.0, v74, 1.0
	s_delay_alu instid0(VALU_DEP_3) | instskip(NEXT) | instid1(TRANS32_DEP_1)
	v_rcp_f32_e32 v46, v57
	v_fma_f32 v37, -v57, v46, 1.0
	v_fmac_f32_e32 v73, v75, v73
	v_div_scale_f32 v75, vcc_lo, 1.0, v81, 1.0
	s_delay_alu instid0(VALU_DEP_1) | instskip(NEXT) | instid1(VALU_DEP_1)
	v_dual_fmac_f32 v46, v37, v46 :: v_dual_mul_f32 v47, v75, v73
	v_fma_f32 v21, -v87, v47, v75
	s_delay_alu instid0(VALU_DEP_1) | instskip(SKIP_1) | instid1(VALU_DEP_2)
	v_fmac_f32_e32 v47, v21, v73
	v_dual_mul_f32 v21, v26, v22 :: v_dual_min_num_f32 v22, 0x7cf0bdc2, v25
	v_fma_f32 v25, -v87, v47, v75
	s_delay_alu instid0(VALU_DEP_2) | instskip(NEXT) | instid1(VALU_DEP_3)
	v_min_num_f32_e32 v21, 0x7cf0bdc2, v21
	v_mul_f32_e32 v37, v78, v22
	global_load_b32 v78, v[40:41], off
	v_div_scale_f32 v40, s1, 1.0, v77, 1.0
	s_wait_alu 0xfffd
	v_div_fmas_f32 v25, v25, v73, v47
	v_rcp_f32_e32 v47, v85
	v_mul_f32_e32 v73, v80, v21
	v_add_co_u32 v21, vcc_lo, s8, v38
	s_wait_alu 0xfffd
	v_add_co_ci_u32_e64 v22, null, s9, v39, vcc_lo
	v_div_fixup_f32 v25, v25, v81, 1.0
	s_delay_alu instid0(TRANS32_DEP_1) | instskip(NEXT) | instid1(VALU_DEP_2)
	v_fma_f32 v39, -v85, v47, 1.0
	v_mul_f32_e32 v38, v65, v25
	v_add_co_u32 v25, vcc_lo, s6, v2
	v_div_scale_f32 v65, null, v71, v71, 1.0
	s_delay_alu instid0(VALU_DEP_4) | instskip(SKIP_1) | instid1(VALU_DEP_3)
	v_fmac_f32_e32 v47, v39, v47
	v_mul_f32_e32 v75, v67, v46
	v_rcp_f32_e32 v80, v65
	s_delay_alu instid0(VALU_DEP_1) | instskip(NEXT) | instid1(VALU_DEP_1)
	v_fma_f32 v26, -v57, v75, v67
	v_fmac_f32_e32 v75, v26, v46
	s_wait_alu 0xfffd
	v_add_co_ci_u32_e64 v26, null, s7, v3, vcc_lo
	s_delay_alu instid0(VALU_DEP_2)
	v_fma_f32 v41, -v57, v75, v67
	global_load_b32 v81, v[25:26], off
	v_mad_co_u64_u32 v[25:26], null, 0x75, s2, v[36:37]
	s_clause 0x1
	global_store_b32 v[52:53], v37, off
	global_store_b32 v[21:22], v73, off
	v_lshlrev_b64_e32 v[21:22], 2, v[0:1]
	v_add_co_u32 v36, vcc_lo, s6, v14
	v_min_num_f32_e32 v26, 0x7cf0bdc2, v38
	s_wait_alu 0xfffd
	v_add_co_ci_u32_e64 v37, null, s7, v15, vcc_lo
	v_add_nc_u32_e32 v0, s2, v25
	v_mul_f32_e32 v52, v40, v47
	s_mov_b32 vcc_lo, s0
	global_load_b32 v57, v[36:37], off
	s_wait_alu 0xfffe
	v_div_fmas_f32 v41, v41, v46, v75
	v_lshlrev_b64_e32 v[38:39], 2, v[0:1]
	v_add_nc_u32_e32 v0, s3, v0
	v_fma_f32 v46, -v85, v52, v40
	v_fma_f32 v53, -v65, v80, 1.0
	v_div_fixup_f32 v41, v41, v74, 1.0
	v_mul_f32_e32 v26, v82, v26
	v_lshlrev_b64_e32 v[36:37], 2, v[0:1]
	v_fmac_f32_e32 v52, v46, v47
	v_fmac_f32_e32 v80, v53, v80
	v_div_scale_f32 v53, s0, 1.0, v71, 1.0
	s_delay_alu instid0(VALU_DEP_4) | instskip(SKIP_2) | instid1(VALU_DEP_3)
	v_add_co_u32 v36, vcc_lo, s10, v36
	s_wait_alu 0xfffd
	v_add_co_ci_u32_e64 v37, null, s11, v37, vcc_lo
	v_mul_f32_e32 v46, v53, v80
	global_load_b32 v67, v[36:37], off
	v_add_co_u32 v36, vcc_lo, s8, v58
	s_wait_alu 0xfffd
	v_add_co_ci_u32_e64 v37, null, s9, v59, vcc_lo
	v_fma_f32 v59, -v85, v52, v40
	v_add_co_u32 v40, vcc_lo, s6, v21
	v_mul_f32_e32 v58, v72, v41
	s_wait_alu 0xfffd
	v_add_co_ci_u32_e64 v41, null, s7, v22, vcc_lo
	s_mov_b32 vcc_lo, s1
	v_fma_f32 v73, -v65, v46, v53
	s_wait_alu 0xfffe
	v_div_fmas_f32 v47, v59, v47, v52
	global_load_b32 v52, v[40:41], off
	global_load_b32 v59, v[34:35], off
	s_mov_b32 vcc_lo, s0
	v_min_num_f32_e32 v34, 0x7cf0bdc2, v58
	v_fmac_f32_e32 v46, v73, v80
	v_mul_f32_e32 v58, v33, v29
	v_div_fixup_f32 v35, v47, v77, 1.0
	v_mul_f32_e32 v33, v20, v33
	v_mul_f32_e32 v20, v20, v30
	v_fma_f32 v40, -v65, v46, v53
	s_wait_alu 0xfffe
	s_delay_alu instid0(VALU_DEP_1) | instskip(SKIP_1) | instid1(VALU_DEP_2)
	v_div_fmas_f32 v40, v40, v80, v46
	v_mul_f32_e32 v46, v72, v35
	v_div_fixup_f32 v40, v40, v71, 1.0
	s_delay_alu instid0(VALU_DEP_1) | instskip(NEXT) | instid1(VALU_DEP_1)
	v_dual_mul_f32 v73, v79, v83 :: v_dual_mul_f32 v40, v40, v58
	v_div_scale_f32 v47, null, v73, v73, 1.0
	v_mul_f32_e32 v41, v84, v34
	v_add_co_u32 v34, vcc_lo, s8, v44
	s_delay_alu instid0(VALU_DEP_3)
	v_rcp_f32_e32 v53, v47
	s_wait_alu 0xfffd
	v_add_co_ci_u32_e64 v35, null, s9, v45, vcc_lo
	v_min_num_f32_e32 v44, 0x7cf0bdc2, v46
	v_div_scale_f32 v46, vcc_lo, 1.0, v73, 1.0
	s_clause 0x1
	global_store_b32 v[36:37], v26, off
	global_store_b32 v[34:35], v41, off
	v_add_co_u32 v34, s0, s8, v50
	v_min_num_f32_e32 v26, 0x7cf0bdc2, v40
	v_fma_f32 v45, -v47, v53, 1.0
	s_wait_alu 0xf1ff
	v_add_co_ci_u32_e64 v35, null, s9, v51, s0
	v_add_co_u32 v36, s0, s8, v54
	s_wait_loadcnt 0x14
	v_dual_fmac_f32 v53, v45, v53 :: v_dual_mul_f32 v54, v83, v60
	s_wait_loadcnt 0x12
	v_dual_mul_f32 v71, v26, v92 :: v_dual_mov_b32 v26, v1
	v_mul_f32_e32 v65, v86, v44
	s_delay_alu instid0(VALU_DEP_3) | instskip(SKIP_3) | instid1(VALU_DEP_3)
	v_mul_f32_e32 v72, v46, v53
	s_wait_alu 0xf1ff
	v_add_co_ci_u32_e64 v37, null, s9, v55, s0
	v_lshlrev_b64_e32 v[25:26], 2, v[25:26]
	v_fma_f32 v44, -v47, v72, v46
	v_mul_f32_e32 v55, v70, v58
	v_div_scale_f32 v58, null, v54, v54, 1.0
	s_delay_alu instid0(VALU_DEP_4) | instskip(NEXT) | instid1(VALU_DEP_4)
	v_add_co_u32 v40, s0, s6, v25
	v_fmac_f32_e32 v72, v44, v53
	v_mad_co_u64_u32 v[44:45], null, 0x78, s2, v[0:1]
	v_mov_b32_e32 v45, v1
	v_rcp_f32_e32 v70, v58
	s_wait_alu 0xf1ff
	v_add_co_ci_u32_e64 v41, null, s7, v26, s0
	v_fma_f32 v75, -v47, v72, v46
	s_delay_alu instid0(VALU_DEP_4)
	v_dual_min_num_f32 v55, 0x7cf0bdc2, v55 :: v_dual_add_nc_u32 v0, s2, v44
	v_lshlrev_b64_e32 v[44:45], 2, v[44:45]
	global_load_b32 v74, v[40:41], off
	v_add_co_u32 v40, s0, s6, v38
	s_wait_alu 0xf1ff
	v_add_co_ci_u32_e64 v41, null, s7, v39, s0
	v_add_co_u32 v46, s0, s6, v44
	v_fma_f32 v77, -v58, v70, 1.0
	s_wait_alu 0xf1ff
	v_add_co_ci_u32_e64 v47, null, s7, v45, s0
	global_load_b32 v79, v[40:41], off
	v_fmac_f32_e32 v70, v77, v70
	global_load_b32 v80, v[46:47], off
	v_lshlrev_b64_e32 v[40:41], 2, v[0:1]
	v_add_nc_u32_e32 v0, s2, v0
	v_div_scale_f32 v77, null, v33, v33, 1.0
	s_delay_alu instid0(VALU_DEP_2) | instskip(NEXT) | instid1(VALU_DEP_4)
	v_lshlrev_b64_e32 v[0:1], 2, v[0:1]
	v_add_co_u32 v50, s0, s6, v40
	s_wait_alu 0xf1ff
	v_add_co_ci_u32_e64 v51, null, s7, v41, s0
	s_delay_alu instid0(VALU_DEP_3)
	v_add_co_u32 v46, s0, s6, v0
	s_wait_alu 0xf1ff
	v_add_co_ci_u32_e64 v47, null, s7, v1, s0
	s_clause 0x1
	global_load_b32 v50, v[50:51], off
	global_load_b32 v46, v[46:47], off
	v_div_scale_f32 v51, s0, 1.0, v54, 1.0
	s_wait_alu 0xfffd
	v_div_fmas_f32 v47, v75, v53, v72
	v_rcp_f32_e32 v72, v77
	s_clause 0x1
	global_store_b32 v[34:35], v65, off
	global_store_b32 v[36:37], v71, off
	v_mul_f32_e32 v53, v51, v70
	v_add_co_u32 v12, vcc_lo, s8, v12
	v_div_fixup_f32 v47, v47, v73, 1.0
	s_wait_alu 0xfffd
	v_add_co_ci_u32_e64 v13, null, s9, v13, vcc_lo
	v_fma_f32 v73, -v58, v53, v51
	s_wait_loadcnt 0x16
	v_mul_f32_e32 v34, v55, v89
	v_fma_f32 v36, -v77, v72, 1.0
	v_mul_f32_e32 v75, v30, v29
	s_mov_b32 vcc_lo, s0
	v_fmac_f32_e32 v53, v73, v70
	global_store_b32 v[12:13], v34, off
	v_dual_fmac_f32 v72, v36, v72 :: v_dual_mul_f32 v35, v75, v47
	s_wait_loadcnt 0xe
	v_mul_f32_e32 v47, v63, v62
	v_fma_f32 v37, -v58, v53, v51
	v_div_scale_f32 v36, s1, 1.0, v33, 1.0
	v_mul_f32_e32 v58, v29, v69
	s_delay_alu instid0(VALU_DEP_4)
	v_div_scale_f32 v51, null, v47, v47, 1.0
	s_wait_alu 0xfffe
	v_div_fmas_f32 v37, v37, v70, v53
	v_mul_f32_e32 v53, v36, v72
	v_min_num_f32_e32 v35, 0x7cf0bdc2, v35
	v_rcp_f32_e32 v55, v51
	v_add_co_u32 v10, vcc_lo, s8, v10
	v_div_fixup_f32 v37, v37, v54, 1.0
	v_fma_f32 v54, -v77, v53, v36
	s_wait_alu 0xfffd
	v_add_co_ci_u32_e64 v11, null, s9, v11, vcc_lo
	s_mov_b32 vcc_lo, s1
	v_fmac_f32_e32 v53, v54, v72
	s_delay_alu instid0(TRANS32_DEP_1) | instskip(SKIP_1) | instid1(VALU_DEP_3)
	v_fma_f32 v30, -v51, v55, 1.0
	v_div_scale_f32 v54, null, v20, v20, 1.0
	v_fma_f32 v36, -v77, v53, v36
	s_delay_alu instid0(VALU_DEP_3) | instskip(SKIP_1) | instid1(VALU_DEP_4)
	v_fmac_f32_e32 v55, v30, v55
	v_div_scale_f32 v30, s0, 1.0, v47, 1.0
	v_rcp_f32_e32 v62, v54
	s_wait_alu 0xfffe
	v_div_fmas_f32 v36, v36, v72, v53
	v_add_co_u32 v8, vcc_lo, s8, v8
	v_dual_mul_f32 v12, v30, v55 :: v_dual_mul_f32 v35, v35, v68
	s_wait_alu 0xfffd
	v_add_co_ci_u32_e64 v9, null, s9, v9, vcc_lo
	s_mov_b32 vcc_lo, s0
	global_store_b32 v[10:11], v35, off
	v_div_fixup_f32 v10, v36, v33, 1.0
	v_fma_f32 v34, -v54, v62, 1.0
	v_fma_f32 v33, -v51, v12, v30
	s_delay_alu instid0(VALU_DEP_3) | instskip(SKIP_1) | instid1(VALU_DEP_4)
	v_mul_f32_e32 v10, v10, v58
	v_mul_f32_e32 v37, v58, v37
	v_dual_fmac_f32 v62, v34, v62 :: v_dual_mul_f32 v13, v60, v32
	s_delay_alu instid0(VALU_DEP_2) | instskip(NEXT) | instid1(VALU_DEP_2)
	v_dual_min_num_f32 v10, 0x7cf0bdc2, v10 :: v_dual_min_num_f32 v37, 0x7cf0bdc2, v37
	v_div_scale_f32 v35, null, v13, v13, 1.0
	s_delay_alu instid0(VALU_DEP_2) | instskip(NEXT) | instid1(VALU_DEP_2)
	v_mul_f32_e32 v11, v90, v37
	v_rcp_f32_e32 v34, v35
	global_store_b32 v[8:9], v11, off
	v_mul_f32_e32 v9, v10, v61
	v_fma_f32 v8, -v35, v34, 1.0
	s_delay_alu instid0(VALU_DEP_1) | instskip(SKIP_2) | instid1(VALU_DEP_2)
	v_fmac_f32_e32 v34, v8, v34
	v_fmac_f32_e32 v12, v33, v55
	v_div_scale_f32 v33, s1, 1.0, v20, 1.0
	v_fma_f32 v30, -v51, v12, v30
	s_delay_alu instid0(VALU_DEP_2) | instskip(SKIP_1) | instid1(VALU_DEP_2)
	v_mul_f32_e32 v36, v33, v62
	s_wait_alu 0xfffe
	v_div_fmas_f32 v12, v30, v55, v12
	s_delay_alu instid0(VALU_DEP_2)
	v_fma_f32 v30, -v54, v36, v33
	v_add_co_u32 v6, vcc_lo, s8, v6
	s_wait_alu 0xfffd
	v_add_co_ci_u32_e64 v7, null, s9, v7, vcc_lo
	v_div_fixup_f32 v10, v12, v47, 1.0
	v_dual_mul_f32 v11, v27, v32 :: v_dual_fmac_f32 v36, v30, v62
	v_div_scale_f32 v8, s0, 1.0, v13, 1.0
	s_delay_alu instid0(VALU_DEP_3) | instskip(NEXT) | instid1(VALU_DEP_3)
	v_mul_f32_e32 v10, v58, v10
	v_div_scale_f32 v12, null, v11, v11, 1.0
	s_delay_alu instid0(VALU_DEP_4) | instskip(NEXT) | instid1(VALU_DEP_4)
	v_fma_f32 v30, -v54, v36, v33
	v_mul_f32_e32 v32, v8, v34
	s_mov_b32 vcc_lo, s1
	s_delay_alu instid0(VALU_DEP_3)
	v_rcp_f32_e32 v33, v12
	global_store_b32 v[6:7], v9, off
	s_wait_alu 0xfffe
	v_div_fmas_f32 v30, v30, v62, v36
	v_fma_f32 v36, -v35, v32, v8
	v_dual_min_num_f32 v6, 0x7cf0bdc2, v10 :: v_dual_mul_f32 v7, v29, v60
	s_mov_b32 vcc_lo, s0
	s_delay_alu instid0(VALU_DEP_3) | instskip(NEXT) | instid1(VALU_DEP_3)
	v_div_fixup_f32 v9, v30, v20, 1.0
	v_fmac_f32_e32 v32, v36, v34
	s_delay_alu instid0(VALU_DEP_3)
	v_mul_f32_e32 v20, v88, v6
	v_fma_f32 v10, -v12, v33, 1.0
	s_wait_loadcnt 0xd
	v_mul_f32_e32 v30, v64, v31
	v_mul_f32_e32 v9, v9, v7
	v_fma_f32 v6, -v35, v32, v8
	v_mul_f32_e32 v29, v29, v66
	v_fmac_f32_e32 v33, v10, v33
	v_div_scale_f32 v8, null, v30, v30, 1.0
	v_div_scale_f32 v10, s1, 1.0, v11, 1.0
	s_wait_alu 0xfffe
	v_div_fmas_f32 v31, v6, v34, v32
	s_delay_alu instid0(VALU_DEP_3)
	v_rcp_f32_e32 v32, v8
	v_add_co_u32 v6, vcc_lo, s8, v42
	v_mul_f32_e32 v34, v10, v33
	s_wait_alu 0xfffd
	v_add_co_ci_u32_e64 v7, null, s9, v43, vcc_lo
	v_div_fixup_f32 v13, v31, v13, 1.0
	v_add_co_u32 v4, vcc_lo, s8, v4
	v_fma_f32 v31, -v12, v34, v10
	s_delay_alu instid0(TRANS32_DEP_1)
	v_fma_f32 v35, -v8, v32, 1.0
	v_min_num_f32_e32 v9, 0x7cf0bdc2, v9
	global_store_b32 v[6:7], v20, off
	v_mul_f32_e32 v6, v29, v13
	v_fmac_f32_e32 v34, v31, v33
	v_fmac_f32_e32 v32, v35, v32
	v_mul_f32_e32 v31, v63, v28
	s_delay_alu instid0(VALU_DEP_4)
	v_dual_mul_f32 v9, v9, v93 :: v_dual_min_num_f32 v6, 0x7cf0bdc2, v6
	s_wait_alu 0xfffd
	v_add_co_ci_u32_e64 v5, null, s9, v5, vcc_lo
	s_mov_b32 vcc_lo, s1
	v_div_scale_f32 v13, s0, 1.0, v30, 1.0
	s_wait_loadcnt 0xb
	v_mul_f32_e32 v29, v56, v6
	v_fma_f32 v7, -v12, v34, v10
	v_div_scale_f32 v12, null, v76, v76, 1.0
	v_mul_f32_e32 v28, v19, v28
	s_wait_alu 0xfffe
	s_delay_alu instid0(VALU_DEP_3) | instskip(NEXT) | instid1(VALU_DEP_3)
	v_div_fmas_f32 v7, v7, v33, v34
	v_rcp_f32_e32 v33, v12
	v_add_co_u32 v6, vcc_lo, s8, v48
	s_delay_alu instid0(VALU_DEP_2)
	v_div_fixup_f32 v11, v7, v11, 1.0
	v_mul_f32_e32 v10, v13, v32
	s_wait_alu 0xfffd
	v_add_co_ci_u32_e64 v7, null, s9, v49, vcc_lo
	s_mov_b32 vcc_lo, s0
	v_mul_f32_e32 v11, v31, v11
	v_fma_f32 v20, -v8, v10, v13
	s_clause 0x1
	global_store_b32 v[4:5], v9, off
	global_store_b32 v[6:7], v29, off
	v_add_co_u32 v2, s0, s8, v2
	v_dual_min_num_f32 v11, 0x7cf0bdc2, v11 :: v_dual_fmac_f32 v10, v20, v32
	s_wait_loadcnt 0xa
	v_mul_f32_e32 v20, v16, v78
	s_wait_alu 0xf1ff
	v_add_co_ci_u32_e64 v3, null, s9, v3, s0
	v_fma_f32 v8, -v8, v10, v13
	v_fma_f32 v13, -v12, v33, 1.0
	v_div_scale_f32 v31, null, v20, v20, 1.0
	s_delay_alu instid0(VALU_DEP_2) | instskip(SKIP_4) | instid1(VALU_DEP_2)
	v_fmac_f32_e32 v33, v13, v33
	s_wait_alu 0xfffe
	v_div_fmas_f32 v8, v8, v32, v10
	v_div_scale_f32 v10, vcc_lo, 1.0, v76, 1.0
	v_rcp_f32_e32 v13, v31
	v_div_fixup_f32 v8, v8, v30, 1.0
	s_delay_alu instid0(VALU_DEP_1) | instskip(NEXT) | instid1(VALU_DEP_1)
	v_dual_mul_f32 v30, v10, v33 :: v_dual_mul_f32 v5, v28, v8
	v_fma_f32 v6, -v12, v30, v10
	v_mul_f32_e32 v8, v19, v27
	s_delay_alu instid0(TRANS32_DEP_1)
	v_fma_f32 v7, -v31, v13, 1.0
	s_wait_loadcnt 0x9
	v_dual_mul_f32 v4, v81, v11 :: v_dual_min_num_f32 v5, 0x7cf0bdc2, v5
	v_fmac_f32_e32 v30, v6, v33
	v_mul_f32_e32 v6, v23, v8
	v_fmac_f32_e32 v13, v7, v13
	v_div_scale_f32 v7, s0, 1.0, v20, 1.0
	global_store_b32 v[2:3], v4, off
	v_div_scale_f32 v8, null, v6, v6, 1.0
	s_wait_loadcnt 0x8
	v_mul_f32_e32 v4, v57, v5
	v_mul_f32_e32 v5, v7, v13
	s_delay_alu instid0(VALU_DEP_3) | instskip(NEXT) | instid1(VALU_DEP_1)
	v_rcp_f32_e32 v9, v8
	v_fma_f32 v11, -v31, v5, v7
	s_delay_alu instid0(VALU_DEP_1) | instskip(NEXT) | instid1(TRANS32_DEP_1)
	v_fmac_f32_e32 v5, v11, v13
	v_fma_f32 v11, -v8, v9, 1.0
	s_delay_alu instid0(VALU_DEP_1)
	v_fmac_f32_e32 v9, v11, v9
	s_wait_loadcnt 0x5
	v_mul_f32_e32 v11, v19, v59
	v_fma_f32 v2, -v12, v30, v10
	v_mul_f32_e32 v12, v23, v28
	s_wait_alu 0xfffd
	s_delay_alu instid0(VALU_DEP_2) | instskip(SKIP_3) | instid1(VALU_DEP_3)
	v_div_fmas_f32 v10, v2, v33, v30
	v_add_co_u32 v2, vcc_lo, s8, v14
	s_wait_alu 0xfffd
	v_add_co_ci_u32_e64 v3, null, s9, v15, vcc_lo
	v_div_fixup_f32 v10, v10, v76, 1.0
	v_div_scale_f32 v14, null, v67, v67, 1.0
	global_store_b32 v[2:3], v4, off
	s_mov_b32 vcc_lo, s0
	v_mul_f32_e32 v2, v12, v10
	v_rcp_f32_e32 v4, v14
	v_div_scale_f32 v15, null, v11, v11, 1.0
	v_div_scale_f32 v18, s0, 1.0, v67, 1.0
	s_delay_alu instid0(VALU_DEP_3) | instskip(SKIP_3) | instid1(VALU_DEP_3)
	v_min_num_f32_e32 v2, 0x7cf0bdc2, v2
	v_fma_f32 v3, -v31, v5, v7
	v_div_scale_f32 v7, s1, 1.0, v6, 1.0
	v_rcp_f32_e32 v19, v15
	v_mul_f32_e32 v10, v52, v2
	s_wait_alu 0xfffe
	v_div_fmas_f32 v3, v3, v13, v5
	v_fma_f32 v2, -v14, v4, 1.0
	v_mul_f32_e32 v5, v7, v9
	s_delay_alu instid0(VALU_DEP_3) | instskip(NEXT) | instid1(VALU_DEP_3)
	v_div_fixup_f32 v12, v3, v20, 1.0
	v_fmac_f32_e32 v4, v2, v4
	s_delay_alu instid0(VALU_DEP_3) | instskip(SKIP_2) | instid1(VALU_DEP_3)
	v_fma_f32 v13, -v8, v5, v7
	v_div_scale_f32 v20, null, v17, v17, 1.0
	v_add_co_u32 v2, vcc_lo, s8, v21
	v_fmac_f32_e32 v5, v13, v9
	s_delay_alu instid0(VALU_DEP_3)
	v_rcp_f32_e32 v13, v20
	s_wait_alu 0xfffd
	v_add_co_ci_u32_e64 v3, null, s9, v22, vcc_lo
	v_fma_f32 v22, -v15, v19, 1.0
	s_mov_b32 vcc_lo, s1
	global_store_b32 v[2:3], v10, off
	v_fma_f32 v3, -v8, v5, v7
	v_fmac_f32_e32 v19, v22, v19
	v_div_scale_f32 v8, s2, 1.0, v11, 1.0
	v_fma_f32 v10, -v20, v13, 1.0
	v_mul_f32_e32 v12, v28, v12
	s_wait_alu 0xfffe
	v_div_fmas_f32 v3, v3, v9, v5
	v_mul_f32_e32 v5, v8, v19
	s_mov_b32 vcc_lo, s0
	v_fmac_f32_e32 v13, v10, v13
	v_mul_f32_e32 v21, v18, v4
	v_div_fixup_f32 v3, v3, v6, 1.0
	v_fma_f32 v9, -v15, v5, v8
	v_min_num_f32_e32 v2, 0x7cf0bdc2, v12
	v_mul_f32_e32 v6, v16, v24
	v_fma_f32 v7, -v14, v21, v18
	v_mul_f32_e32 v3, v24, v3
	v_fmac_f32_e32 v5, v9, v19
	s_delay_alu instid0(VALU_DEP_3) | instskip(SKIP_1) | instid1(VALU_DEP_3)
	v_fmac_f32_e32 v21, v7, v4
	v_div_scale_f32 v7, s1, 1.0, v17, 1.0
	v_fma_f32 v8, -v15, v5, v8
	s_delay_alu instid0(VALU_DEP_2) | instskip(NEXT) | instid1(VALU_DEP_1)
	v_mul_f32_e32 v12, v7, v13
	v_fma_f32 v9, -v20, v12, v7
	s_delay_alu instid0(VALU_DEP_1) | instskip(SKIP_2) | instid1(VALU_DEP_1)
	v_fmac_f32_e32 v12, v9, v13
	v_fma_f32 v10, -v14, v21, v18
	s_wait_alu 0xfffe
	v_div_fmas_f32 v4, v10, v4, v21
	s_mov_b32 vcc_lo, s2
	v_mul_f32_e32 v10, v23, v6
	s_wait_alu 0xfffe
	v_div_fmas_f32 v5, v8, v19, v5
	s_mov_b32 vcc_lo, s1
	v_div_fixup_f32 v4, v4, v67, 1.0
	s_delay_alu instid0(VALU_DEP_2) | instskip(SKIP_1) | instid1(VALU_DEP_3)
	v_div_fixup_f32 v5, v5, v11, 1.0
	v_min_num_f32_e32 v8, 0x7cf0bdc2, v3
	v_mul_f32_e32 v4, v10, v4
	s_wait_loadcnt 0x3
	s_delay_alu instid0(VALU_DEP_2) | instskip(NEXT) | instid1(VALU_DEP_2)
	v_dual_mul_f32 v9, v6, v5 :: v_dual_mul_f32 v10, v79, v8
	v_min_num_f32_e32 v8, 0x7cf0bdc2, v4
	v_mul_f32_e32 v14, v74, v2
	v_fma_f32 v2, -v20, v12, v7
	s_wait_loadcnt 0x2
	s_delay_alu instid0(VALU_DEP_3) | instskip(SKIP_1) | instid1(VALU_DEP_2)
	v_dual_mul_f32 v11, v80, v8 :: v_dual_min_num_f32 v8, 0x7cf0bdc2, v9
	s_wait_alu 0xfffe
	v_div_fmas_f32 v7, v2, v13, v12
	v_add_co_u32 v2, vcc_lo, s8, v25
	s_wait_alu 0xfffd
	v_add_co_ci_u32_e64 v3, null, s9, v26, vcc_lo
	s_delay_alu instid0(VALU_DEP_3) | instskip(SKIP_3) | instid1(VALU_DEP_3)
	v_div_fixup_f32 v7, v7, v17, 1.0
	v_add_co_u32 v4, vcc_lo, s8, v38
	s_wait_alu 0xfffd
	v_add_co_ci_u32_e64 v5, null, s9, v39, vcc_lo
	v_mul_f32_e32 v9, v6, v7
	v_add_co_u32 v6, vcc_lo, s8, v44
	s_wait_alu 0xfffd
	v_add_co_ci_u32_e64 v7, null, s9, v45, vcc_lo
	s_wait_loadcnt 0x1
	v_dual_min_num_f32 v13, 0x7cf0bdc2, v9 :: v_dual_mul_f32 v12, v50, v8
	v_add_co_u32 v8, vcc_lo, s8, v40
	s_wait_alu 0xfffd
	v_add_co_ci_u32_e64 v9, null, s9, v41, vcc_lo
	v_add_co_u32 v0, vcc_lo, s8, v0
	s_wait_loadcnt 0x0
	v_mul_f32_e32 v13, v46, v13
	s_wait_alu 0xfffd
	v_add_co_ci_u32_e64 v1, null, s9, v1, vcc_lo
	s_clause 0x4
	global_store_b32 v[2:3], v14, off
	global_store_b32 v[4:5], v10, off
	;; [unrolled: 1-line block ×5, first 2 shown]
	s_endpgm
	.section	.rodata,"a",@progbits
	.p2align	6, 0x0
	.amdhsa_kernel _Z12ratt7_kernelIfEvPKT_S2_PS0_S2_S0_
		.amdhsa_group_segment_fixed_size 0
		.amdhsa_private_segment_fixed_size 0
		.amdhsa_kernarg_size 296
		.amdhsa_user_sgpr_count 2
		.amdhsa_user_sgpr_dispatch_ptr 0
		.amdhsa_user_sgpr_queue_ptr 0
		.amdhsa_user_sgpr_kernarg_segment_ptr 1
		.amdhsa_user_sgpr_dispatch_id 0
		.amdhsa_user_sgpr_private_segment_size 0
		.amdhsa_wavefront_size32 1
		.amdhsa_uses_dynamic_stack 0
		.amdhsa_enable_private_segment 0
		.amdhsa_system_sgpr_workgroup_id_x 1
		.amdhsa_system_sgpr_workgroup_id_y 0
		.amdhsa_system_sgpr_workgroup_id_z 0
		.amdhsa_system_sgpr_workgroup_info 0
		.amdhsa_system_vgpr_workitem_id 0
		.amdhsa_next_free_vgpr 94
		.amdhsa_next_free_sgpr 15
		.amdhsa_reserve_vcc 1
		.amdhsa_float_round_mode_32 0
		.amdhsa_float_round_mode_16_64 0
		.amdhsa_float_denorm_mode_32 3
		.amdhsa_float_denorm_mode_16_64 3
		.amdhsa_fp16_overflow 0
		.amdhsa_workgroup_processor_mode 1
		.amdhsa_memory_ordered 1
		.amdhsa_forward_progress 1
		.amdhsa_inst_pref_size 51
		.amdhsa_round_robin_scheduling 0
		.amdhsa_exception_fp_ieee_invalid_op 0
		.amdhsa_exception_fp_denorm_src 0
		.amdhsa_exception_fp_ieee_div_zero 0
		.amdhsa_exception_fp_ieee_overflow 0
		.amdhsa_exception_fp_ieee_underflow 0
		.amdhsa_exception_fp_ieee_inexact 0
		.amdhsa_exception_int_div_zero 0
	.end_amdhsa_kernel
	.section	.text._Z12ratt7_kernelIfEvPKT_S2_PS0_S2_S0_,"axG",@progbits,_Z12ratt7_kernelIfEvPKT_S2_PS0_S2_S0_,comdat
.Lfunc_end8:
	.size	_Z12ratt7_kernelIfEvPKT_S2_PS0_S2_S0_, .Lfunc_end8-_Z12ratt7_kernelIfEvPKT_S2_PS0_S2_S0_
                                        ; -- End function
	.set _Z12ratt7_kernelIfEvPKT_S2_PS0_S2_S0_.num_vgpr, 94
	.set _Z12ratt7_kernelIfEvPKT_S2_PS0_S2_S0_.num_agpr, 0
	.set _Z12ratt7_kernelIfEvPKT_S2_PS0_S2_S0_.numbered_sgpr, 15
	.set _Z12ratt7_kernelIfEvPKT_S2_PS0_S2_S0_.num_named_barrier, 0
	.set _Z12ratt7_kernelIfEvPKT_S2_PS0_S2_S0_.private_seg_size, 0
	.set _Z12ratt7_kernelIfEvPKT_S2_PS0_S2_S0_.uses_vcc, 1
	.set _Z12ratt7_kernelIfEvPKT_S2_PS0_S2_S0_.uses_flat_scratch, 0
	.set _Z12ratt7_kernelIfEvPKT_S2_PS0_S2_S0_.has_dyn_sized_stack, 0
	.set _Z12ratt7_kernelIfEvPKT_S2_PS0_S2_S0_.has_recursion, 0
	.set _Z12ratt7_kernelIfEvPKT_S2_PS0_S2_S0_.has_indirect_call, 0
	.section	.AMDGPU.csdata,"",@progbits
; Kernel info:
; codeLenInByte = 6420
; TotalNumSgprs: 17
; NumVgprs: 94
; ScratchSize: 0
; MemoryBound: 0
; FloatMode: 240
; IeeeMode: 1
; LDSByteSize: 0 bytes/workgroup (compile time only)
; SGPRBlocks: 0
; VGPRBlocks: 11
; NumSGPRsForWavesPerEU: 17
; NumVGPRsForWavesPerEU: 94
; Occupancy: 16
; WaveLimiterHint : 0
; COMPUTE_PGM_RSRC2:SCRATCH_EN: 0
; COMPUTE_PGM_RSRC2:USER_SGPR: 2
; COMPUTE_PGM_RSRC2:TRAP_HANDLER: 0
; COMPUTE_PGM_RSRC2:TGID_X_EN: 1
; COMPUTE_PGM_RSRC2:TGID_Y_EN: 0
; COMPUTE_PGM_RSRC2:TGID_Z_EN: 0
; COMPUTE_PGM_RSRC2:TIDIG_COMP_CNT: 0
	.section	.text._Z12ratt8_kernelIfEvPKT_S2_PS0_S2_S0_,"axG",@progbits,_Z12ratt8_kernelIfEvPKT_S2_PS0_S2_S0_,comdat
	.protected	_Z12ratt8_kernelIfEvPKT_S2_PS0_S2_S0_ ; -- Begin function _Z12ratt8_kernelIfEvPKT_S2_PS0_S2_S0_
	.globl	_Z12ratt8_kernelIfEvPKT_S2_PS0_S2_S0_
	.p2align	8
	.type	_Z12ratt8_kernelIfEvPKT_S2_PS0_S2_S0_,@function
_Z12ratt8_kernelIfEvPKT_S2_PS0_S2_S0_:  ; @_Z12ratt8_kernelIfEvPKT_S2_PS0_S2_S0_
; %bb.0:
	s_clause 0x3
	s_load_b32 s2, s[0:1], 0x34
	s_load_b32 s3, s[0:1], 0x28
	s_load_b256 s[4:11], s[0:1], 0x0
	s_load_b32 s0, s[0:1], 0x20
	s_wait_kmcnt 0x0
	s_and_b32 s2, s2, 0xffff
	s_delay_alu instid0(SALU_CYCLE_1)
	v_mad_co_u64_u32 v[0:1], null, ttmp9, s2, v[0:1]
	s_mul_i32 s2, s3, s2
	s_wait_alu 0xfffe
	s_lshl_b32 s12, s2, 1
	v_mov_b32_e32 v1, 0
	s_mul_i32 s13, s2, 21
	s_mul_i32 s3, s2, 0x92
	v_add_nc_u32_e32 v8, s12, v0
	s_mul_i32 s14, s2, 3
	v_lshlrev_b64_e32 v[4:5], 2, v[0:1]
	v_mov_b32_e32 v9, v1
	v_mov_b32_e32 v11, v1
	;; [unrolled: 1-line block ×3, first 2 shown]
	v_dual_mov_b32 v27, v1 :: v_dual_add_nc_u32 v0, s2, v0
	s_delay_alu instid0(VALU_DEP_4) | instskip(SKIP_1) | instid1(VALU_DEP_1)
	v_mad_co_u64_u32 v[6:7], null, s2, 24, v[8:9]
	v_add_co_u32 v2, vcc_lo, s4, v4
	v_add_co_ci_u32_e64 v3, null, s5, v5, vcc_lo
	s_mul_i32 s4, s2, 0xffffff6f
	v_mov_b32_e32 v7, v1
	v_lshlrev_b64_e32 v[28:29], 2, v[0:1]
	global_load_b32 v39, v[2:3], off
	s_mul_i32 s5, s2, 0xffffff79
	s_mul_i32 s1, s2, 0x87
	v_mad_co_u64_u32 v[2:3], null, 0xffffffea, s2, v[6:7]
	v_dual_mov_b32 v3, v1 :: v_dual_add_nc_u32 v0, s13, v0
	s_delay_alu instid0(VALU_DEP_2) | instskip(NEXT) | instid1(VALU_DEP_2)
	v_add_nc_u32_e32 v10, s13, v2
	v_lshlrev_b64_e32 v[2:3], 2, v[2:3]
	v_lshlrev_b64_e32 v[8:9], 2, v[8:9]
	s_mul_i32 s13, s2, 0x88
	v_mad_co_u64_u32 v[30:31], null, 0x85, s2, v[0:1]
	v_lshlrev_b64_e32 v[11:12], 2, v[10:11]
	s_delay_alu instid0(VALU_DEP_4) | instskip(SKIP_2) | instid1(VALU_DEP_3)
	v_add_co_u32 v2, vcc_lo, s10, v2
	s_wait_alu 0xfffd
	v_add_co_ci_u32_e64 v3, null, s11, v3, vcc_lo
	v_add_co_u32 v11, vcc_lo, s10, v11
	s_wait_alu 0xfffd
	v_add_co_ci_u32_e64 v12, null, s11, v12, vcc_lo
	s_clause 0x1
	global_load_b32 v32, v[2:3], off
	global_load_b32 v37, v[11:12], off
	v_mad_co_u64_u32 v[13:14], null, 0x7d, s2, v[10:11]
	v_dual_mov_b32 v3, v1 :: v_dual_mov_b32 v12, v1
	s_wait_alu 0xfffe
	s_delay_alu instid0(VALU_DEP_2) | instskip(SKIP_1) | instid1(VALU_DEP_2)
	v_add_nc_u32_e32 v2, s4, v13
	v_lshlrev_b64_e32 v[14:15], 2, v[6:7]
	v_lshlrev_b64_e32 v[10:11], 2, v[2:3]
	v_add_nc_u32_e32 v20, s3, v2
	s_delay_alu instid0(VALU_DEP_2) | instskip(SKIP_1) | instid1(VALU_DEP_3)
	v_add_co_u32 v10, vcc_lo, s10, v10
	s_wait_alu 0xfffd
	v_add_co_ci_u32_e64 v11, null, s11, v11, vcc_lo
	global_load_b32 v33, v[10:11], off
	v_mad_co_u64_u32 v[10:11], null, 0xffffff6c, s2, v[20:21]
	s_delay_alu instid0(VALU_DEP_1) | instskip(NEXT) | instid1(VALU_DEP_1)
	v_add_nc_u32_e32 v11, s14, v10
	v_lshlrev_b64_e32 v[2:3], 2, v[11:12]
	v_add_nc_u32_e32 v26, s3, v11
	s_delay_alu instid0(VALU_DEP_2) | instskip(SKIP_1) | instid1(VALU_DEP_3)
	v_add_co_u32 v2, vcc_lo, s10, v2
	s_wait_alu 0xfffd
	v_add_co_ci_u32_e64 v3, null, s11, v3, vcc_lo
	v_add_co_u32 v22, vcc_lo, s10, v14
	s_wait_alu 0xfffd
	v_add_co_ci_u32_e64 v23, null, s11, v15, vcc_lo
	global_load_b32 v34, v[2:3], off
	v_add_co_u32 v18, vcc_lo, s10, v8
	v_mad_co_u64_u32 v[24:25], null, 0xffffff75, s2, v[26:27]
	s_wait_alu 0xfffd
	v_add_co_ci_u32_e64 v19, null, s11, v9, vcc_lo
	v_dual_mov_b32 v14, v1 :: v_dual_mov_b32 v25, v1
	s_clause 0x1
	global_load_b32 v45, v[22:23], off
	global_load_b32 v42, v[18:19], off
	v_add_nc_u32_e32 v11, s14, v24
	v_lshlrev_b64_e32 v[16:17], 2, v[13:14]
	v_lshlrev_b64_e32 v[8:9], 2, v[24:25]
	s_delay_alu instid0(VALU_DEP_3) | instskip(NEXT) | instid1(VALU_DEP_3)
	v_lshlrev_b64_e32 v[22:23], 2, v[11:12]
	v_add_co_u32 v13, vcc_lo, s6, v16
	s_wait_alu 0xfffd
	s_delay_alu instid0(VALU_DEP_4) | instskip(NEXT) | instid1(VALU_DEP_4)
	v_add_co_ci_u32_e64 v14, null, s7, v17, vcc_lo
	v_add_co_u32 v8, vcc_lo, s10, v8
	s_wait_alu 0xfffd
	v_add_co_ci_u32_e64 v9, null, s11, v9, vcc_lo
	global_load_b32 v48, v[13:14], off
	global_load_b32 v36, v[8:9], off
	v_mad_co_u64_u32 v[12:13], null, 0x89, s2, v[11:12]
	v_mov_b32_e32 v11, v1
	v_lshlrev_b64_e32 v[14:15], 2, v[0:1]
	v_dual_mov_b32 v13, v1 :: v_dual_add_nc_u32 v0, s5, v30
	v_add_co_u32 v8, vcc_lo, s10, v22
	s_delay_alu instid0(VALU_DEP_4) | instskip(NEXT) | instid1(VALU_DEP_3)
	v_lshlrev_b64_e32 v[40:41], 2, v[10:11]
	v_lshlrev_b64_e32 v[50:51], 2, v[0:1]
	v_add_nc_u32_e32 v0, s13, v0
	v_mad_co_u64_u32 v[10:11], null, 0xffffff7c, s2, v[12:13]
	s_wait_alu 0xfffd
	v_add_co_ci_u32_e64 v9, null, s11, v23, vcc_lo
	v_add_co_u32 v4, vcc_lo, s10, v4
	v_lshlrev_b64_e32 v[22:23], 2, v[20:21]
	s_wait_alu 0xfffd
	v_add_co_ci_u32_e64 v5, null, s11, v5, vcc_lo
	v_subrev_nc_u32_e32 v6, s12, v10
	v_add_co_u32 v24, vcc_lo, s10, v14
	s_wait_alu 0xfffd
	v_add_co_ci_u32_e64 v25, null, s11, v15, vcc_lo
	v_add_co_u32 v14, vcc_lo, s10, v40
	s_wait_alu 0xfffd
	v_add_co_ci_u32_e64 v15, null, s11, v41, vcc_lo
	v_add_co_u32 v20, vcc_lo, s6, v22
	v_lshlrev_b64_e32 v[46:47], 2, v[6:7]
	s_wait_alu 0xfffd
	v_add_co_ci_u32_e64 v21, null, s7, v23, vcc_lo
	s_clause 0x2
	global_load_b32 v44, v[8:9], off
	global_load_b32 v40, v[24:25], off
	global_load_b32 v38, v[14:15], off
	global_load_b32 v49, v[20:21], off
	v_lshlrev_b64_e32 v[20:21], 2, v[26:27]
	v_add_co_u32 v26, vcc_lo, s10, v46
	s_wait_alu 0xfffd
	v_add_co_ci_u32_e64 v27, null, s11, v47, vcc_lo
	s_clause 0x1
	global_load_b32 v46, v[4:5], off
	global_load_b32 v35, v[26:27], off
	v_add_co_u32 v52, vcc_lo, s6, v20
	s_wait_alu 0xfffd
	v_add_co_ci_u32_e64 v53, null, s7, v21, vcc_lo
	v_add_co_u32 v26, vcc_lo, s10, v50
	s_wait_alu 0xfffd
	v_add_co_ci_u32_e64 v27, null, s11, v51, vcc_lo
	global_load_b32 v47, v[52:53], off
	global_load_b32 v43, v[26:27], off
	v_add_co_u32 v28, vcc_lo, s10, v28
	v_mov_b32_e32 v31, v1
	s_wait_alu 0xfffd
	v_add_co_ci_u32_e64 v29, null, s11, v29, vcc_lo
	s_clause 0x2
	global_load_b32 v41, v[28:29], off
	global_load_b32 v50, v[24:25], off
	;; [unrolled: 1-line block ×3, first 2 shown]
	v_lshlrev_b64_e32 v[28:29], 2, v[0:1]
	v_add_nc_u32_e32 v0, s2, v0
	v_lshlrev_b64_e32 v[30:31], 2, v[30:31]
	v_lshlrev_b64_e32 v[68:69], 2, v[12:13]
	v_dual_mov_b32 v11, v1 :: v_dual_add_nc_u32 v6, s1, v6
	s_delay_alu instid0(VALU_DEP_4) | instskip(NEXT) | instid1(VALU_DEP_4)
	v_mad_co_u64_u32 v[52:53], null, 0xffffff6e, s2, v[0:1]
	v_add_co_u32 v24, vcc_lo, s6, v30
	s_wait_alu 0xfffd
	v_add_co_ci_u32_e64 v25, null, s7, v31, vcc_lo
	v_add_co_u32 v30, vcc_lo, s8, v30
	s_wait_alu 0xfffd
	v_add_co_ci_u32_e64 v31, null, s9, v31, vcc_lo
	global_load_b32 v57, v[24:25], off
	v_lshlrev_b64_e32 v[24:25], 2, v[0:1]
	v_add_co_u32 v54, vcc_lo, s6, v28
	v_mov_b32_e32 v53, v1
	v_lshl_add_u32 v0, s2, 2, v52
	s_wait_alu 0xfffd
	v_add_co_ci_u32_e64 v55, null, s7, v29, vcc_lo
	s_clause 0x1
	global_load_b32 v27, v[26:27], off
	global_load_b32 v26, v[18:19], off
	v_add_co_u32 v18, vcc_lo, s6, v24
	s_wait_alu 0xfffd
	v_add_co_ci_u32_e64 v19, null, s7, v25, vcc_lo
	v_add_co_u32 v60, vcc_lo, s8, v16
	s_wait_alu 0xfffd
	v_add_co_ci_u32_e64 v61, null, s9, v17, vcc_lo
	v_lshlrev_b64_e32 v[16:17], 2, v[52:53]
	v_mad_co_u64_u32 v[52:53], null, 0x8f, s2, v[0:1]
	v_mov_b32_e32 v53, v1
	s_clause 0x1
	global_load_b32 v80, v[54:55], off
	global_load_b32 v81, v[18:19], off
	v_lshlrev_b64_e32 v[18:19], 2, v[0:1]
	v_add_co_u32 v16, vcc_lo, s10, v16
	s_wait_alu 0xfffd
	v_add_co_ci_u32_e64 v17, null, s11, v17, vcc_lo
	v_mad_co_u64_u32 v[54:55], null, 0xffffff6b, s2, v[52:53]
	v_mov_b32_e32 v55, v1
	v_add_co_u32 v62, vcc_lo, s8, v22
	s_wait_alu 0xfffd
	v_add_co_ci_u32_e64 v63, null, s9, v23, vcc_lo
	v_add_co_u32 v22, vcc_lo, s10, v18
	v_lshlrev_b64_e32 v[55:56], 2, v[54:55]
	s_wait_alu 0xfffd
	v_add_co_ci_u32_e64 v23, null, s11, v19, vcc_lo
	v_lshlrev_b64_e32 v[18:19], 2, v[52:53]
	s_clause 0x2
	global_load_b32 v82, v[16:17], off
	global_load_b32 v53, v[22:23], off
	;; [unrolled: 1-line block ×3, first 2 shown]
	v_mad_co_u64_u32 v[64:65], null, 0x96, s2, v[54:55]
	v_lshlrev_b64_e32 v[10:11], 2, v[10:11]
	v_add_co_u32 v16, vcc_lo, s6, v18
	s_wait_alu 0xfffd
	v_add_co_ci_u32_e64 v17, null, s7, v19, vcc_lo
	v_add_co_u32 v66, vcc_lo, s8, v20
	s_wait_alu 0xfffd
	v_add_co_ci_u32_e64 v67, null, s9, v21, vcc_lo
	global_load_b32 v59, v[16:17], off
	v_add_co_u32 v16, vcc_lo, s10, v55
	v_add_nc_u32_e32 v0, s2, v64
	s_wait_alu 0xfffd
	v_add_co_ci_u32_e64 v17, null, s11, v56, vcc_lo
	s_clause 0x2
	global_load_b32 v22, v[2:3], off
	global_load_b32 v52, v[14:15], off
	;; [unrolled: 1-line block ×3, first 2 shown]
	v_lshlrev_b64_e32 v[16:17], 2, v[0:1]
	v_add_nc_u32_e32 v0, s2, v0
	global_load_b32 v12, v[8:9], off
	v_lshlrev_b64_e32 v[6:7], 2, v[6:7]
	v_mad_co_u64_u32 v[55:56], null, 0xffffff7a, s2, v[0:1]
	v_mov_b32_e32 v65, v1
	v_lshlrev_b64_e32 v[14:15], 2, v[0:1]
	v_mov_b32_e32 v56, v1
	s_delay_alu instid0(VALU_DEP_4) | instskip(NEXT) | instid1(VALU_DEP_4)
	v_add_nc_u32_e32 v0, s1, v55
	v_lshlrev_b64_e32 v[20:21], 2, v[64:65]
	s_delay_alu instid0(VALU_DEP_3) | instskip(NEXT) | instid1(VALU_DEP_3)
	v_lshlrev_b64_e32 v[72:73], 2, v[55:56]
	v_lshlrev_b64_e32 v[8:9], 2, v[0:1]
	v_add_nc_u32_e32 v0, s2, v0
	s_delay_alu instid0(VALU_DEP_4)
	v_add_co_u32 v2, vcc_lo, s6, v20
	s_wait_alu 0xfffd
	v_add_co_ci_u32_e64 v3, null, s7, v21, vcc_lo
	v_add_co_u32 v64, vcc_lo, s6, v16
	s_wait_alu 0xfffd
	v_add_co_ci_u32_e64 v65, null, s7, v17, vcc_lo
	;; [unrolled: 3-line block ×5, first 2 shown]
	s_clause 0x2
	global_load_b32 v83, v[2:3], off
	global_load_b32 v58, v[64:65], off
	;; [unrolled: 1-line block ×3, first 2 shown]
	v_add_co_u32 v64, vcc_lo, s10, v72
	s_wait_alu 0xfffd
	v_add_co_ci_u32_e64 v65, null, s11, v73, vcc_lo
	v_add_co_u32 v70, vcc_lo, s10, v10
	s_wait_alu 0xfffd
	v_add_co_ci_u32_e64 v71, null, s11, v11, vcc_lo
	;; [unrolled: 3-line block ×3, first 2 shown]
	global_load_b32 v84, v[74:75], off
	v_lshlrev_b64_e32 v[2:3], 2, v[0:1]
	v_add_nc_u32_e32 v0, s5, v0
	global_load_b32 v55, v[10:11], off
	v_add_co_u32 v74, vcc_lo, s6, v6
	s_wait_alu 0xfffd
	v_add_co_ci_u32_e64 v75, null, s7, v7, vcc_lo
	v_add_co_u32 v76, vcc_lo, s8, v6
	s_wait_alu 0xfffd
	v_add_co_ci_u32_e64 v77, null, s9, v7, vcc_lo
	s_wait_loadcnt 0x25
	v_mul_f32_e32 v13, s0, v39
	s_clause 0x1
	global_load_b32 v39, v[70:71], off
	global_load_b32 v11, v[4:5], off
	v_lshlrev_b64_e32 v[72:73], 2, v[0:1]
	v_dual_mul_f32 v13, 0x4c9e9632, v13 :: v_dual_add_nc_u32 v0, s13, v0
	s_delay_alu instid0(VALU_DEP_1) | instskip(NEXT) | instid1(VALU_DEP_2)
	v_mad_co_u64_u32 v[6:7], null, 0xffffff66, s2, v[0:1]
	v_div_scale_f32 v85, null, v13, v13, 1.0
	v_mov_b32_e32 v7, v1
	v_lshlrev_b64_e32 v[4:5], 2, v[0:1]
	v_add_co_u32 v72, s0, s10, v72
	s_delay_alu instid0(VALU_DEP_4)
	v_rcp_f32_e32 v86, v85
	v_add_nc_u32_e32 v0, s12, v6
	v_lshlrev_b64_e32 v[78:79], 2, v[6:7]
	v_div_scale_f32 v88, vcc_lo, 1.0, v13, 1.0
	s_wait_alu 0xf1ff
	v_add_co_ci_u32_e64 v73, null, s11, v73, s0
	s_delay_alu instid0(VALU_DEP_3) | instskip(NEXT) | instid1(TRANS32_DEP_1)
	v_add_co_u32 v78, s0, s10, v78
	v_fma_f32 v10, -v85, v86, 1.0
	s_wait_alu 0xf1ff
	v_add_co_ci_u32_e64 v79, null, s11, v79, s0
	s_wait_loadcnt 0x25
	s_delay_alu instid0(VALU_DEP_2) | instskip(SKIP_3) | instid1(VALU_DEP_2)
	v_dual_mul_f32 v87, v32, v37 :: v_dual_fmac_f32 v86, v10, v86
	global_load_b32 v78, v[78:79], off
	v_div_scale_f32 v89, null, v87, v87, 1.0
	v_mul_f32_e32 v7, v88, v86
	v_rcp_f32_e32 v90, v89
	s_delay_alu instid0(VALU_DEP_1) | instskip(NEXT) | instid1(VALU_DEP_1)
	v_fma_f32 v6, -v85, v7, v88
	v_fmac_f32_e32 v7, v6, v86
	s_delay_alu instid0(TRANS32_DEP_1) | instskip(NEXT) | instid1(VALU_DEP_2)
	v_fma_f32 v10, -v89, v90, 1.0
	v_fma_f32 v6, -v85, v7, v88
	global_load_b32 v85, v[74:75], off
	v_fmac_f32_e32 v90, v10, v90
	v_div_scale_f32 v93, s0, 1.0, v87, 1.0
	global_load_b32 v10, v[70:71], off
	s_wait_alu 0xfffd
	v_div_fmas_f32 v86, v6, v86, v7
	v_add_co_u32 v6, vcc_lo, s6, v2
	v_mul_f32_e32 v70, v93, v90
	s_wait_alu 0xfffd
	v_add_co_ci_u32_e64 v7, null, s7, v3, vcc_lo
	s_mov_b32 vcc_lo, s0
	v_fma_f32 v71, -v89, v70, v93
	s_wait_loadcnt 0x27
	s_delay_alu instid0(VALU_DEP_1) | instskip(NEXT) | instid1(VALU_DEP_1)
	v_dual_mul_f32 v91, v37, v33 :: v_dual_fmac_f32 v70, v71, v90
	v_div_scale_f32 v92, null, v91, v91, 1.0
	s_delay_alu instid0(VALU_DEP_1) | instskip(SKIP_3) | instid1(VALU_DEP_2)
	v_rcp_f32_e32 v94, v92
	s_wait_loadcnt 0x26
	v_mul_f32_e32 v88, v37, v34
	v_fma_f32 v37, -v89, v70, v93
	v_div_scale_f32 v89, null, v88, v88, 1.0
	s_wait_alu 0xfffe
	s_delay_alu instid0(VALU_DEP_2)
	v_div_fmas_f32 v70, v37, v90, v70
	global_load_b32 v37, v[6:7], off
	v_fma_f32 v74, -v92, v94, 1.0
	v_rcp_f32_e32 v90, v89
	v_div_fixup_f32 v7, v70, v87, 1.0
	s_wait_loadcnt 0x25
	v_mul_f32_e32 v70, v42, v45
	v_fmac_f32_e32 v94, v74, v94
	v_div_scale_f32 v74, s1, 1.0, v91, 1.0
	s_mov_b32 vcc_lo, s1
	v_mul_f32_e32 v75, v74, v94
	s_delay_alu instid0(VALU_DEP_1) | instskip(NEXT) | instid1(VALU_DEP_1)
	v_fma_f32 v6, -v92, v75, v74
	v_fmac_f32_e32 v75, v6, v94
	v_fma_f32 v6, -v89, v90, 1.0
	s_delay_alu instid0(VALU_DEP_1) | instskip(SKIP_3) | instid1(VALU_DEP_3)
	v_fmac_f32_e32 v90, v6, v90
	v_mul_f32_e32 v6, v70, v7
	v_mad_co_u64_u32 v[70:71], null, 0x99, s2, v[0:1]
	v_div_scale_f32 v71, s0, 1.0, v88, 1.0
	v_min_num_f32_e32 v6, 0x7cf0bdc2, v6
	v_fma_f32 v7, -v92, v75, v74
	global_load_b32 v92, v[72:73], off
	s_wait_loadcnt 0x25
	v_mul_f32_e32 v6, v48, v6
	v_mul_f32_e32 v48, v71, v90
	global_store_b32 v[60:61], v6, off
	v_fma_f32 v72, -v89, v48, v71
	s_delay_alu instid0(VALU_DEP_1)
	v_fmac_f32_e32 v48, v72, v90
	v_mul_f32_e32 v72, v45, v32
	s_wait_alu 0xfffe
	v_div_fmas_f32 v87, v7, v94, v75
	v_lshlrev_b64_e32 v[74:75], 2, v[0:1]
	s_mov_b32 vcc_lo, s0
	v_fma_f32 v71, -v89, v48, v71
	v_div_fixup_f32 v7, v86, v13, 1.0
	v_div_fixup_f32 v73, v87, v91, 1.0
	s_wait_loadcnt 0x24
	v_mul_f32_e32 v86, v32, v36
	s_wait_alu 0xfffe
	v_div_fmas_f32 v48, v71, v90, v48
	v_add_co_u32 v71, vcc_lo, s10, v74
	v_mul_f32_e32 v73, v72, v73
	s_wait_alu 0xfffd
	v_add_co_ci_u32_e64 v72, null, s11, v75, vcc_lo
	v_div_fixup_f32 v48, v48, v88, 1.0
	s_wait_loadcnt 0x21
	v_dual_mul_f32 v88, v45, v38 :: v_dual_min_num_f32 v75, 0x7cf0bdc2, v73
	v_mul_f32_e32 v13, 0x49776020, v7
	global_load_b32 v72, v[71:72], off
	s_wait_loadcnt 0x21
	v_dual_mul_f32 v48, v88, v48 :: v_dual_mul_f32 v45, v49, v75
	s_wait_loadcnt 0x1d
	v_mul_f32_e32 v33, v33, v43
	global_store_b32 v[62:63], v45, off
	v_mul_f32_e32 v63, v46, v35
	v_mul_f32_e32 v86, v86, v44
	s_delay_alu instid0(VALU_DEP_2) | instskip(NEXT) | instid1(VALU_DEP_2)
	v_dual_min_num_f32 v62, 0x7cf0bdc2, v48 :: v_dual_mul_f32 v63, v13, v63
	v_mul_f32_e32 v86, v13, v86
	s_delay_alu instid0(VALU_DEP_2) | instskip(NEXT) | instid1(VALU_DEP_2)
	v_mul_f32_e32 v47, v47, v62
	v_div_scale_f32 v75, vcc_lo, 1.0, v86, 1.0
	v_add_nc_u32_e32 v0, s2, v70
	v_div_scale_f32 v93, null, v86, v86, 1.0
	global_store_b32 v[66:67], v47, off
	v_lshlrev_b64_e32 v[6:7], 2, v[0:1]
	v_add_nc_u32_e32 v0, s2, v0
	v_rcp_f32_e32 v87, v93
	s_delay_alu instid0(VALU_DEP_1) | instskip(SKIP_1) | instid1(VALU_DEP_1)
	v_mad_co_u64_u32 v[60:61], null, 0xffffff77, s2, v[0:1]
	v_mov_b32_e32 v61, v1
	v_lshlrev_b64_e32 v[73:74], 2, v[60:61]
	s_delay_alu instid0(TRANS32_DEP_1) | instskip(NEXT) | instid1(VALU_DEP_1)
	v_fma_f32 v61, -v93, v87, 1.0
	v_fmac_f32_e32 v87, v61, v87
	v_div_scale_f32 v61, null, v40, v40, 1.0
	s_delay_alu instid0(VALU_DEP_4) | instskip(NEXT) | instid1(VALU_DEP_3)
	v_add_co_u32 v48, s0, s10, v73
	v_mul_f32_e32 v45, v75, v87
	s_delay_alu instid0(VALU_DEP_3)
	v_rcp_f32_e32 v73, v61
	s_wait_alu 0xf1ff
	v_add_co_ci_u32_e64 v49, null, s11, v74, s0
	v_mul_f32_e32 v74, v46, v43
	v_fma_f32 v62, -v93, v45, v75
	v_div_scale_f32 v46, null, v63, v63, 1.0
	v_div_scale_f32 v67, s0, 1.0, v40, 1.0
	s_delay_alu instid0(VALU_DEP_3) | instskip(NEXT) | instid1(TRANS32_DEP_1)
	v_fmac_f32_e32 v45, v62, v87
	v_fma_f32 v47, -v61, v73, 1.0
	v_div_scale_f32 v89, null, v74, v74, 1.0
	v_rcp_f32_e32 v62, v46
	s_delay_alu instid0(VALU_DEP_3) | instskip(NEXT) | instid1(VALU_DEP_3)
	v_fma_f32 v66, -v93, v45, v75
	v_fmac_f32_e32 v73, v47, v73
	s_delay_alu instid0(VALU_DEP_3)
	v_rcp_f32_e32 v47, v89
	v_mul_f32_e32 v93, v32, v43
	global_load_b32 v48, v[48:49], off
	s_wait_alu 0xfffd
	v_div_fmas_f32 v75, v66, v87, v45
	global_load_b32 v87, v[64:65], off
	v_mul_f32_e32 v66, v67, v73
	v_div_scale_f32 v94, null, v93, v93, 1.0
	v_fma_f32 v45, -v46, v62, 1.0
	v_div_fixup_f32 v75, v75, v86, 1.0
	v_fma_f32 v71, -v89, v47, 1.0
	v_fma_f32 v79, -v61, v66, v67
	s_delay_alu instid0(VALU_DEP_2)
	v_dual_fmac_f32 v47, v71, v47 :: v_dual_fmac_f32 v62, v45, v62
	v_div_scale_f32 v45, vcc_lo, 1.0, v63, 1.0
	s_wait_loadcnt 0xf
	v_mul_f32_e32 v12, v23, v12
	s_wait_loadcnt 0x9
	v_mul_f32_e32 v86, v39, v41
	v_dual_fmac_f32 v66, v79, v73 :: v_dual_mul_f32 v79, v45, v62
	v_mul_f32_e32 v38, v38, v39
	s_delay_alu instid0(VALU_DEP_2) | instskip(NEXT) | instid1(VALU_DEP_3)
	v_fma_f32 v67, -v61, v66, v67
	v_fma_f32 v71, -v46, v79, v45
	s_delay_alu instid0(VALU_DEP_1) | instskip(SKIP_2) | instid1(VALU_DEP_3)
	v_fmac_f32_e32 v79, v71, v62
	v_mov_b32_e32 v71, v1
	v_div_scale_f32 v90, s1, 1.0, v74, 1.0
	v_fma_f32 v45, -v46, v79, v45
	s_wait_alu 0xfffd
	s_delay_alu instid0(VALU_DEP_1)
	v_div_fmas_f32 v79, v45, v62, v79
	v_add_co_u32 v45, vcc_lo, s6, v4
	s_wait_alu 0xfffd
	v_add_co_ci_u32_e64 v46, null, s7, v5, vcc_lo
	v_lshlrev_b64_e32 v[61:62], 2, v[70:71]
	v_mul_f32_e32 v70, v90, v47
	s_mov_b32 vcc_lo, s0
	s_wait_alu 0xfffe
	v_div_fmas_f32 v71, v67, v73, v66
	global_load_b32 v73, v[45:46], off
	v_fma_f32 v45, -v89, v70, v90
	v_add_co_u32 v66, vcc_lo, s6, v61
	s_wait_alu 0xfffd
	v_add_co_ci_u32_e64 v67, null, s7, v62, vcc_lo
	s_delay_alu instid0(VALU_DEP_3)
	v_fmac_f32_e32 v70, v45, v47
	v_mad_co_u64_u32 v[45:46], null, 0x8a, s2, v[60:61]
	s_mov_b32 vcc_lo, s1
	global_load_b32 v91, v[66:67], off
	v_fma_f32 v46, -v89, v70, v90
	v_lshlrev_b64_e32 v[66:67], 2, v[0:1]
	v_rcp_f32_e32 v60, v94
	s_wait_alu 0xfffe
	s_delay_alu instid0(VALU_DEP_2) | instskip(SKIP_4) | instid1(VALU_DEP_4)
	v_div_fmas_f32 v70, v46, v47, v70
	v_div_fixup_f32 v46, v79, v63, 1.0
	v_mul_f32_e32 v47, v13, v86
	v_div_fixup_f32 v63, v71, v40, 1.0
	v_dual_mul_f32 v71, v88, v75 :: v_dual_add_nc_u32 v0, s4, v45
	v_mul_f32_e32 v75, v39, v46
	v_div_fixup_f32 v70, v70, v74, 1.0
	s_delay_alu instid0(VALU_DEP_4) | instskip(NEXT) | instid1(VALU_DEP_4)
	v_mul_f32_e32 v63, v47, v63
	v_lshlrev_b64_e32 v[46:47], 2, v[0:1]
	s_delay_alu instid0(VALU_DEP_2) | instskip(NEXT) | instid1(VALU_DEP_2)
	v_min_num_f32_e32 v63, 0x7cf0bdc2, v63
	v_add_co_u32 v46, s0, s10, v46
	s_wait_alu 0xf1ff
	s_delay_alu instid0(VALU_DEP_3) | instskip(NEXT) | instid1(VALU_DEP_3)
	v_add_co_ci_u32_e64 v47, null, s11, v47, s0
	v_mul_f32_e32 v57, v57, v63
	v_mul_f32_e32 v63, v82, v53
	global_load_b32 v82, v[46:47], off
	v_fma_f32 v49, -v94, v60, 1.0
	v_add_co_u32 v46, s0, s6, v6
	s_wait_alu 0xf1ff
	v_add_co_ci_u32_e64 v47, null, s7, v7, s0
	s_delay_alu instid0(VALU_DEP_3) | instskip(SKIP_2) | instid1(VALU_DEP_3)
	v_dual_fmac_f32 v60, v49, v60 :: v_dual_min_num_f32 v49, 0x7cf0bdc2, v71
	v_min_num_f32_e32 v71, 0x7cf0bdc2, v75
	v_div_scale_f32 v75, vcc_lo, 1.0, v93, 1.0
	v_dual_mul_f32 v70, v86, v70 :: v_dual_mul_f32 v49, v84, v49
	s_wait_loadcnt 0x9
	s_delay_alu instid0(VALU_DEP_2)
	v_dual_mul_f32 v71, v85, v71 :: v_dual_mul_f32 v74, v75, v60
	global_load_b32 v86, v[46:47], off
	v_min_num_f32_e32 v70, 0x7cf0bdc2, v70
	s_clause 0x2
	global_store_b32 v[68:69], v49, off
	global_store_b32 v[76:77], v71, off
	;; [unrolled: 1-line block ×3, first 2 shown]
	v_dual_mul_f32 v49, v44, v54 :: v_dual_mov_b32 v46, v1
	v_fma_f32 v84, -v94, v74, v75
	v_dual_mul_f32 v47, v80, v70 :: v_dual_mul_f32 v68, v42, v39
	s_delay_alu instid0(VALU_DEP_3) | instskip(NEXT) | instid1(VALU_DEP_3)
	v_div_scale_f32 v57, null, v49, v49, 1.0
	v_fmac_f32_e32 v74, v84, v60
	v_div_scale_f32 v79, null, v63, v63, 1.0
	s_delay_alu instid0(VALU_DEP_3) | instskip(SKIP_1) | instid1(VALU_DEP_2)
	v_rcp_f32_e32 v42, v57
	v_add_co_u32 v28, s0, s8, v28
	v_rcp_f32_e32 v85, v79
	v_fma_f32 v30, -v94, v74, v75
	s_wait_alu 0xf1ff
	v_add_co_ci_u32_e64 v29, null, s9, v29, s0
	global_load_b32 v64, v[64:65], off
	s_wait_alu 0xfffd
	v_div_fmas_f32 v44, v30, v60, v74
	v_add_co_u32 v30, vcc_lo, s6, v66
	v_fma_f32 v74, -v57, v42, 1.0
	v_fma_f32 v31, -v79, v85, 1.0
	global_store_b32 v[28:29], v47, off
	v_fmac_f32_e32 v85, v31, v85
	s_wait_alu 0xfffd
	v_add_co_ci_u32_e64 v31, null, s7, v67, vcc_lo
	v_div_scale_f32 v60, vcc_lo, 1.0, v63, 1.0
	global_load_b32 v69, v[30:31], off
	v_div_fixup_f32 v30, v44, v93, 1.0
	s_wait_loadcnt 0x9
	s_delay_alu instid0(VALU_DEP_1) | instskip(SKIP_2) | instid1(VALU_DEP_3)
	v_dual_mul_f32 v41, v41, v92 :: v_dual_mul_f32 v70, v68, v30
	v_mul_f32_e32 v44, v60, v85
	v_lshlrev_b64_e32 v[30:31], 2, v[45:46]
	v_min_num_f32_e32 v45, 0x7cf0bdc2, v70
	s_delay_alu instid0(VALU_DEP_3) | instskip(SKIP_1) | instid1(VALU_DEP_4)
	v_fma_f32 v71, -v79, v44, v60
	v_fmac_f32_e32 v42, v74, v42
	v_add_co_u32 v28, s0, s6, v30
	s_wait_alu 0xf1ff
	v_add_co_ci_u32_e64 v29, null, s7, v31, s0
	v_fmac_f32_e32 v44, v71, v85
	v_div_scale_f32 v71, null, v33, v33, 1.0
	v_div_scale_f32 v46, s0, 1.0, v49, 1.0
	v_mul_f32_e32 v47, v81, v45
	s_delay_alu instid0(VALU_DEP_3) | instskip(SKIP_1) | instid1(VALU_DEP_3)
	v_rcp_f32_e32 v74, v71
	v_fma_f32 v45, -v79, v44, v60
	v_mul_f32_e32 v70, v46, v42
	global_load_b32 v60, v[28:29], off
	s_wait_alu 0xfffd
	v_div_fmas_f32 v44, v45, v85, v44
	v_fma_f32 v45, -v57, v70, v46
	v_add_co_u32 v24, vcc_lo, s8, v24
	v_fma_f32 v65, -v71, v74, 1.0
	s_wait_alu 0xfffd
	v_add_co_ci_u32_e64 v25, null, s9, v25, vcc_lo
	v_div_fixup_f32 v63, v44, v63, 1.0
	v_fmac_f32_e32 v70, v45, v42
	v_fmac_f32_e32 v74, v65, v74
	v_add_nc_u32_e32 v0, s3, v0
	global_store_b32 v[24:25], v47, off
	v_mul_f32_e32 v24, v68, v63
	v_mul_f32_e32 v63, v34, v43
	v_fma_f32 v25, -v57, v70, v46
	v_lshlrev_b64_e32 v[28:29], 2, v[0:1]
	s_wait_loadcnt 0x9
	v_mul_f32_e32 v27, v72, v27
	v_div_scale_f32 v65, null, v63, v63, 1.0
	s_delay_alu instid0(VALU_DEP_3)
	v_add_co_u32 v44, vcc_lo, s6, v28
	s_wait_alu 0xfffd
	v_add_co_ci_u32_e64 v45, null, s7, v29, vcc_lo
	s_mov_b32 vcc_lo, s0
	s_wait_alu 0xfffe
	v_div_fmas_f32 v42, v25, v42, v70
	global_load_b32 v57, v[44:45], off
	v_div_scale_f32 v44, s1, 1.0, v33, 1.0
	v_rcp_f32_e32 v70, v65
	v_div_fixup_f32 v47, v42, v49, 1.0
	s_delay_alu instid0(VALU_DEP_2) | instskip(NEXT) | instid1(VALU_DEP_2)
	v_dual_mul_f32 v45, v44, v74 :: v_dual_add_nc_u32 v0, s2, v0
	v_mul_f32_e32 v47, v68, v47
	s_delay_alu instid0(VALU_DEP_2) | instskip(NEXT) | instid1(VALU_DEP_1)
	v_fma_f32 v49, -v71, v45, v44
	v_dual_fmac_f32 v45, v49, v74 :: v_dual_min_num_f32 v46, 0x7cf0bdc2, v24
	s_delay_alu instid0(VALU_DEP_4) | instskip(NEXT) | instid1(VALU_DEP_2)
	v_lshlrev_b64_e32 v[24:25], 2, v[0:1]
	v_mul_f32_e32 v46, v59, v46
	s_delay_alu instid0(VALU_DEP_2) | instskip(SKIP_1) | instid1(VALU_DEP_3)
	v_add_co_u32 v42, vcc_lo, s6, v24
	s_wait_alu 0xfffd
	v_add_co_ci_u32_e64 v43, null, s7, v25, vcc_lo
	v_add_co_u32 v18, vcc_lo, s8, v18
	s_wait_alu 0xfffd
	v_add_co_ci_u32_e64 v19, null, s9, v19, vcc_lo
	global_load_b32 v49, v[42:43], off
	v_fma_f32 v42, -v71, v45, v44
	s_mov_b32 vcc_lo, s1
	v_fma_f32 v43, -v65, v70, 1.0
	s_delay_alu instid0(VALU_DEP_1)
	v_dual_fmac_f32 v70, v43, v70 :: v_dual_mul_f32 v43, v32, v39
	s_wait_loadcnt 0x9
	v_mul_f32_e32 v71, v32, v87
	global_store_b32 v[18:19], v46, off
	v_add_co_u32 v18, s0, s8, v20
	s_wait_alu 0xf1ff
	v_add_co_ci_u32_e64 v19, null, s9, v21, s0
	v_div_scale_f32 v75, null, v71, v71, 1.0
	s_delay_alu instid0(VALU_DEP_1) | instskip(SKIP_1) | instid1(VALU_DEP_1)
	v_rcp_f32_e32 v77, v75
	v_min_num_f32_e32 v44, 0x7cf0bdc2, v47
	v_mul_f32_e32 v59, v83, v44
	s_wait_alu 0xfffe
	v_div_fmas_f32 v42, v42, v74, v45
	v_div_scale_f32 v47, vcc_lo, 1.0, v63, 1.0
	global_store_b32 v[18:19], v59, off
	v_div_fixup_f32 v33, v42, v33, 1.0
	v_mul_f32_e32 v68, v47, v70
	s_delay_alu instid0(VALU_DEP_2) | instskip(NEXT) | instid1(VALU_DEP_2)
	v_mul_f32_e32 v33, v43, v33
	v_fma_f32 v42, -v65, v68, v47
	s_delay_alu instid0(VALU_DEP_2) | instskip(SKIP_1) | instid1(VALU_DEP_3)
	v_min_num_f32_e32 v74, 0x7cf0bdc2, v33
	v_add_nc_u32_e32 v0, s2, v0
	v_fmac_f32_e32 v68, v42, v70
	s_delay_alu instid0(VALU_DEP_3) | instskip(NEXT) | instid1(VALU_DEP_3)
	v_mul_f32_e32 v19, v74, v58
	v_lshlrev_b64_e32 v[20:21], 2, v[0:1]
	v_add_nc_u32_e32 v0, s2, v0
	s_delay_alu instid0(VALU_DEP_4) | instskip(SKIP_1) | instid1(VALU_DEP_3)
	v_fma_f32 v65, -v65, v68, v47
	v_div_scale_f32 v58, null, v41, v41, 1.0
	v_lshlrev_b64_e32 v[32:33], 2, v[0:1]
	v_add_nc_u32_e32 v0, s2, v0
	v_add_co_u32 v42, s0, s6, v20
	s_wait_alu 0xf1ff
	v_add_co_ci_u32_e64 v43, null, s7, v21, s0
	s_delay_alu instid0(VALU_DEP_4)
	v_add_co_u32 v44, s0, s6, v32
	v_lshlrev_b64_e32 v[46:47], 2, v[0:1]
	s_wait_alu 0xf1ff
	v_add_co_ci_u32_e64 v45, null, s7, v33, s0
	global_load_b32 v76, v[42:43], off
	v_rcp_f32_e32 v59, v58
	global_load_b32 v44, v[44:45], off
	v_add_co_u32 v42, s0, s6, v46
	s_wait_alu 0xf1ff
	v_add_co_ci_u32_e64 v43, null, s7, v47, s0
	s_wait_alu 0xfffd
	v_div_fmas_f32 v45, v65, v70, v68
	v_add_co_u32 v16, s0, s8, v16
	s_wait_alu 0xf1ff
	v_add_co_ci_u32_e64 v17, null, s9, v17, s0
	s_delay_alu instid0(VALU_DEP_3)
	v_div_fixup_f32 v45, v45, v63, 1.0
	global_load_b32 v68, v[42:43], off
	v_fma_f32 v65, -v75, v77, 1.0
	global_store_b32 v[16:17], v19, off
	v_dual_mul_f32 v17, v34, v39 :: v_dual_add_nc_u32 v0, s2, v0
	v_mul_f32_e32 v38, v38, v45
	v_fmac_f32_e32 v77, v65, v77
	s_delay_alu instid0(VALU_DEP_3) | instskip(NEXT) | instid1(VALU_DEP_3)
	v_lshlrev_b64_e32 v[0:1], 2, v[0:1]
	v_min_num_f32_e32 v38, 0x7cf0bdc2, v38
	s_delay_alu instid0(VALU_DEP_2) | instskip(SKIP_1) | instid1(VALU_DEP_3)
	v_add_co_u32 v42, vcc_lo, s6, v0
	s_wait_alu 0xfffd
	v_add_co_ci_u32_e64 v43, null, s7, v1, vcc_lo
	s_delay_alu instid0(VALU_DEP_3)
	v_mul_f32_e32 v16, v38, v56
	v_fma_f32 v38, -v58, v59, 1.0
	v_mul_f32_e32 v36, v36, v40
	v_div_scale_f32 v40, vcc_lo, 1.0, v71, 1.0
	global_load_b32 v42, v[42:43], off
	v_fmac_f32_e32 v59, v38, v59
	v_div_scale_f32 v43, null, v36, v36, 1.0
	v_mul_f32_e32 v63, v40, v77
	v_mul_f32_e32 v38, v39, v53
	s_delay_alu instid0(VALU_DEP_3) | instskip(NEXT) | instid1(VALU_DEP_2)
	v_rcp_f32_e32 v18, v43
	v_fma_f32 v45, -v75, v63, v40
	s_delay_alu instid0(VALU_DEP_1) | instskip(NEXT) | instid1(TRANS32_DEP_1)
	v_fmac_f32_e32 v63, v45, v77
	v_fma_f32 v45, -v43, v18, 1.0
	s_delay_alu instid0(VALU_DEP_2) | instskip(NEXT) | instid1(VALU_DEP_2)
	v_fma_f32 v40, -v75, v63, v40
	v_fmac_f32_e32 v18, v45, v18
	v_div_scale_f32 v45, s0, 1.0, v36, 1.0
	s_wait_alu 0xfffd
	s_delay_alu instid0(VALU_DEP_3) | instskip(SKIP_1) | instid1(VALU_DEP_3)
	v_div_fmas_f32 v40, v40, v77, v63
	v_add_co_u32 v14, vcc_lo, s8, v14
	v_mul_f32_e32 v63, v45, v18
	s_wait_alu 0xfffd
	v_add_co_ci_u32_e64 v15, null, s9, v15, vcc_lo
	s_mov_b32 vcc_lo, s0
	v_div_fixup_f32 v19, v40, v71, 1.0
	v_fma_f32 v34, -v43, v63, v45
	global_store_b32 v[14:15], v16, off
	v_dual_mul_f32 v40, v51, v92 :: v_dual_mul_f32 v17, v17, v19
	v_fmac_f32_e32 v63, v34, v18
	v_mul_f32_e32 v19, v35, v72
	v_div_scale_f32 v34, s1, 1.0, v41, 1.0
	s_delay_alu instid0(VALU_DEP_4) | instskip(NEXT) | instid1(VALU_DEP_4)
	v_min_num_f32_e32 v14, 0x7cf0bdc2, v17
	v_fma_f32 v15, -v43, v63, v45
	s_delay_alu instid0(VALU_DEP_4) | instskip(SKIP_1) | instid1(VALU_DEP_4)
	v_div_scale_f32 v35, null, v19, v19, 1.0
	v_mul_f32_e32 v43, v39, v54
	v_mul_f32_e32 v14, v55, v14
	s_wait_alu 0xfffe
	v_div_fmas_f32 v15, v15, v18, v63
	v_add_co_u32 v8, vcc_lo, s8, v8
	s_wait_alu 0xfffd
	v_add_co_ci_u32_e64 v9, null, s9, v9, vcc_lo
	s_delay_alu instid0(VALU_DEP_3)
	v_div_fixup_f32 v15, v15, v36, 1.0
	v_div_scale_f32 v36, null, v40, v40, 1.0
	s_mov_b32 vcc_lo, s1
	v_rcp_f32_e32 v17, v35
	v_mul_f32_e32 v15, v15, v38
	v_rcp_f32_e32 v38, v36
	v_div_scale_f32 v45, null, v27, v27, 1.0
	s_delay_alu instid0(VALU_DEP_2) | instskip(NEXT) | instid1(VALU_DEP_1)
	v_min_num_f32_e32 v15, 0x7cf0bdc2, v15
	v_mul_f32_e32 v15, v15, v37
	s_delay_alu instid0(TRANS32_DEP_1) | instskip(NEXT) | instid1(VALU_DEP_1)
	v_fma_f32 v37, -v36, v38, 1.0
	v_fmac_f32_e32 v38, v37, v38
	v_div_scale_f32 v37, s1, 1.0, v40, 1.0
	v_mul_f32_e32 v16, v34, v59
	s_delay_alu instid0(VALU_DEP_1) | instskip(NEXT) | instid1(VALU_DEP_1)
	v_fma_f32 v18, -v58, v16, v34
	v_fmac_f32_e32 v16, v18, v59
	v_fma_f32 v18, -v35, v17, 1.0
	s_delay_alu instid0(VALU_DEP_2) | instskip(NEXT) | instid1(VALU_DEP_2)
	v_fma_f32 v34, -v58, v16, v34
	v_fmac_f32_e32 v17, v18, v17
	v_div_scale_f32 v18, s0, 1.0, v19, 1.0
	s_wait_alu 0xfffe
	s_delay_alu instid0(VALU_DEP_3) | instskip(SKIP_1) | instid1(VALU_DEP_3)
	v_div_fmas_f32 v16, v34, v59, v16
	v_add_co_u32 v2, vcc_lo, s8, v2
	v_mul_f32_e32 v34, v18, v17
	s_wait_alu 0xfffd
	v_add_co_ci_u32_e64 v3, null, s9, v3, vcc_lo
	v_div_fixup_f32 v16, v16, v41, 1.0
	s_clause 0x1
	global_store_b32 v[8:9], v14, off
	global_store_b32 v[2:3], v15, off
	v_mul_f32_e32 v9, v39, v78
	v_fma_f32 v41, -v35, v34, v18
	s_mov_b32 vcc_lo, s0
	v_div_scale_f32 v15, s0, 1.0, v27, 1.0
	v_mul_f32_e32 v16, v43, v16
	s_delay_alu instid0(VALU_DEP_3) | instskip(SKIP_2) | instid1(VALU_DEP_3)
	v_fmac_f32_e32 v34, v41, v17
	v_mul_f32_e32 v41, v37, v38
	v_rcp_f32_e32 v43, v45
	v_min_num_f32_e32 v8, 0x7cf0bdc2, v16
	s_delay_alu instid0(VALU_DEP_3) | instskip(NEXT) | instid1(VALU_DEP_3)
	v_fma_f32 v2, -v35, v34, v18
	v_fma_f32 v3, -v36, v41, v37
	v_div_scale_f32 v18, null, v48, v48, 1.0
	s_wait_alu 0xfffe
	s_delay_alu instid0(VALU_DEP_3) | instskip(NEXT) | instid1(VALU_DEP_3)
	v_div_fmas_f32 v2, v2, v17, v34
	v_fmac_f32_e32 v41, v3, v38
	s_delay_alu instid0(TRANS32_DEP_1) | instskip(SKIP_1) | instid1(VALU_DEP_3)
	v_fma_f32 v3, -v45, v43, 1.0
	s_mov_b32 vcc_lo, s1
	v_div_fixup_f32 v2, v2, v19, 1.0
	s_delay_alu instid0(VALU_DEP_3) | instskip(NEXT) | instid1(VALU_DEP_2)
	v_fma_f32 v14, -v36, v41, v37
	v_dual_fmac_f32 v43, v3, v43 :: v_dual_mul_f32 v16, v9, v2
	s_wait_alu 0xfffe
	s_delay_alu instid0(VALU_DEP_2) | instskip(SKIP_1) | instid1(VALU_DEP_3)
	v_div_fmas_f32 v14, v14, v38, v41
	v_add_co_u32 v2, vcc_lo, s8, v4
	v_mul_f32_e32 v17, v15, v43
	s_wait_alu 0xfffd
	v_add_co_ci_u32_e64 v3, null, s9, v5, vcc_lo
	v_div_fixup_f32 v5, v14, v40, 1.0
	s_delay_alu instid0(VALU_DEP_3) | instskip(NEXT) | instid1(VALU_DEP_2)
	v_fma_f32 v14, -v45, v17, v15
	v_mul_f32_e32 v5, v9, v5
	s_delay_alu instid0(VALU_DEP_2) | instskip(SKIP_2) | instid1(VALU_DEP_3)
	v_fmac_f32_e32 v17, v14, v43
	s_wait_loadcnt 0xa
	v_div_scale_f32 v14, null, v82, v82, 1.0
	v_dual_min_num_f32 v5, 0x7cf0bdc2, v5 :: v_dual_mul_f32 v8, v73, v8
	s_wait_loadcnt 0x9
	s_delay_alu instid0(VALU_DEP_1)
	v_mul_f32_e32 v5, v86, v5
	global_store_b32 v[2:3], v8, off
	v_fma_f32 v8, -v45, v17, v15
	v_dual_mul_f32 v15, v23, v10 :: v_dual_min_num_f32 v4, 0x7cf0bdc2, v16
	v_rcp_f32_e32 v16, v18
	v_add_co_u32 v2, vcc_lo, s8, v61
	s_wait_alu 0xfffd
	v_add_co_ci_u32_e64 v3, null, s9, v62, vcc_lo
	s_mov_b32 vcc_lo, s0
	s_wait_alu 0xfffe
	v_div_fmas_f32 v8, v8, v43, v17
	s_delay_alu instid0(TRANS32_DEP_1) | instskip(NEXT) | instid1(VALU_DEP_2)
	v_fma_f32 v9, -v18, v16, 1.0
	v_div_fixup_f32 v8, v8, v27, 1.0
	s_delay_alu instid0(VALU_DEP_2) | instskip(SKIP_1) | instid1(VALU_DEP_3)
	v_fmac_f32_e32 v16, v9, v16
	v_div_scale_f32 v9, vcc_lo, 1.0, v48, 1.0
	v_mul_f32_e32 v8, v15, v8
	s_delay_alu instid0(VALU_DEP_2) | instskip(NEXT) | instid1(VALU_DEP_1)
	v_mul_f32_e32 v17, v9, v16
	v_fma_f32 v19, -v18, v17, v9
	s_delay_alu instid0(VALU_DEP_1) | instskip(NEXT) | instid1(VALU_DEP_1)
	v_fmac_f32_e32 v17, v19, v16
	v_fma_f32 v9, -v18, v17, v9
	s_wait_alu 0xfffd
	s_delay_alu instid0(VALU_DEP_1) | instskip(NEXT) | instid1(VALU_DEP_1)
	v_div_fmas_f32 v9, v9, v16, v17
	v_div_fixup_f32 v9, v9, v48, 1.0
	v_mul_f32_e32 v4, v91, v4
	global_store_b32 v[2:3], v4, off
	v_rcp_f32_e32 v4, v14
	v_add_co_u32 v2, s0, s8, v6
	v_mul_f32_e32 v6, v11, v10
	s_wait_alu 0xf1ff
	v_add_co_ci_u32_e64 v3, null, s9, v7, s0
	s_delay_alu instid0(VALU_DEP_2) | instskip(NEXT) | instid1(TRANS32_DEP_1)
	v_div_scale_f32 v11, null, v6, v6, 1.0
	v_fma_f32 v7, -v14, v4, 1.0
	global_store_b32 v[2:3], v5, off
	v_mul_f32_e32 v5, v13, v15
	v_rcp_f32_e32 v18, v11
	v_add_co_u32 v2, vcc_lo, s8, v66
	v_fmac_f32_e32 v4, v7, v4
	v_div_scale_f32 v7, s0, 1.0, v82, 1.0
	v_mul_f32_e32 v5, v5, v9
	v_div_scale_f32 v9, s1, 1.0, v6, 1.0
	s_delay_alu instid0(VALU_DEP_3) | instskip(NEXT) | instid1(TRANS32_DEP_1)
	v_mul_f32_e32 v16, v7, v4
	v_fma_f32 v17, -v11, v18, 1.0
	s_wait_alu 0xfffd
	v_add_co_ci_u32_e64 v3, null, s9, v67, vcc_lo
	s_mov_b32 vcc_lo, s0
	v_fma_f32 v15, -v14, v16, v7
	v_fmac_f32_e32 v18, v17, v18
	v_div_scale_f32 v17, null, v12, v12, 1.0
	s_delay_alu instid0(VALU_DEP_3) | instskip(SKIP_1) | instid1(VALU_DEP_3)
	v_dual_min_num_f32 v5, 0x7cf0bdc2, v5 :: v_dual_fmac_f32 v16, v15, v4
	v_mul_f32_e32 v15, v51, v50
	v_rcp_f32_e32 v19, v17
	s_delay_alu instid0(VALU_DEP_2) | instskip(SKIP_1) | instid1(VALU_DEP_3)
	v_fma_f32 v7, -v14, v16, v7
	v_mul_f32_e32 v14, v9, v18
	v_mul_f32_e32 v13, v13, v15
	s_wait_alu 0xfffe
	s_delay_alu instid0(VALU_DEP_3) | instskip(NEXT) | instid1(VALU_DEP_3)
	v_div_fmas_f32 v4, v7, v4, v16
	v_fma_f32 v7, -v11, v14, v9
	s_delay_alu instid0(VALU_DEP_2) | instskip(NEXT) | instid1(VALU_DEP_2)
	v_div_fixup_f32 v23, v4, v82, 1.0
	v_fmac_f32_e32 v14, v7, v18
	s_wait_loadcnt 0x8
	v_mul_f32_e32 v7, v51, v64
	v_min_num_f32_e32 v8, 0x7cf0bdc2, v8
	v_add_co_u32 v4, vcc_lo, s8, v30
	v_mul_f32_e32 v13, v13, v23
	v_fma_f32 v9, -v11, v14, v9
	v_fma_f32 v11, -v17, v19, 1.0
	v_div_scale_f32 v23, null, v7, v7, 1.0
	s_wait_loadcnt 0x7
	v_dual_mul_f32 v8, v69, v8 :: v_dual_min_num_f32 v13, 0x7cf0bdc2, v13
	s_delay_alu instid0(VALU_DEP_3) | instskip(NEXT) | instid1(VALU_DEP_3)
	v_fmac_f32_e32 v19, v11, v19
	v_rcp_f32_e32 v11, v23
	s_wait_loadcnt 0x6
	v_mul_f32_e32 v16, v60, v5
	s_wait_alu 0xfffd
	v_add_co_ci_u32_e64 v5, null, s9, v31, vcc_lo
	s_mov_b32 vcc_lo, s1
	s_clause 0x1
	global_store_b32 v[2:3], v8, off
	global_store_b32 v[4:5], v16, off
	s_wait_alu 0xfffe
	v_div_fmas_f32 v9, v9, v18, v14
	v_div_scale_f32 v14, vcc_lo, 1.0, v12, 1.0
	s_wait_loadcnt 0x5
	v_mul_f32_e32 v5, v57, v13
	v_fma_f32 v3, -v23, v11, 1.0
	v_div_fixup_f32 v2, v9, v6, 1.0
	v_dual_mul_f32 v4, v14, v19 :: v_dual_mul_f32 v13, v52, v82
	s_delay_alu instid0(VALU_DEP_3) | instskip(NEXT) | instid1(VALU_DEP_3)
	v_fmac_f32_e32 v11, v3, v11
	v_mul_f32_e32 v8, v15, v2
	s_delay_alu instid0(VALU_DEP_3) | instskip(SKIP_3) | instid1(VALU_DEP_3)
	v_fma_f32 v9, -v17, v4, v14
	v_div_scale_f32 v15, s0, 1.0, v7, 1.0
	v_div_scale_f32 v18, null, v13, v13, 1.0
	v_add_co_u32 v2, s1, s8, v28
	v_dual_mul_f32 v6, v22, v10 :: v_dual_mul_f32 v27, v15, v11
	s_wait_alu 0xf1ff
	v_add_co_ci_u32_e64 v3, null, s9, v29, s1
	v_fmac_f32_e32 v4, v9, v19
	v_rcp_f32_e32 v9, v18
	v_div_scale_f32 v10, null, v6, v6, 1.0
	global_store_b32 v[2:3], v5, off
	v_fma_f32 v2, -v17, v4, v14
	v_fma_f32 v3, -v23, v27, v15
	v_min_num_f32_e32 v8, 0x7cf0bdc2, v8
	v_rcp_f32_e32 v16, v10
	v_div_scale_f32 v5, s1, 1.0, v6, 1.0
	s_wait_alu 0xfffd
	v_div_fmas_f32 v2, v2, v19, v4
	v_fmac_f32_e32 v27, v3, v11
	s_wait_loadcnt 0x4
	v_mul_f32_e32 v29, v49, v8
	v_fma_f32 v8, -v18, v9, 1.0
	s_mov_b32 vcc_lo, s0
	v_mul_f32_e32 v14, v26, v50
	v_fma_f32 v28, -v10, v16, 1.0
	s_delay_alu instid0(VALU_DEP_3) | instskip(SKIP_4) | instid1(VALU_DEP_2)
	v_fmac_f32_e32 v9, v8, v9
	v_div_fixup_f32 v12, v2, v12, 1.0
	v_fma_f32 v2, -v23, v27, v15
	v_div_scale_f32 v8, s2, 1.0, v13, 1.0
	s_wait_alu 0xfffe
	v_div_fmas_f32 v11, v2, v11, v27
	s_delay_alu instid0(VALU_DEP_2) | instskip(SKIP_1) | instid1(VALU_DEP_3)
	v_mul_f32_e32 v15, v8, v9
	v_add_co_u32 v2, vcc_lo, s8, v24
	v_div_fixup_f32 v7, v11, v7, 1.0
	v_fmac_f32_e32 v16, v28, v16
	s_delay_alu instid0(VALU_DEP_4) | instskip(NEXT) | instid1(VALU_DEP_2)
	v_fma_f32 v17, -v18, v15, v8
	v_dual_mul_f32 v7, v14, v7 :: v_dual_mul_f32 v4, v5, v16
	s_delay_alu instid0(VALU_DEP_2) | instskip(NEXT) | instid1(VALU_DEP_2)
	v_fmac_f32_e32 v15, v17, v9
	v_min_num_f32_e32 v7, 0x7cf0bdc2, v7
	s_delay_alu instid0(VALU_DEP_3) | instskip(NEXT) | instid1(VALU_DEP_3)
	v_fma_f32 v3, -v10, v4, v5
	v_fma_f32 v8, -v18, v15, v8
	s_delay_alu instid0(VALU_DEP_2)
	v_fmac_f32_e32 v4, v3, v16
	s_wait_alu 0xfffd
	v_add_co_ci_u32_e64 v3, null, s9, v25, vcc_lo
	s_mov_b32 vcc_lo, s1
	v_fma_f32 v5, -v10, v4, v5
	s_wait_alu 0xfffe
	s_delay_alu instid0(VALU_DEP_1) | instskip(SKIP_1) | instid1(VALU_DEP_1)
	v_div_fmas_f32 v4, v5, v16, v4
	s_mov_b32 vcc_lo, s2
	v_div_fixup_f32 v4, v4, v6, 1.0
	s_wait_alu 0xfffe
	v_div_fmas_f32 v6, v8, v9, v15
	v_mul_f32_e32 v9, v22, v50
	s_delay_alu instid0(VALU_DEP_2) | instskip(NEXT) | instid1(VALU_DEP_1)
	v_div_fixup_f32 v6, v6, v13, 1.0
	v_dual_mul_f32 v12, v14, v12 :: v_dual_mul_f32 v9, v9, v6
	s_delay_alu instid0(VALU_DEP_1) | instskip(NEXT) | instid1(VALU_DEP_1)
	v_dual_mul_f32 v10, v52, v50 :: v_dual_min_num_f32 v5, 0x7cf0bdc2, v12
	v_dual_min_num_f32 v13, 0x7cf0bdc2, v9 :: v_dual_mul_f32 v8, v10, v4
	v_add_co_u32 v4, vcc_lo, s8, v20
	s_wait_loadcnt 0x3
	s_delay_alu instid0(VALU_DEP_3)
	v_mul_f32_e32 v11, v76, v5
	s_wait_alu 0xfffd
	v_add_co_ci_u32_e64 v5, null, s9, v21, vcc_lo
	v_min_num_f32_e32 v8, 0x7cf0bdc2, v8
	v_add_co_u32 v6, vcc_lo, s8, v32
	s_wait_loadcnt 0x0
	v_dual_mul_f32 v10, v44, v7 :: v_dual_mul_f32 v13, v42, v13
	s_wait_alu 0xfffd
	v_add_co_ci_u32_e64 v7, null, s9, v33, vcc_lo
	v_mul_f32_e32 v12, v68, v8
	v_add_co_u32 v8, vcc_lo, s8, v46
	s_wait_alu 0xfffd
	v_add_co_ci_u32_e64 v9, null, s9, v47, vcc_lo
	v_add_co_u32 v0, vcc_lo, s8, v0
	s_wait_alu 0xfffd
	v_add_co_ci_u32_e64 v1, null, s9, v1, vcc_lo
	s_clause 0x4
	global_store_b32 v[2:3], v29, off
	global_store_b32 v[4:5], v11, off
	;; [unrolled: 1-line block ×5, first 2 shown]
	s_endpgm
	.section	.rodata,"a",@progbits
	.p2align	6, 0x0
	.amdhsa_kernel _Z12ratt8_kernelIfEvPKT_S2_PS0_S2_S0_
		.amdhsa_group_segment_fixed_size 0
		.amdhsa_private_segment_fixed_size 0
		.amdhsa_kernarg_size 296
		.amdhsa_user_sgpr_count 2
		.amdhsa_user_sgpr_dispatch_ptr 0
		.amdhsa_user_sgpr_queue_ptr 0
		.amdhsa_user_sgpr_kernarg_segment_ptr 1
		.amdhsa_user_sgpr_dispatch_id 0
		.amdhsa_user_sgpr_private_segment_size 0
		.amdhsa_wavefront_size32 1
		.amdhsa_uses_dynamic_stack 0
		.amdhsa_enable_private_segment 0
		.amdhsa_system_sgpr_workgroup_id_x 1
		.amdhsa_system_sgpr_workgroup_id_y 0
		.amdhsa_system_sgpr_workgroup_id_z 0
		.amdhsa_system_sgpr_workgroup_info 0
		.amdhsa_system_vgpr_workitem_id 0
		.amdhsa_next_free_vgpr 95
		.amdhsa_next_free_sgpr 15
		.amdhsa_reserve_vcc 1
		.amdhsa_float_round_mode_32 0
		.amdhsa_float_round_mode_16_64 0
		.amdhsa_float_denorm_mode_32 3
		.amdhsa_float_denorm_mode_16_64 3
		.amdhsa_fp16_overflow 0
		.amdhsa_workgroup_processor_mode 1
		.amdhsa_memory_ordered 1
		.amdhsa_forward_progress 1
		.amdhsa_inst_pref_size 51
		.amdhsa_round_robin_scheduling 0
		.amdhsa_exception_fp_ieee_invalid_op 0
		.amdhsa_exception_fp_denorm_src 0
		.amdhsa_exception_fp_ieee_div_zero 0
		.amdhsa_exception_fp_ieee_overflow 0
		.amdhsa_exception_fp_ieee_underflow 0
		.amdhsa_exception_fp_ieee_inexact 0
		.amdhsa_exception_int_div_zero 0
	.end_amdhsa_kernel
	.section	.text._Z12ratt8_kernelIfEvPKT_S2_PS0_S2_S0_,"axG",@progbits,_Z12ratt8_kernelIfEvPKT_S2_PS0_S2_S0_,comdat
.Lfunc_end9:
	.size	_Z12ratt8_kernelIfEvPKT_S2_PS0_S2_S0_, .Lfunc_end9-_Z12ratt8_kernelIfEvPKT_S2_PS0_S2_S0_
                                        ; -- End function
	.set _Z12ratt8_kernelIfEvPKT_S2_PS0_S2_S0_.num_vgpr, 95
	.set _Z12ratt8_kernelIfEvPKT_S2_PS0_S2_S0_.num_agpr, 0
	.set _Z12ratt8_kernelIfEvPKT_S2_PS0_S2_S0_.numbered_sgpr, 15
	.set _Z12ratt8_kernelIfEvPKT_S2_PS0_S2_S0_.num_named_barrier, 0
	.set _Z12ratt8_kernelIfEvPKT_S2_PS0_S2_S0_.private_seg_size, 0
	.set _Z12ratt8_kernelIfEvPKT_S2_PS0_S2_S0_.uses_vcc, 1
	.set _Z12ratt8_kernelIfEvPKT_S2_PS0_S2_S0_.uses_flat_scratch, 0
	.set _Z12ratt8_kernelIfEvPKT_S2_PS0_S2_S0_.has_dyn_sized_stack, 0
	.set _Z12ratt8_kernelIfEvPKT_S2_PS0_S2_S0_.has_recursion, 0
	.set _Z12ratt8_kernelIfEvPKT_S2_PS0_S2_S0_.has_indirect_call, 0
	.section	.AMDGPU.csdata,"",@progbits
; Kernel info:
; codeLenInByte = 6524
; TotalNumSgprs: 17
; NumVgprs: 95
; ScratchSize: 0
; MemoryBound: 0
; FloatMode: 240
; IeeeMode: 1
; LDSByteSize: 0 bytes/workgroup (compile time only)
; SGPRBlocks: 0
; VGPRBlocks: 11
; NumSGPRsForWavesPerEU: 17
; NumVGPRsForWavesPerEU: 95
; Occupancy: 16
; WaveLimiterHint : 0
; COMPUTE_PGM_RSRC2:SCRATCH_EN: 0
; COMPUTE_PGM_RSRC2:USER_SGPR: 2
; COMPUTE_PGM_RSRC2:TRAP_HANDLER: 0
; COMPUTE_PGM_RSRC2:TGID_X_EN: 1
; COMPUTE_PGM_RSRC2:TGID_Y_EN: 0
; COMPUTE_PGM_RSRC2:TGID_Z_EN: 0
; COMPUTE_PGM_RSRC2:TIDIG_COMP_CNT: 0
	.section	.text._Z12ratt9_kernelIfEvPKT_S2_PS0_S2_S0_,"axG",@progbits,_Z12ratt9_kernelIfEvPKT_S2_PS0_S2_S0_,comdat
	.protected	_Z12ratt9_kernelIfEvPKT_S2_PS0_S2_S0_ ; -- Begin function _Z12ratt9_kernelIfEvPKT_S2_PS0_S2_S0_
	.globl	_Z12ratt9_kernelIfEvPKT_S2_PS0_S2_S0_
	.p2align	8
	.type	_Z12ratt9_kernelIfEvPKT_S2_PS0_S2_S0_,@function
_Z12ratt9_kernelIfEvPKT_S2_PS0_S2_S0_:  ; @_Z12ratt9_kernelIfEvPKT_S2_PS0_S2_S0_
; %bb.0:
	s_clause 0x3
	s_load_b32 s2, s[0:1], 0x34
	s_load_b32 s3, s[0:1], 0x28
	s_load_b256 s[4:11], s[0:1], 0x0
	s_load_b32 s0, s[0:1], 0x20
	s_wait_kmcnt 0x0
	s_and_b32 s2, s2, 0xffff
	s_delay_alu instid0(SALU_CYCLE_1)
	v_mad_co_u64_u32 v[0:1], null, ttmp9, s2, v[0:1]
	v_mov_b32_e32 v1, 0
	s_mul_i32 s2, s3, s2
	s_wait_alu 0xfffe
	s_mul_i32 s3, s2, 0xffffff55
	s_mul_i32 s1, s2, 0xb2
	v_mov_b32_e32 v9, v1
	s_delay_alu instid0(VALU_DEP_3) | instskip(SKIP_2) | instid1(VALU_DEP_3)
	v_lshlrev_b64_e32 v[24:25], 2, v[0:1]
	v_mad_co_u64_u32 v[6:7], null, s2, 6, v[0:1]
	v_add_nc_u32_e32 v0, s2, v0
	v_add_co_u32 v2, vcc_lo, s4, v24
	s_delay_alu instid0(VALU_DEP_1) | instskip(NEXT) | instid1(VALU_DEP_4)
	v_add_co_ci_u32_e64 v3, null, s5, v25, vcc_lo
	v_lshl_add_u32 v8, s2, 4, v6
	s_mul_i32 s4, s2, 0x9a
	s_mul_i32 s5, s2, 0xffffff5a
	global_load_b32 v43, v[2:3], off
	v_mad_co_u64_u32 v[2:3], null, s2, -15, v[8:9]
	v_mov_b32_e32 v3, v1
	s_delay_alu instid0(VALU_DEP_1) | instskip(SKIP_2) | instid1(VALU_DEP_2)
	v_mad_co_u64_u32 v[4:5], null, s2, 14, v[2:3]
	v_mov_b32_e32 v5, v1
	v_lshlrev_b64_e32 v[2:3], 2, v[2:3]
	v_lshlrev_b64_e32 v[10:11], 2, v[4:5]
	s_delay_alu instid0(VALU_DEP_2) | instskip(SKIP_1) | instid1(VALU_DEP_3)
	v_add_co_u32 v12, vcc_lo, s10, v2
	s_wait_alu 0xfffd
	v_add_co_ci_u32_e64 v13, null, s11, v3, vcc_lo
	s_delay_alu instid0(VALU_DEP_3)
	v_add_co_u32 v2, vcc_lo, s10, v10
	s_wait_alu 0xfffd
	v_add_co_ci_u32_e64 v3, null, s11, v11, vcc_lo
	s_clause 0x1
	global_load_b32 v41, v[12:13], off
	global_load_b32 v34, v[2:3], off
	s_wait_alu 0xfffe
	v_dual_mov_b32 v3, v1 :: v_dual_add_nc_u32 v10, s4, v4
	v_lshlrev_b64_e32 v[30:31], 2, v[0:1]
	v_dual_mov_b32 v7, v1 :: v_dual_add_nc_u32 v0, s1, v0
	s_delay_alu instid0(VALU_DEP_3) | instskip(NEXT) | instid1(VALU_DEP_2)
	v_dual_mov_b32 v11, v1 :: v_dual_add_nc_u32 v2, s3, v10
	v_mad_co_u64_u32 v[28:29], null, 0xffffff4f, s2, v[0:1]
	s_delay_alu instid0(VALU_DEP_2) | instskip(SKIP_4) | instid1(VALU_DEP_4)
	v_mad_co_u64_u32 v[4:5], null, s2, 7, v[2:3]
	v_mov_b32_e32 v5, v1
	v_lshlrev_b64_e32 v[2:3], 2, v[2:3]
	v_lshlrev_b64_e32 v[6:7], 2, v[6:7]
	v_mov_b32_e32 v29, v1
	v_mad_co_u64_u32 v[14:15], null, s2, 5, v[4:5]
	v_mov_b32_e32 v15, v1
	v_lshlrev_b64_e32 v[4:5], 2, v[4:5]
	v_add_co_u32 v2, vcc_lo, s10, v2
	s_wait_alu 0xfffd
	v_add_co_ci_u32_e64 v3, null, s11, v3, vcc_lo
	v_mad_co_u64_u32 v[16:17], null, 0xa0, s2, v[14:15]
	v_mov_b32_e32 v17, v1
	v_lshlrev_b64_e32 v[14:15], 2, v[14:15]
	v_add_co_u32 v4, vcc_lo, s10, v4
	s_wait_alu 0xfffd
	v_add_co_ci_u32_e64 v5, null, s11, v5, vcc_lo
	v_mad_co_u64_u32 v[22:23], null, 0xffffff67, s2, v[16:17]
	v_mov_b32_e32 v23, v1
	v_add_co_u32 v14, vcc_lo, s10, v14
	s_clause 0x1
	global_load_b32 v37, v[2:3], off
	global_load_b32 v35, v[4:5], off
	s_wait_alu 0xfffd
	v_add_co_ci_u32_e64 v15, null, s11, v15, vcc_lo
	v_lshlrev_b64_e32 v[20:21], 2, v[22:23]
	v_add_co_u32 v18, vcc_lo, s10, v6
	global_load_b32 v38, v[14:15], off
	s_wait_alu 0xfffd
	v_add_co_ci_u32_e64 v19, null, s11, v7, vcc_lo
	v_add_co_u32 v6, vcc_lo, s10, v20
	s_wait_alu 0xfffd
	v_add_co_ci_u32_e64 v7, null, s11, v21, vcc_lo
	s_clause 0x1
	global_load_b32 v36, v[18:19], off
	global_load_b32 v40, v[6:7], off
	v_lshlrev_b64_e32 v[6:7], 2, v[8:9]
	s_delay_alu instid0(VALU_DEP_1) | instskip(SKIP_1) | instid1(VALU_DEP_2)
	v_add_co_u32 v20, vcc_lo, s10, v6
	s_wait_alu 0xfffd
	v_add_co_ci_u32_e64 v21, null, s11, v7, vcc_lo
	v_dual_mov_b32 v7, v1 :: v_dual_add_nc_u32 v6, s4, v22
	v_lshlrev_b64_e32 v[22:23], 2, v[10:11]
	global_load_b32 v42, v[20:21], off
	s_lshl_b32 s4, s2, 1
	v_mad_co_u64_u32 v[8:9], null, 0xffffff5e, s2, v[6:7]
	v_add_co_u32 v26, vcc_lo, s6, v22
	s_wait_alu 0xfffd
	v_add_co_ci_u32_e64 v27, null, s7, v23, vcc_lo
	v_mov_b32_e32 v9, v1
	s_wait_alu 0xfffe
	s_delay_alu instid0(VALU_DEP_4) | instskip(SKIP_3) | instid1(VALU_DEP_1)
	v_subrev_nc_u32_e32 v10, s4, v8
	global_load_b32 v44, v[26:27], off
	s_mul_i32 s4, s2, 0xa7
	v_lshlrev_b64_e32 v[26:27], 2, v[10:11]
	v_add_co_u32 v26, vcc_lo, s10, v26
	s_wait_alu 0xfffd
	s_delay_alu instid0(VALU_DEP_2)
	v_add_co_ci_u32_e64 v27, null, s11, v27, vcc_lo
	global_load_b32 v39, v[26:27], off
	v_add_co_u32 v26, vcc_lo, s10, v24
	s_wait_alu 0xfffd
	v_add_co_ci_u32_e64 v27, null, s11, v25, vcc_lo
	v_lshlrev_b64_e32 v[24:25], 2, v[0:1]
	v_add_nc_u32_e32 v0, s1, v28
	v_add_co_u32 v30, vcc_lo, s10, v30
	s_wait_alu 0xfffd
	v_add_co_ci_u32_e64 v31, null, s11, v31, vcc_lo
	s_clause 0x4
	global_load_b32 v48, v[26:27], off
	global_load_b32 v45, v[26:27], off
	;; [unrolled: 1-line block ×5, first 2 shown]
	v_lshlrev_b64_e32 v[26:27], 2, v[28:29]
	v_mad_co_u64_u32 v[28:29], null, 0xffffff51, s2, v[0:1]
	v_add_co_u32 v32, vcc_lo, s6, v24
	v_lshlrev_b64_e32 v[50:51], 2, v[0:1]
	s_wait_alu 0xfffd
	v_add_co_ci_u32_e64 v33, null, s7, v25, vcc_lo
	v_add_co_u32 v24, vcc_lo, s8, v24
	s_wait_alu 0xfffd
	v_add_co_ci_u32_e64 v25, null, s9, v25, vcc_lo
	v_add_co_u32 v30, vcc_lo, s10, v26
	;; [unrolled: 3-line block ×4, first 2 shown]
	s_wait_alu 0xfffd
	v_add_co_ci_u32_e64 v27, null, s9, v51, vcc_lo
	global_load_b32 v32, v[32:33], off
	s_wait_loadcnt 0xe
	v_mul_f32_e32 v86, v41, v34
	s_delay_alu instid0(VALU_DEP_1) | instskip(NEXT) | instid1(VALU_DEP_1)
	v_div_scale_f32 v87, null, v86, v86, 1.0
	v_rcp_f32_e32 v88, v87
	v_mov_b32_e32 v29, v1
	s_delay_alu instid0(VALU_DEP_1) | instskip(SKIP_2) | instid1(VALU_DEP_2)
	v_mad_co_u64_u32 v[52:53], null, 0xb0, s2, v[28:29]
	v_lshlrev_b64_e32 v[28:29], 2, v[28:29]
	v_mov_b32_e32 v53, v1
	v_add_co_u32 v50, vcc_lo, s10, v28
	s_delay_alu instid0(VALU_DEP_4) | instskip(SKIP_1) | instid1(VALU_DEP_4)
	v_add_nc_u32_e32 v0, s3, v52
	s_wait_alu 0xfffd
	v_add_co_ci_u32_e64 v51, null, s11, v29, vcc_lo
	v_lshlrev_b64_e32 v[28:29], 2, v[52:53]
	v_add_co_u32 v56, vcc_lo, s8, v22
	v_mad_co_u64_u32 v[52:53], null, 0xac, s2, v[0:1]
	v_mov_b32_e32 v53, v1
	v_lshlrev_b64_e32 v[58:59], 2, v[0:1]
	s_wait_alu 0xfffd
	v_add_co_ci_u32_e64 v57, null, s9, v23, vcc_lo
	s_clause 0x3
	global_load_b32 v22, v[12:13], off
	global_load_b32 v13, v[20:21], off
	;; [unrolled: 1-line block ×4, first 2 shown]
	v_mad_co_u64_u32 v[60:61], null, 0xffffff56, s2, v[52:53]
	v_mov_b32_e32 v61, v1
	v_add_co_u32 v19, vcc_lo, s10, v58
	s_wait_alu 0xfffd
	v_add_co_ci_u32_e64 v20, null, s11, v59, vcc_lo
	s_delay_alu instid0(VALU_DEP_3)
	v_mad_co_u64_u32 v[58:59], null, 0xab, s2, v[60:61]
	v_lshlrev_b64_e32 v[11:12], 2, v[60:61]
	v_mov_b32_e32 v59, v1
	v_lshlrev_b64_e32 v[60:61], 2, v[16:17]
	s_clause 0x4
	global_load_b32 v16, v[4:5], off
	global_load_b32 v14, v[14:15], off
	;; [unrolled: 1-line block ×5, first 2 shown]
	s_wait_loadcnt 0x12
	v_mul_f32_e32 v91, v36, v40
	v_add_co_u32 v11, vcc_lo, s10, v11
	v_mad_co_u64_u32 v[2:3], null, 0xffffff65, s2, v[58:59]
	s_wait_alu 0xfffd
	v_add_co_ci_u32_e64 v12, null, s11, v12, vcc_lo
	v_add_co_u32 v4, vcc_lo, s6, v60
	s_wait_alu 0xfffd
	v_add_co_ci_u32_e64 v5, null, s7, v61, vcc_lo
	s_delay_alu instid0(VALU_DEP_4)
	v_dual_mov_b32 v3, v1 :: v_dual_add_nc_u32 v0, s2, v2
	v_add_co_u32 v60, vcc_lo, s8, v60
	global_load_b32 v84, v[4:5], off
	v_lshlrev_b64_e32 v[4:5], 2, v[6:7]
	v_lshlrev_b64_e32 v[2:3], 2, v[2:3]
	v_mad_co_u64_u32 v[62:63], null, 0x9b, s2, v[0:1]
	s_wait_alu 0xfffd
	v_add_co_ci_u32_e64 v61, null, s9, v61, vcc_lo
	s_delay_alu instid0(VALU_DEP_4)
	v_add_co_u32 v64, vcc_lo, s6, v4
	v_lshlrev_b64_e32 v[6:7], 2, v[0:1]
	v_dual_mov_b32 v63, v1 :: v_dual_mul_f32 v0, s0, v43
	s_wait_alu 0xfffd
	v_add_co_ci_u32_e64 v65, null, s7, v5, vcc_lo
	v_add_co_u32 v4, vcc_lo, s8, v4
	s_wait_alu 0xfffd
	v_add_co_ci_u32_e64 v5, null, s9, v5, vcc_lo
	v_add_co_u32 v66, vcc_lo, s10, v2
	s_wait_alu 0xfffd
	v_add_co_ci_u32_e64 v67, null, s11, v3, vcc_lo
	v_lshlrev_b64_e32 v[2:3], 2, v[8:9]
	v_mad_co_u64_u32 v[8:9], null, 0xffffff5b, s2, v[62:63]
	v_mul_f32_e32 v33, 0x4c9e9632, v0
	v_mov_b32_e32 v9, v1
	global_load_b32 v85, v[64:65], off
	v_add_co_u32 v70, vcc_lo, s10, v2
	v_div_scale_f32 v43, null, v33, v33, 1.0
	v_mad_co_u64_u32 v[68:69], null, 0xa6, s2, v[8:9]
	v_mov_b32_e32 v69, v1
	s_delay_alu instid0(VALU_DEP_3) | instskip(SKIP_3) | instid1(VALU_DEP_4)
	v_rcp_f32_e32 v80, v43
	v_mad_co_u64_u32 v[64:65], null, 0xa5, s2, v[10:11]
	s_wait_alu 0xfffd
	v_add_co_ci_u32_e64 v71, null, s11, v3, vcc_lo
	v_mad_co_u64_u32 v[2:3], null, 0xffffff4a, s2, v[68:69]
	v_mov_b32_e32 v65, v1
	v_mov_b32_e32 v3, v1
	v_add_co_u32 v72, vcc_lo, s10, v6
	s_delay_alu instid0(TRANS32_DEP_1)
	v_fma_f32 v0, -v43, v80, 1.0
	s_wait_alu 0xfffd
	v_add_co_ci_u32_e64 v73, null, s11, v7, vcc_lo
	v_lshlrev_b64_e32 v[6:7], 2, v[64:65]
	v_mad_co_u64_u32 v[64:65], null, 0xb7, s2, v[2:3]
	v_div_scale_f32 v65, vcc_lo, 1.0, v33, 1.0
	v_fmac_f32_e32 v80, v0, v80
	s_delay_alu instid0(VALU_DEP_4) | instskip(SKIP_2) | instid1(VALU_DEP_3)
	v_add_co_u32 v74, s0, s6, v6
	s_wait_alu 0xf1ff
	v_add_co_ci_u32_e64 v75, null, s7, v7, s0
	v_mul_f32_e32 v81, v65, v80
	v_add_co_u32 v76, s0, s8, v6
	v_add_nc_u32_e32 v0, s5, v64
	v_lshlrev_b64_e32 v[8:9], 2, v[8:9]
	s_delay_alu instid0(VALU_DEP_4)
	v_fma_f32 v6, -v43, v81, v65
	s_wait_alu 0xf1ff
	v_add_co_ci_u32_e64 v77, null, s9, v7, s0
	v_lshlrev_b64_e32 v[78:79], 2, v[0:1]
	s_wait_alu 0xfffe
	v_add_nc_u32_e32 v0, s4, v0
	v_fmac_f32_e32 v81, v6, v80
	v_fma_f32 v6, -v87, v88, 1.0
	v_add_co_u32 v7, s0, s10, v8
	s_wait_alu 0xf1ff
	v_add_co_ci_u32_e64 v8, null, s11, v9, s0
	v_fma_f32 v43, -v43, v81, v65
	v_fmac_f32_e32 v88, v6, v88
	v_lshlrev_b64_e32 v[9:10], 2, v[2:3]
	v_lshlrev_b64_e32 v[2:3], 2, v[0:1]
	v_add_nc_u32_e32 v0, s2, v0
	s_wait_alu 0xfffd
	v_div_fmas_f32 v6, v43, v80, v81
	v_div_scale_f32 v65, s0, 1.0, v86, 1.0
	v_mul_f32_e32 v43, v37, v35
	global_load_b32 v89, v[74:75], off
	v_div_fixup_f32 v6, v6, v33, 1.0
	v_mad_co_u64_u32 v[74:75], null, 0xffffff62, s2, v[0:1]
	v_dual_mul_f32 v90, v65, v88 :: v_dual_mul_f32 v33, v43, v38
	s_delay_alu instid0(VALU_DEP_3) | instskip(SKIP_1) | instid1(VALU_DEP_3)
	v_dual_mov_b32 v75, v1 :: v_dual_mul_f32 v6, 0x49776020, v6
	v_add_co_u32 v80, vcc_lo, s10, v9
	v_fma_f32 v43, -v87, v90, v65
	s_wait_alu 0xfffd
	v_add_co_ci_u32_e64 v81, null, s11, v10, vcc_lo
	v_lshlrev_b64_e32 v[9:10], 2, v[74:75]
	s_delay_alu instid0(VALU_DEP_3) | instskip(SKIP_3) | instid1(VALU_DEP_3)
	v_dual_mul_f32 v75, v6, v33 :: v_dual_fmac_f32 v90, v43, v88
	v_add_co_u32 v78, vcc_lo, s10, v78
	s_wait_alu 0xfffd
	v_add_co_ci_u32_e64 v79, null, s11, v79, vcc_lo
	v_div_scale_f32 v43, null, v75, v75, 1.0
	v_add_co_u32 v82, vcc_lo, s10, v9
	v_fma_f32 v9, -v87, v90, v65
	s_delay_alu instid0(VALU_DEP_3)
	v_rcp_f32_e32 v87, v43
	s_wait_alu 0xfffd
	v_add_co_ci_u32_e64 v83, null, s11, v10, vcc_lo
	s_mov_b32 vcc_lo, s0
	v_div_scale_f32 v65, null, v91, v91, 1.0
	s_wait_alu 0xfffe
	v_div_fmas_f32 v33, v9, v88, v90
	v_add_co_u32 v9, vcc_lo, s6, v28
	s_wait_alu 0xfffd
	v_add_co_ci_u32_e64 v10, null, s7, v29, vcc_lo
	s_delay_alu instid0(VALU_DEP_3)
	v_div_fixup_f32 v33, v33, v86, 1.0
	s_wait_loadcnt 0x14
	v_dual_mul_f32 v86, v36, v42 :: v_dual_mul_f32 v41, v42, v41
	global_load_b32 v92, v[9:10], off
	v_fma_f32 v10, -v43, v87, 1.0
	v_rcp_f32_e32 v90, v65
	v_mul_f32_e32 v9, v86, v33
	v_div_scale_f32 v20, vcc_lo, 1.0, v75, 1.0
	s_delay_alu instid0(VALU_DEP_3)
	v_fmac_f32_e32 v87, v10, v87
	global_load_b32 v88, v[54:55], off
	v_min_num_f32_e32 v9, 0x7cf0bdc2, v9
	v_lshlrev_b64_e32 v[52:53], 2, v[52:53]
	global_load_b32 v23, v[70:71], off
	v_mul_f32_e32 v54, v20, v87
	v_fma_f32 v10, -v65, v90, 1.0
	s_wait_loadcnt 0x16
	v_mul_f32_e32 v9, v44, v9
	s_delay_alu instid0(VALU_DEP_3) | instskip(NEXT) | instid1(VALU_DEP_3)
	v_fma_f32 v33, -v43, v54, v20
	v_fmac_f32_e32 v90, v10, v90
	global_store_b32 v[56:57], v9, off
	v_add_co_u32 v9, s1, s6, v52
	s_wait_alu 0xf1ff
	v_add_co_ci_u32_e64 v10, null, s7, v53, s1
	v_fmac_f32_e32 v54, v33, v87
	global_load_b32 v33, v[70:71], off
	s_wait_loadcnt 0x16
	v_mul_f32_e32 v70, v40, v39
	global_load_b32 v71, v[9:10], off
	v_fma_f32 v10, -v43, v54, v20
	v_lshlrev_b64_e32 v[43:44], 2, v[58:59]
	v_div_scale_f32 v20, null, v70, v70, 1.0
	s_wait_alu 0xfffd
	s_delay_alu instid0(VALU_DEP_3) | instskip(NEXT) | instid1(VALU_DEP_2)
	v_div_fmas_f32 v59, v10, v87, v54
	v_rcp_f32_e32 v58, v20
	s_delay_alu instid0(TRANS32_DEP_1) | instskip(NEXT) | instid1(VALU_DEP_1)
	v_fma_f32 v57, -v20, v58, 1.0
	v_fmac_f32_e32 v58, v57, v58
	v_div_scale_f32 v55, s0, 1.0, v91, 1.0
	s_delay_alu instid0(VALU_DEP_1) | instskip(NEXT) | instid1(VALU_DEP_1)
	v_mul_f32_e32 v56, v55, v90
	v_fma_f32 v9, -v65, v56, v55
	s_delay_alu instid0(VALU_DEP_1)
	v_fmac_f32_e32 v56, v9, v90
	v_add_co_u32 v9, vcc_lo, s6, v43
	s_wait_alu 0xfffd
	v_add_co_ci_u32_e64 v10, null, s7, v44, vcc_lo
	global_load_b32 v87, v[9:10], off
	global_load_b32 v93, v[30:31], off
	v_fma_f32 v9, -v65, v56, v55
	v_lshlrev_b64_e32 v[54:55], 2, v[62:63]
	s_mov_b32 vcc_lo, s0
	s_clause 0x2
	global_load_b32 v94, v[7:8], off
	global_load_b32 v95, v[11:12], off
	;; [unrolled: 1-line block ×3, first 2 shown]
	s_wait_alu 0xfffe
	v_div_fmas_f32 v62, v9, v90, v56
	v_add_co_u32 v9, vcc_lo, s6, v54
	s_wait_alu 0xfffd
	v_add_co_ci_u32_e64 v10, null, s7, v55, vcc_lo
	v_div_scale_f32 v56, vcc_lo, 1.0, v70, 1.0
	v_mul_f32_e32 v63, v42, v37
	global_load_b32 v90, v[9:10], off
	s_wait_loadcnt 0x1c
	v_dual_mul_f32 v10, v42, v48 :: v_dual_mul_f32 v9, v56, v58
	v_mov_b32_e32 v65, v1
	s_delay_alu instid0(VALU_DEP_2) | instskip(NEXT) | instid1(VALU_DEP_1)
	v_fma_f32 v7, -v20, v9, v56
	v_fmac_f32_e32 v9, v7, v58
	s_delay_alu instid0(VALU_DEP_1) | instskip(SKIP_3) | instid1(VALU_DEP_3)
	v_fma_f32 v7, -v20, v9, v56
	v_lshlrev_b64_e32 v[56:57], 2, v[68:69]
	v_div_scale_f32 v20, null, v10, v10, 1.0
	s_wait_alu 0xfffd
	v_div_fmas_f32 v9, v7, v58, v9
	v_div_fixup_f32 v58, v62, v91, 1.0
	s_delay_alu instid0(VALU_DEP_4)
	v_add_co_u32 v7, vcc_lo, s6, v56
	s_wait_alu 0xfffd
	v_add_co_ci_u32_e64 v8, null, s7, v57, vcc_lo
	global_load_b32 v68, v[7:8], off
	global_load_b32 v69, v[66:67], off
	v_div_fixup_f32 v7, v59, v75, 1.0
	global_load_b32 v75, v[80:81], off
	v_rcp_f32_e32 v62, v20
	v_div_fixup_f32 v9, v9, v70, 1.0
	global_load_b32 v48, v[82:83], off
	v_mul_f32_e32 v7, v86, v7
	global_load_b32 v86, v[78:79], off
	v_min_num_f32_e32 v8, 0x7cf0bdc2, v7
	global_load_b32 v7, v[50:51], off
	v_lshlrev_b64_e32 v[50:51], 2, v[64:65]
	s_wait_loadcnt 0x19
	v_mul_f32_e32 v21, v42, v21
	s_delay_alu instid0(VALU_DEP_1) | instskip(NEXT) | instid1(VALU_DEP_1)
	v_div_scale_f32 v64, null, v21, v21, 1.0
	v_rcp_f32_e32 v65, v64
	s_wait_loadcnt 0x14
	v_mul_f32_e32 v19, v40, v19
	s_wait_loadcnt 0x13
	v_mul_f32_e32 v8, v84, v8
	global_store_b32 v[60:61], v8, off
	v_mul_f32_e32 v8, v41, v58
	v_fma_f32 v41, -v20, v62, 1.0
	v_div_scale_f32 v61, null, v63, v63, 1.0
	v_div_scale_f32 v60, vcc_lo, 1.0, v10, 1.0
	s_delay_alu instid0(VALU_DEP_4) | instskip(NEXT) | instid1(VALU_DEP_4)
	v_min_num_f32_e32 v8, 0x7cf0bdc2, v8
	v_fmac_f32_e32 v62, v41, v62
	s_delay_alu instid0(VALU_DEP_4) | instskip(NEXT) | instid1(VALU_DEP_1)
	v_rcp_f32_e32 v41, v61
	v_mul_f32_e32 v70, v60, v62
	s_wait_loadcnt 0x12
	v_mul_f32_e32 v58, v85, v8
	v_add_co_u32 v8, s0, s6, v50
	global_store_b32 v[4:5], v58, off
	v_fma_f32 v4, -v61, v41, 1.0
	v_fma_f32 v58, -v20, v70, v60
	s_delay_alu instid0(VALU_DEP_2)
	v_fmac_f32_e32 v41, v4, v41
	v_add_co_u32 v4, s1, s6, v2
	s_wait_alu 0xf1ff
	v_add_co_ci_u32_e64 v5, null, s7, v3, s1
	v_fmac_f32_e32 v70, v58, v62
	global_load_b32 v84, v[4:5], off
	v_fma_f32 v4, -v20, v70, v60
	v_div_scale_f32 v60, s1, 1.0, v21, 1.0
	global_load_b32 v20, v[66:67], off
	s_wait_loadcnt 0x10
	v_mul_f32_e32 v59, v42, v23
	s_delay_alu instid0(VALU_DEP_1) | instskip(NEXT) | instid1(VALU_DEP_1)
	v_mul_f32_e32 v9, v59, v9
	v_min_num_f32_e32 v9, 0x7cf0bdc2, v9
	s_delay_alu instid0(VALU_DEP_1)
	v_mul_f32_e32 v59, v89, v9
	v_add_co_ci_u32_e64 v9, null, s7, v51, s0
	global_store_b32 v[76:77], v59, off
	v_div_scale_f32 v76, s0, 1.0, v63, 1.0
	global_load_b32 v77, v[8:9], off
	v_lshlrev_b64_e32 v[58:59], 2, v[0:1]
	v_fma_f32 v8, -v64, v65, 1.0
	v_mul_f32_e32 v9, v76, v41
	s_delay_alu instid0(VALU_DEP_2) | instskip(NEXT) | instid1(VALU_DEP_2)
	v_fmac_f32_e32 v65, v8, v65
	v_fma_f32 v0, -v61, v9, v76
	s_wait_alu 0xfffd
	v_div_fmas_f32 v8, v4, v62, v70
	v_add_co_u32 v4, vcc_lo, s6, v58
	s_wait_alu 0xfffd
	v_add_co_ci_u32_e64 v5, null, s7, v59, vcc_lo
	v_fmac_f32_e32 v9, v0, v41
	v_mul_f32_e32 v62, v60, v65
	s_mov_b32 vcc_lo, s0
	global_load_b32 v70, v[4:5], off
	v_div_fixup_f32 v8, v8, v10, 1.0
	v_fma_f32 v0, -v61, v9, v76
	v_fma_f32 v61, -v64, v62, v60
	s_wait_alu 0xfffe
	s_delay_alu instid0(VALU_DEP_2) | instskip(SKIP_1) | instid1(VALU_DEP_3)
	v_div_fmas_f32 v41, v0, v41, v9
	v_mul_f32_e32 v9, v40, v49
	v_fmac_f32_e32 v62, v61, v65
	s_mov_b32 vcc_lo, s1
	s_delay_alu instid0(VALU_DEP_2) | instskip(NEXT) | instid1(VALU_DEP_2)
	v_mul_f32_e32 v8, v9, v8
	v_fma_f32 v64, -v64, v62, v60
	s_clause 0x1
	global_load_b32 v76, v[30:31], off
	global_load_b32 v9, v[30:31], off
	v_min_num_f32_e32 v8, 0x7cf0bdc2, v8
	s_wait_alu 0xfffe
	v_div_fmas_f32 v64, v64, v65, v62
	s_delay_alu instid0(VALU_DEP_2)
	v_mul_f32_e32 v8, v32, v8
	s_wait_loadcnt 0x10
	v_mul_f32_e32 v62, v40, v93
	v_div_fixup_f32 v32, v41, v63, 1.0
	global_store_b32 v[24:25], v8, off
	global_load_b32 v8, v[11:12], off
	v_mul_f32_e32 v32, v32, v62
	s_delay_alu instid0(VALU_DEP_1) | instskip(NEXT) | instid1(VALU_DEP_1)
	v_min_num_f32_e32 v32, 0x7cf0bdc2, v32
	v_mul_f32_e32 v32, v88, v32
	s_wait_loadcnt 0xb
	v_mul_f32_e32 v36, v36, v69
	s_wait_loadcnt 0xa
	v_mad_co_u64_u32 v[4:5], null, 0x9f, s2, v[74:75]
	v_dual_mov_b32 v5, v1 :: v_dual_mul_f32 v74, v42, v35
	s_delay_alu instid0(VALU_DEP_2) | instskip(NEXT) | instid1(VALU_DEP_2)
	v_add_nc_u32_e32 v0, s2, v4
	v_lshlrev_b64_e32 v[30:31], 2, v[4:5]
	s_delay_alu instid0(VALU_DEP_3) | instskip(SKIP_1) | instid1(VALU_DEP_4)
	v_div_scale_f32 v10, null, v74, v74, 1.0
	v_div_scale_f32 v85, vcc_lo, 1.0, v74, 1.0
	v_lshlrev_b64_e32 v[60:61], 2, v[0:1]
	v_add_nc_u32_e32 v0, s2, v0
	s_delay_alu instid0(VALU_DEP_4) | instskip(NEXT) | instid1(VALU_DEP_1)
	v_rcp_f32_e32 v65, v10
	v_lshlrev_b64_e32 v[4:5], 2, v[0:1]
	v_add_nc_u32_e32 v0, s5, v0
	v_div_fixup_f32 v21, v64, v21, 1.0
	s_delay_alu instid0(VALU_DEP_2) | instskip(NEXT) | instid1(TRANS32_DEP_1)
	v_lshlrev_b64_e32 v[24:25], 2, v[0:1]
	v_fma_f32 v41, -v10, v65, 1.0
	v_add_nc_u32_e32 v0, s4, v0
	s_delay_alu instid0(VALU_DEP_3) | instskip(SKIP_1) | instid1(VALU_DEP_4)
	v_add_co_u32 v24, s0, s10, v24
	s_wait_alu 0xf1ff
	v_add_co_ci_u32_e64 v25, null, s11, v25, s0
	v_add_co_u32 v62, s0, s6, v30
	s_wait_alu 0xf1ff
	v_add_co_ci_u32_e64 v63, null, s7, v31, s0
	v_fmac_f32_e32 v65, v41, v65
	global_load_b32 v62, v[62:63], off
	global_load_b32 v63, v[24:25], off
	v_mul_f32_e32 v12, v42, v95
	v_mul_f32_e32 v42, v37, v40
	;; [unrolled: 1-line block ×3, first 2 shown]
	s_delay_alu instid0(VALU_DEP_3) | instskip(NEXT) | instid1(VALU_DEP_3)
	v_div_scale_f32 v24, null, v12, v12, 1.0
	v_mul_f32_e32 v42, v42, v21
	s_delay_alu instid0(VALU_DEP_2) | instskip(NEXT) | instid1(VALU_DEP_1)
	v_rcp_f32_e32 v25, v24
	v_dual_min_num_f32 v42, 0x7cf0bdc2, v42 :: v_dual_mul_f32 v11, v85, v65
	s_delay_alu instid0(VALU_DEP_1) | instskip(NEXT) | instid1(VALU_DEP_2)
	v_mul_f32_e32 v42, v92, v42
	v_fma_f32 v41, -v10, v11, v85
	s_delay_alu instid0(VALU_DEP_1) | instskip(NEXT) | instid1(TRANS32_DEP_1)
	v_fmac_f32_e32 v11, v41, v65
	v_fma_f32 v41, -v24, v25, 1.0
	s_delay_alu instid0(VALU_DEP_2) | instskip(NEXT) | instid1(VALU_DEP_2)
	v_fma_f32 v10, -v10, v11, v85
	v_fmac_f32_e32 v25, v41, v25
	s_wait_alu 0xfffd
	s_delay_alu instid0(VALU_DEP_2)
	v_div_fmas_f32 v64, v10, v65, v11
	v_add_co_u32 v10, s0, s6, v60
	s_wait_alu 0xf1ff
	v_add_co_ci_u32_e64 v11, null, s7, v61, s0
	global_load_b32 v85, v[10:11], off
	s_clause 0x1
	global_load_b32 v21, v[72:73], off
	global_load_b32 v10, v[72:73], off
	v_div_scale_f32 v41, vcc_lo, 1.0, v12, 1.0
	global_load_b32 v11, v[66:67], off
	v_div_scale_f32 v66, null, v96, v96, 1.0
	v_mul_f32_e32 v65, v41, v25
	v_div_fixup_f32 v64, v64, v74, 1.0
	global_store_b32 v[26:27], v32, off
	v_rcp_f32_e32 v67, v66
	v_mul_f32_e32 v32, v95, v94
	v_fma_f32 v72, -v24, v65, v41
	v_dual_mul_f32 v19, v64, v19 :: v_dual_mul_f32 v74, v39, v96
	s_delay_alu instid0(VALU_DEP_2) | instskip(NEXT) | instid1(VALU_DEP_1)
	v_fmac_f32_e32 v65, v72, v25
	v_fma_f32 v24, -v24, v65, v41
	s_delay_alu instid0(TRANS32_DEP_1) | instskip(SKIP_1) | instid1(VALU_DEP_2)
	v_fma_f32 v41, -v66, v67, 1.0
	s_wait_alu 0xfffd
	v_div_fmas_f32 v24, v24, v25, v65
	s_delay_alu instid0(VALU_DEP_2) | instskip(SKIP_1) | instid1(VALU_DEP_3)
	v_fmac_f32_e32 v67, v41, v67
	v_div_scale_f32 v41, vcc_lo, 1.0, v96, 1.0
	v_div_fixup_f32 v12, v24, v12, 1.0
	v_add_co_u32 v24, s0, s8, v28
	s_delay_alu instid0(VALU_DEP_3)
	v_mul_f32_e32 v64, v41, v67
	s_wait_alu 0xf1ff
	v_add_co_ci_u32_e64 v25, null, s9, v29, s0
	v_mul_f32_e32 v12, v40, v12
	v_div_scale_f32 v40, null, v32, v32, 1.0
	v_fma_f32 v26, -v66, v64, v41
	global_store_b32 v[24:25], v42, off
	v_add_co_u32 v24, s0, s8, v52
	v_rcp_f32_e32 v42, v40
	v_fmac_f32_e32 v64, v26, v67
	s_wait_alu 0xf1ff
	v_add_co_ci_u32_e64 v25, null, s9, v53, s0
	v_add_co_u32 v26, s0, s8, v43
	s_delay_alu instid0(VALU_DEP_3) | instskip(SKIP_3) | instid1(TRANS32_DEP_1)
	v_fma_f32 v28, -v66, v64, v41
	v_mul_f32_e32 v41, v49, v69
	s_wait_alu 0xf1ff
	v_add_co_ci_u32_e64 v27, null, s9, v44, s0
	v_fma_f32 v44, -v40, v42, 1.0
	v_min_num_f32_e32 v12, 0x7cf0bdc2, v12
	v_mul_f32_e32 v52, v6, v41
	s_wait_alu 0xfffd
	v_div_fmas_f32 v43, v28, v67, v64
	v_add_co_u32 v28, vcc_lo, s6, v4
	s_wait_alu 0xfffd
	v_add_co_ci_u32_e64 v29, null, s7, v5, vcc_lo
	v_fmac_f32_e32 v42, v44, v42
	v_mul_f32_e32 v12, v87, v12
	v_div_fixup_f32 v43, v43, v96, 1.0
	global_load_b32 v64, v[28:29], off
	v_lshlrev_b64_e32 v[28:29], 2, v[0:1]
	v_dual_min_num_f32 v19, 0x7cf0bdc2, v19 :: v_dual_add_nc_u32 v0, s2, v0
	v_div_scale_f32 v44, vcc_lo, 1.0, v32, 1.0
	s_wait_loadcnt 0xc
	v_mul_f32_e32 v45, v45, v20
	s_delay_alu instid0(VALU_DEP_3)
	v_mul_f32_e32 v19, v71, v19
	s_clause 0x1
	global_store_b32 v[24:25], v19, off
	global_store_b32 v[26:27], v12, off
	v_add_co_u32 v24, s0, s6, v28
	v_mul_f32_e32 v12, v52, v43
	s_wait_alu 0xf1ff
	v_add_co_ci_u32_e64 v25, null, s7, v29, s0
	global_load_b32 v19, v[80:81], off
	global_load_b32 v65, v[24:25], off
	v_dual_min_num_f32 v24, 0x7cf0bdc2, v12 :: v_dual_mul_f32 v27, v44, v42
	v_lshlrev_b64_e32 v[25:26], 2, v[0:1]
	v_add_nc_u32_e32 v0, s2, v0
	global_load_b32 v12, v[78:79], off
	v_mul_f32_e32 v24, v90, v24
	v_fma_f32 v43, -v40, v27, v44
	v_mul_f32_e32 v52, v96, v75
	v_div_scale_f32 v78, null, v74, v74, 1.0
	s_delay_alu instid0(VALU_DEP_3) | instskip(NEXT) | instid1(VALU_DEP_3)
	v_fmac_f32_e32 v27, v43, v42
	v_div_scale_f32 v53, null, v52, v52, 1.0
	v_mul_f32_e32 v43, v37, v38
	v_add_co_u32 v37, s0, s6, v25
	s_delay_alu instid0(VALU_DEP_3)
	v_rcp_f32_e32 v66, v53
	v_fma_f32 v40, -v40, v27, v44
	s_wait_alu 0xf1ff
	v_add_co_ci_u32_e64 v38, null, s7, v26, s0
	v_mul_f32_e32 v43, v43, v86
	v_rcp_f32_e32 v86, v78
	s_wait_alu 0xfffd
	v_div_fmas_f32 v27, v40, v42, v27
	global_load_b32 v67, v[37:38], off
	v_div_scale_f32 v72, vcc_lo, 1.0, v52, 1.0
	v_fma_f32 v37, -v53, v66, 1.0
	v_div_fixup_f32 v27, v27, v32, 1.0
	s_delay_alu instid0(VALU_DEP_1) | instskip(NEXT) | instid1(VALU_DEP_3)
	v_mul_f32_e32 v27, v41, v27
	v_fmac_f32_e32 v66, v37, v66
	v_lshlrev_b64_e32 v[37:38], 2, v[0:1]
	v_dual_mul_f32 v71, v6, v43 :: v_dual_add_nc_u32 v0, s2, v0
	s_delay_alu instid0(VALU_DEP_4) | instskip(NEXT) | instid1(VALU_DEP_4)
	v_min_num_f32_e32 v27, 0x7cf0bdc2, v27
	v_mul_f32_e32 v75, v72, v66
	s_delay_alu instid0(VALU_DEP_4) | instskip(NEXT) | instid1(VALU_DEP_4)
	v_add_co_u32 v39, s0, s6, v37
	v_div_scale_f32 v32, null, v71, v71, 1.0
	s_wait_alu 0xf1ff
	v_add_co_ci_u32_e64 v40, null, s7, v38, s0
	s_delay_alu instid0(VALU_DEP_2) | instskip(SKIP_4) | instid1(VALU_DEP_3)
	v_rcp_f32_e32 v73, v32
	global_load_b32 v79, v[39:40], off
	v_lshlrev_b64_e32 v[39:40], 2, v[0:1]
	v_add_nc_u32_e32 v0, s2, v0
	v_fma_f32 v80, -v53, v75, v72
	v_add_co_u32 v41, s0, s6, v39
	s_wait_alu 0xf1ff
	s_delay_alu instid0(VALU_DEP_4)
	v_add_co_ci_u32_e64 v42, null, s7, v40, s0
	v_add_co_u32 v43, s0, s8, v54
	v_fma_f32 v81, -v32, v73, 1.0
	s_wait_alu 0xf1ff
	v_add_co_ci_u32_e64 v44, null, s9, v55, s0
	v_fmac_f32_e32 v75, v80, v66
	global_load_b32 v80, v[41:42], off
	v_fmac_f32_e32 v73, v81, v73
	global_store_b32 v[43:44], v24, off
	v_mul_f32_e32 v24, v68, v27
	v_fma_f32 v27, -v53, v75, v72
	v_div_scale_f32 v54, s0, 1.0, v71, 1.0
	v_fma_f32 v41, -v78, v86, 1.0
	v_div_scale_f32 v68, s1, 1.0, v74, 1.0
	s_wait_alu 0xfffd
	v_div_fmas_f32 v27, v27, v66, v75
	s_delay_alu instid0(VALU_DEP_3) | instskip(SKIP_1) | instid1(VALU_DEP_3)
	v_dual_mul_f32 v55, v54, v73 :: v_dual_fmac_f32 v86, v41, v86
	v_add_co_u32 v41, vcc_lo, s8, v56
	v_div_fixup_f32 v27, v27, v52, 1.0
	s_wait_alu 0xfffd
	v_add_co_ci_u32_e64 v42, null, s9, v57, vcc_lo
	v_fma_f32 v43, -v32, v55, v54
	v_mul_f32_e32 v66, v68, v86
	v_mul_f32_e32 v27, v36, v27
	global_store_b32 v[41:42], v24, off
	v_lshlrev_b64_e32 v[41:42], 2, v[0:1]
	v_add_nc_u32_e32 v0, s2, v0
	v_div_scale_f32 v56, null, v48, v48, 1.0
	v_min_num_f32_e32 v27, 0x7cf0bdc2, v27
	v_fmac_f32_e32 v55, v43, v73
	v_fma_f32 v43, -v78, v66, v68
	v_lshlrev_b64_e32 v[52:53], 2, v[0:1]
	global_load_b32 v24, v[82:83], off
	v_rcp_f32_e32 v57, v56
	v_fma_f32 v32, -v32, v55, v54
	v_fmac_f32_e32 v66, v43, v86
	v_add_co_u32 v43, vcc_lo, s6, v41
	s_wait_alu 0xfffd
	v_add_co_ci_u32_e64 v44, null, s7, v42, vcc_lo
	s_delay_alu instid0(VALU_DEP_3)
	v_fma_f32 v54, -v78, v66, v68
	s_mov_b32 vcc_lo, s0
	s_wait_loadcnt 0x12
	v_dual_mul_f32 v27, v77, v27 :: v_dual_add_nc_u32 v0, s2, v0
	global_load_b32 v68, v[43:44], off
	s_wait_alu 0xfffe
	v_div_fmas_f32 v32, v32, v73, v55
	v_add_co_u32 v43, vcc_lo, s6, v52
	s_wait_alu 0xfffd
	v_add_co_ci_u32_e64 v44, null, s7, v53, vcc_lo
	s_delay_alu instid0(VALU_DEP_3)
	v_div_fixup_f32 v32, v32, v71, 1.0
	s_mov_b32 vcc_lo, s1
	v_div_scale_f32 v78, null, v45, v45, 1.0
	s_wait_alu 0xfffe
	v_div_fmas_f32 v54, v54, v86, v66
	v_mul_f32_e32 v32, v36, v32
	global_load_b32 v66, v[43:44], off
	v_fma_f32 v43, -v56, v57, 1.0
	v_mul_f32_e32 v23, v23, v69
	v_div_fixup_f32 v36, v54, v74, 1.0
	v_min_num_f32_e32 v32, 0x7cf0bdc2, v32
	v_div_scale_f32 v69, vcc_lo, 1.0, v48, 1.0
	v_fmac_f32_e32 v57, v43, v57
	v_lshlrev_b64_e32 v[43:44], 2, v[0:1]
	s_delay_alu instid0(VALU_DEP_4) | instskip(NEXT) | instid1(VALU_DEP_3)
	v_dual_mul_f32 v32, v84, v32 :: v_dual_mul_f32 v71, v34, v35
	v_dual_mul_f32 v23, v23, v36 :: v_dual_mul_f32 v36, v69, v57
	v_add_co_u32 v34, s0, s8, v50
	s_delay_alu instid0(VALU_DEP_3) | instskip(NEXT) | instid1(VALU_DEP_3)
	v_div_scale_f32 v72, null, v71, v71, 1.0
	v_fma_f32 v50, -v56, v36, v69
	v_add_nc_u32_e32 v0, s2, v0
	s_wait_alu 0xf1ff
	v_add_co_ci_u32_e64 v35, null, s9, v51, s0
	v_rcp_f32_e32 v73, v72
	v_dual_fmac_f32 v36, v50, v57 :: v_dual_min_num_f32 v23, 0x7cf0bdc2, v23
	v_add_co_u32 v2, s0, s8, v2
	s_wait_alu 0xf1ff
	v_add_co_ci_u32_e64 v3, null, s9, v3, s0
	v_add_co_u32 v50, s0, s6, v43
	v_lshlrev_b64_e32 v[54:55], 2, v[0:1]
	s_wait_alu 0xf1ff
	v_add_co_ci_u32_e64 v51, null, s7, v44, s0
	s_wait_loadcnt 0x13
	v_dual_mul_f32 v23, v23, v70 :: v_dual_mul_f32 v74, v49, v96
	v_fma_f32 v70, -v72, v73, 1.0
	v_fma_f32 v56, -v56, v36, v69
	global_load_b32 v69, v[50:51], off
	v_add_co_u32 v50, s0, s6, v54
	v_dual_fmac_f32 v73, v70, v73 :: v_dual_add_nc_u32 v0, s2, v0
	s_wait_alu 0xf1ff
	v_add_co_ci_u32_e64 v51, null, s7, v55, s0
	v_div_scale_f32 v70, s0, 1.0, v71, 1.0
	s_wait_alu 0xfffd
	v_div_fmas_f32 v36, v56, v57, v36
	global_load_b32 v75, v[50:51], off
	v_lshlrev_b64_e32 v[50:51], 2, v[0:1]
	v_dual_mul_f32 v81, v6, v74 :: v_dual_add_nc_u32 v0, s2, v0
	v_div_fixup_f32 v36, v36, v48, 1.0
	v_mul_f32_e32 v77, v70, v73
	v_rcp_f32_e32 v82, v78
	s_delay_alu instid0(VALU_DEP_4)
	v_add_co_u32 v56, vcc_lo, s6, v50
	s_wait_alu 0xfffd
	v_add_co_ci_u32_e64 v57, null, s7, v51, vcc_lo
	v_mul_f32_e32 v36, v81, v36
	v_fma_f32 v48, -v72, v77, v70
	global_load_b32 v83, v[56:57], off
	v_add_co_u32 v56, vcc_lo, s8, v58
	v_fmac_f32_e32 v77, v48, v73
	s_wait_alu 0xfffd
	v_add_co_ci_u32_e64 v57, null, s9, v59, vcc_lo
	s_clause 0x2
	global_store_b32 v[34:35], v27, off
	global_store_b32 v[2:3], v32, off
	;; [unrolled: 1-line block ×3, first 2 shown]
	v_fma_f32 v2, -v72, v77, v70
	v_fma_f32 v3, -v78, v82, 1.0
	s_mov_b32 vcc_lo, s0
	v_mul_f32_e32 v70, v33, v13
	s_wait_alu 0xfffe
	v_div_fmas_f32 v27, v2, v73, v77
	v_mul_f32_e32 v2, v46, v16
	v_dual_min_num_f32 v23, 0x7cf0bdc2, v36 :: v_dual_fmac_f32 v82, v3, v82
	v_div_scale_f32 v32, vcc_lo, 1.0, v45, 1.0
	s_wait_loadcnt 0x11
	s_delay_alu instid0(VALU_DEP_3) | instskip(SKIP_1) | instid1(VALU_DEP_3)
	v_mul_f32_e32 v34, v2, v63
	v_lshlrev_b64_e32 v[2:3], 2, v[0:1]
	v_dual_mul_f32 v23, v62, v23 :: v_dual_mul_f32 v36, v32, v82
	v_div_fixup_f32 v27, v27, v71, 1.0
	v_div_scale_f32 v73, null, v70, v70, 1.0
	v_add_nc_u32_e32 v0, s2, v0
	s_delay_alu instid0(VALU_DEP_4) | instskip(NEXT) | instid1(VALU_DEP_4)
	v_fma_f32 v48, -v78, v36, v32
	v_mul_f32_e32 v27, v27, v74
	v_mul_f32_e32 v62, v6, v34
	v_add_co_u32 v34, s0, s6, v2
	s_wait_alu 0xf1ff
	v_add_co_ci_u32_e64 v35, null, s7, v3, s0
	v_add_co_u32 v30, s0, s8, v30
	s_wait_alu 0xf1ff
	v_add_co_ci_u32_e64 v31, null, s9, v31, s0
	v_min_num_f32_e32 v27, 0x7cf0bdc2, v27
	v_div_scale_f32 v63, null, v62, v62, 1.0
	v_fmac_f32_e32 v36, v48, v82
	v_rcp_f32_e32 v74, v73
	global_store_b32 v[30:31], v23, off
	v_rcp_f32_e32 v72, v63
	global_load_b32 v71, v[34:35], off
	v_add_co_u32 v30, s0, s8, v60
	s_wait_loadcnt 0x11
	v_mul_f32_e32 v23, v27, v85
	v_fma_f32 v32, -v78, v36, v32
	s_wait_loadcnt 0x10
	v_mul_f32_e32 v27, v49, v21
	s_wait_alu 0xf1ff
	v_add_co_ci_u32_e64 v31, null, s9, v61, s0
	v_fma_f32 v34, -v73, v74, 1.0
	s_wait_alu 0xfffd
	v_div_fmas_f32 v32, v32, v82, v36
	v_fma_f32 v33, -v63, v72, 1.0
	v_div_scale_f32 v36, vcc_lo, 1.0, v62, 1.0
	v_fmac_f32_e32 v74, v34, v74
	s_delay_alu instid0(VALU_DEP_4) | instskip(SKIP_3) | instid1(VALU_DEP_4)
	v_div_fixup_f32 v32, v32, v45, 1.0
	v_div_scale_f32 v60, s0, 1.0, v70, 1.0
	v_fmac_f32_e32 v72, v33, v72
	v_mul_f32_e32 v77, v17, v20
	v_mul_f32_e32 v27, v27, v32
	s_delay_alu instid0(VALU_DEP_4) | instskip(SKIP_2) | instid1(VALU_DEP_4)
	v_mul_f32_e32 v61, v60, v74
	v_lshlrev_b64_e32 v[32:33], 2, v[0:1]
	v_mul_f32_e32 v45, v36, v72
	v_dual_min_num_f32 v27, 0x7cf0bdc2, v27 :: v_dual_add_nc_u32 v0, s2, v0
	v_div_scale_f32 v82, null, v77, v77, 1.0
	s_delay_alu instid0(VALU_DEP_3) | instskip(NEXT) | instid1(VALU_DEP_3)
	v_fma_f32 v56, -v63, v45, v36
	v_lshlrev_b64_e32 v[48:49], 2, v[0:1]
	v_add_co_u32 v34, s1, s6, v32
	s_wait_alu 0xf1ff
	v_add_co_ci_u32_e64 v35, null, s7, v33, s1
	v_fmac_f32_e32 v45, v56, v72
	s_delay_alu instid0(VALU_DEP_4)
	v_add_co_u32 v56, s1, s6, v48
	v_add_nc_u32_e32 v0, s2, v0
	s_wait_alu 0xf1ff
	v_add_co_ci_u32_e64 v57, null, s7, v49, s1
	v_fma_f32 v36, -v63, v45, v36
	global_load_b32 v78, v[34:35], off
	v_fma_f32 v63, -v73, v61, v60
	global_load_b32 v81, v[56:57], off
	global_store_b32 v[30:31], v23, off
	s_wait_alu 0xfffd
	v_div_fmas_f32 v36, v36, v72, v45
	v_mul_f32_e32 v45, v76, v21
	v_lshlrev_b64_e32 v[34:35], 2, v[0:1]
	v_dual_fmac_f32 v61, v63, v74 :: v_dual_add_nc_u32 v0, s2, v0
	s_mov_b32 vcc_lo, s0
	v_div_fixup_f32 v36, v36, v62, 1.0
	s_wait_loadcnt 0x10
	v_mul_f32_e32 v11, v15, v11
	v_lshlrev_b64_e32 v[0:1], 2, v[0:1]
	v_add_co_u32 v58, s1, s6, v34
	s_wait_alu 0xf1ff
	v_add_co_ci_u32_e64 v59, null, s7, v35, s1
	v_fma_f32 v60, -v73, v61, v60
	s_delay_alu instid0(VALU_DEP_4)
	v_add_co_u32 v56, s1, s6, v0
	s_wait_alu 0xf1ff
	v_add_co_ci_u32_e64 v57, null, s7, v1, s1
	global_load_b32 v58, v[58:59], off
	s_wait_alu 0xfffe
	v_div_fmas_f32 v60, v60, v74, v61
	v_add_co_u32 v4, vcc_lo, s8, v4
	global_load_b32 v56, v[56:57], off
	v_rcp_f32_e32 v59, v82
	v_div_fixup_f32 v30, v60, v70, 1.0
	v_mul_f32_e32 v57, v7, v20
	s_wait_loadcnt 0x11
	v_mul_f32_e32 v23, v64, v27
	v_mul_f32_e32 v27, v45, v36
	s_wait_alu 0xfffd
	v_add_co_ci_u32_e64 v5, null, s9, v5, vcc_lo
	v_mul_f32_e32 v30, v45, v30
	v_div_scale_f32 v62, null, v57, v57, 1.0
	v_fma_f32 v63, -v82, v59, 1.0
	global_store_b32 v[4:5], v23, off
	v_min_num_f32_e32 v23, 0x7cf0bdc2, v30
	v_rcp_f32_e32 v72, v62
	s_delay_alu instid0(TRANS32_DEP_1)
	v_fma_f32 v36, -v62, v72, 1.0
	v_fmac_f32_e32 v59, v63, v59
	v_div_scale_f32 v63, s1, 1.0, v77, 1.0
	s_mov_b32 vcc_lo, s1
	v_fmac_f32_e32 v72, v36, v72
	v_dual_mul_f32 v36, v22, v20 :: v_dual_mul_f32 v61, v63, v59
	v_mul_f32_e32 v20, v8, v20
	v_mul_f32_e32 v8, v8, v10
	s_delay_alu instid0(VALU_DEP_3) | instskip(NEXT) | instid1(VALU_DEP_4)
	v_div_scale_f32 v60, null, v36, v36, 1.0
	v_fma_f32 v31, -v82, v61, v63
	s_delay_alu instid0(VALU_DEP_1) | instskip(SKIP_1) | instid1(VALU_DEP_2)
	v_fmac_f32_e32 v61, v31, v59
	v_div_scale_f32 v31, s0, 1.0, v57, 1.0
	v_fma_f32 v4, -v82, v61, v63
	s_delay_alu instid0(VALU_DEP_2) | instskip(SKIP_1) | instid1(VALU_DEP_2)
	v_mul_f32_e32 v30, v31, v72
	s_wait_alu 0xfffe
	v_div_fmas_f32 v22, v4, v59, v61
	s_delay_alu instid0(VALU_DEP_2)
	v_fma_f32 v59, -v62, v30, v31
	v_add_co_u32 v4, vcc_lo, s8, v28
	v_min_num_f32_e32 v27, 0x7cf0bdc2, v27
	s_wait_alu 0xfffd
	v_add_co_ci_u32_e64 v5, null, s9, v29, vcc_lo
	v_div_fixup_f32 v29, v22, v77, 1.0
	v_fmac_f32_e32 v30, v59, v72
	v_rcp_f32_e32 v59, v60
	v_add_co_u32 v22, vcc_lo, s8, v25
	s_wait_loadcnt 0xd
	v_mul_f32_e32 v28, v67, v23
	s_wait_alu 0xfffd
	v_add_co_ci_u32_e64 v23, null, s9, v26, vcc_lo
	v_mul_f32_e32 v25, v45, v29
	v_fma_f32 v26, -v62, v30, v31
	v_div_scale_f32 v29, null, v20, v20, 1.0
	s_mov_b32 vcc_lo, s0
	v_mul_f32_e32 v27, v65, v27
	s_wait_alu 0xfffe
	v_div_fmas_f32 v26, v26, v72, v30
	v_fma_f32 v30, -v60, v59, 1.0
	v_rcp_f32_e32 v45, v29
	v_min_num_f32_e32 v25, 0x7cf0bdc2, v25
	v_mul_f32_e32 v31, v17, v21
	v_div_fixup_f32 v26, v26, v57, 1.0
	v_fmac_f32_e32 v59, v30, v59
	v_div_scale_f32 v30, vcc_lo, 1.0, v36, 1.0
	s_clause 0x1
	global_store_b32 v[4:5], v27, off
	global_store_b32 v[22:23], v28, off
	s_wait_loadcnt 0xc
	v_mul_f32_e32 v22, v79, v25
	v_mul_f32_e32 v23, v31, v26
	v_mul_f32_e32 v25, v30, v59
	v_fma_f32 v26, -v29, v45, 1.0
	v_add_co_u32 v4, s0, s8, v37
	s_wait_alu 0xf1ff
	v_add_co_ci_u32_e64 v5, null, s9, v38, s0
	v_fma_f32 v27, -v60, v25, v30
	v_fmac_f32_e32 v45, v26, v45
	v_div_scale_f32 v26, s0, 1.0, v20, 1.0
	v_min_num_f32_e32 v23, 0x7cf0bdc2, v23
	s_delay_alu instid0(VALU_DEP_4)
	v_fmac_f32_e32 v25, v27, v59
	global_store_b32 v[4:5], v22, off
	v_mul_f32_e32 v27, v26, v45
	v_mul_f32_e32 v22, v16, v13
	v_add_co_u32 v4, s1, s8, v39
	v_fma_f32 v30, -v60, v25, v30
	s_delay_alu instid0(VALU_DEP_4)
	v_fma_f32 v31, -v29, v27, v26
	s_wait_loadcnt 0xb
	v_mul_f32_e32 v23, v80, v23
	v_div_scale_f32 v28, null, v22, v22, 1.0
	s_wait_alu 0xfffd
	v_div_fmas_f32 v25, v30, v59, v25
	v_fmac_f32_e32 v27, v31, v45
	s_wait_alu 0xf1ff
	v_add_co_ci_u32_e64 v5, null, s9, v40, s1
	v_mul_f32_e32 v31, v18, v21
	v_div_fixup_f32 v25, v25, v36, 1.0
	v_fma_f32 v26, -v29, v27, v26
	s_mov_b32 vcc_lo, s0
	v_rcp_f32_e32 v37, v28
	v_mul_f32_e32 v38, v47, v10
	global_store_b32 v[4:5], v23, off
	s_wait_alu 0xfffe
	v_div_fmas_f32 v26, v26, v45, v27
	v_dual_mul_f32 v23, v14, v13 :: v_dual_mul_f32 v14, v17, v14
	v_mul_f32_e32 v4, v31, v25
	v_div_scale_f32 v30, null, v38, v38, 1.0
	s_delay_alu instid0(VALU_DEP_3)
	v_dual_mul_f32 v7, v7, v10 :: v_dual_mul_f32 v14, v14, v13
	v_mul_f32_e32 v5, v16, v21
	v_div_fixup_f32 v16, v26, v20, 1.0
	v_min_num_f32_e32 v4, 0x7cf0bdc2, v4
	v_fma_f32 v29, -v28, v37, 1.0
	v_rcp_f32_e32 v36, v30
	s_delay_alu instid0(VALU_DEP_3)
	v_dual_mul_f32 v6, v6, v14 :: v_dual_mul_f32 v5, v5, v16
	v_div_scale_f32 v27, vcc_lo, 1.0, v22, 1.0
	s_wait_loadcnt 0x9
	v_dual_fmac_f32 v37, v29, v37 :: v_dual_mul_f32 v26, v68, v4
	v_add_co_u32 v4, s1, s8, v41
	v_min_num_f32_e32 v29, 0x7cf0bdc2, v5
	s_wait_alu 0xf1ff
	v_add_co_ci_u32_e64 v5, null, s9, v42, s1
	s_delay_alu instid0(TRANS32_DEP_1)
	v_fma_f32 v21, -v30, v36, 1.0
	v_mul_f32_e32 v14, v17, v24
	v_div_scale_f32 v25, null, v23, v23, 1.0
	global_store_b32 v[4:5], v26, off
	v_mul_f32_e32 v26, v18, v10
	v_mul_f32_e32 v20, v27, v37
	v_fmac_f32_e32 v36, v21, v36
	v_div_scale_f32 v21, s0, 1.0, v38, 1.0
	v_rcp_f32_e32 v31, v25
	s_delay_alu instid0(VALU_DEP_3)
	v_fma_f32 v16, -v28, v20, v27
	v_mul_f32_e32 v18, v18, v24
	s_wait_loadcnt 0x8
	v_mul_f32_e32 v29, v66, v29
	v_mul_f32_e32 v9, v9, v24
	v_dual_mul_f32 v19, v19, v24 :: v_dual_fmac_f32 v20, v16, v37
	v_mul_f32_e32 v16, v21, v36
	v_div_scale_f32 v17, null, v6, v6, 1.0
	s_delay_alu instid0(TRANS32_DEP_1) | instskip(NEXT) | instid1(VALU_DEP_4)
	v_fma_f32 v39, -v25, v31, 1.0
	v_fma_f32 v27, -v28, v20, v27
	s_delay_alu instid0(VALU_DEP_4) | instskip(NEXT) | instid1(VALU_DEP_3)
	v_fma_f32 v28, -v30, v16, v21
	v_fmac_f32_e32 v31, v39, v31
	s_wait_alu 0xfffd
	s_delay_alu instid0(VALU_DEP_3) | instskip(NEXT) | instid1(VALU_DEP_3)
	v_div_fmas_f32 v20, v27, v37, v20
	v_fmac_f32_e32 v16, v28, v36
	v_div_scale_f32 v27, s1, 1.0, v23, 1.0
	v_div_scale_f32 v37, null, v7, v7, 1.0
	s_delay_alu instid0(VALU_DEP_4) | instskip(NEXT) | instid1(VALU_DEP_4)
	v_div_fixup_f32 v22, v20, v22, 1.0
	v_fma_f32 v20, -v30, v16, v21
	s_delay_alu instid0(VALU_DEP_4)
	v_mul_f32_e32 v30, v27, v31
	s_mov_b32 vcc_lo, s0
	v_rcp_f32_e32 v39, v37
	v_mul_f32_e32 v28, v46, v24
	s_wait_alu 0xfffe
	v_div_fmas_f32 v16, v20, v36, v16
	v_fma_f32 v36, -v25, v30, v27
	v_add_co_u32 v20, vcc_lo, s8, v52
	s_wait_alu 0xfffd
	v_add_co_ci_u32_e64 v21, null, s9, v53, vcc_lo
	s_delay_alu instid0(VALU_DEP_3)
	v_fmac_f32_e32 v30, v36, v31
	v_mul_f32_e32 v22, v28, v22
	v_div_fixup_f32 v4, v16, v38, 1.0
	global_store_b32 v[20:21], v29, off
	v_fma_f32 v20, -v37, v39, 1.0
	v_fma_f32 v16, -v25, v30, v27
	s_mov_b32 vcc_lo, s1
	v_dual_min_num_f32 v5, 0x7cf0bdc2, v22 :: v_dual_mul_f32 v4, v28, v4
	s_delay_alu instid0(VALU_DEP_3)
	v_fmac_f32_e32 v39, v20, v39
	s_wait_alu 0xfffe
	v_div_fmas_f32 v16, v16, v31, v30
	v_div_scale_f32 v22, vcc_lo, 1.0, v7, 1.0
	v_min_num_f32_e32 v20, 0x7cf0bdc2, v4
	v_add_co_u32 v4, s0, s8, v43
	s_delay_alu instid0(VALU_DEP_4) | instskip(NEXT) | instid1(VALU_DEP_4)
	v_div_fixup_f32 v16, v16, v23, 1.0
	v_mul_f32_e32 v23, v22, v39
	s_wait_loadcnt 0x7
	v_mul_f32_e32 v25, v69, v5
	s_wait_alu 0xf1ff
	v_add_co_ci_u32_e64 v5, null, s9, v44, s0
	v_mul_f32_e32 v9, v9, v16
	v_fma_f32 v16, -v37, v23, v22
	s_wait_loadcnt 0x6
	v_mul_f32_e32 v27, v75, v20
	v_add_co_u32 v20, s0, s8, v54
	v_div_scale_f32 v28, null, v26, v26, 1.0
	v_fmac_f32_e32 v23, v16, v39
	s_wait_alu 0xf1ff
	v_add_co_ci_u32_e64 v21, null, s9, v55, s0
	s_delay_alu instid0(VALU_DEP_3)
	v_rcp_f32_e32 v16, v28
	s_clause 0x1
	global_store_b32 v[4:5], v25, off
	global_store_b32 v[20:21], v27, off
	v_fma_f32 v4, -v37, v23, v22
	v_min_num_f32_e32 v9, 0x7cf0bdc2, v9
	v_rcp_f32_e32 v21, v17
	v_div_scale_f32 v22, null, v11, v11, 1.0
	s_wait_alu 0xfffd
	v_div_fmas_f32 v4, v4, v39, v23
	s_wait_loadcnt 0x5
	v_mul_f32_e32 v9, v83, v9
	v_fma_f32 v5, -v28, v16, 1.0
	v_div_scale_f32 v20, vcc_lo, 1.0, v26, 1.0
	v_div_fixup_f32 v7, v4, v7, 1.0
	v_add_co_u32 v4, s0, s8, v50
	s_delay_alu instid0(VALU_DEP_4)
	v_fmac_f32_e32 v16, v5, v16
	s_wait_alu 0xf1ff
	v_add_co_ci_u32_e64 v5, null, s9, v51, s0
	v_mul_f32_e32 v7, v14, v7
	v_div_scale_f32 v14, null, v8, v8, 1.0
	v_mul_f32_e32 v10, v20, v16
	global_store_b32 v[4:5], v9, off
	v_fma_f32 v4, -v17, v21, 1.0
	v_rcp_f32_e32 v9, v14
	v_min_num_f32_e32 v5, 0x7cf0bdc2, v7
	v_fma_f32 v7, -v28, v10, v20
	v_rcp_f32_e32 v25, v22
	v_fmac_f32_e32 v21, v4, v21
	v_div_scale_f32 v4, s0, 1.0, v6, 1.0
	s_delay_alu instid0(VALU_DEP_3) | instskip(SKIP_1) | instid1(TRANS32_DEP_2)
	v_fmac_f32_e32 v10, v7, v16
	v_add_co_u32 v2, s1, s8, v2
	v_fma_f32 v7, -v14, v9, 1.0
	s_wait_alu 0xf1ff
	v_add_co_ci_u32_e64 v3, null, s9, v3, s1
	s_wait_loadcnt 0x4
	v_mul_f32_e32 v23, v71, v5
	v_mul_f32_e32 v5, v4, v21
	v_fma_f32 v20, -v28, v10, v20
	v_fmac_f32_e32 v9, v7, v9
	v_div_scale_f32 v7, s1, 1.0, v8, 1.0
	s_delay_alu instid0(VALU_DEP_4)
	v_fma_f32 v27, -v17, v5, v4
	v_fma_f32 v28, -v22, v25, 1.0
	s_wait_alu 0xfffd
	v_div_fmas_f32 v10, v20, v16, v10
	v_mul_f32_e32 v16, v7, v9
	v_div_scale_f32 v20, s2, 1.0, v11, 1.0
	v_fmac_f32_e32 v5, v27, v21
	v_fmac_f32_e32 v25, v28, v25
	s_delay_alu instid0(VALU_DEP_4)
	v_fma_f32 v27, -v14, v16, v7
	s_mov_b32 vcc_lo, s0
	v_div_fixup_f32 v10, v10, v26, 1.0
	v_fma_f32 v4, -v17, v5, v4
	v_mul_f32_e32 v17, v20, v25
	v_fmac_f32_e32 v16, v27, v9
	s_delay_alu instid0(VALU_DEP_4)
	v_mul_f32_e32 v10, v19, v10
	s_wait_alu 0xfffe
	v_div_fmas_f32 v4, v4, v21, v5
	v_fma_f32 v5, -v22, v17, v20
	v_fma_f32 v7, -v14, v16, v7
	s_mov_b32 vcc_lo, s1
	s_delay_alu instid0(VALU_DEP_3) | instskip(NEXT) | instid1(VALU_DEP_3)
	v_div_fixup_f32 v4, v4, v6, 1.0
	v_fmac_f32_e32 v17, v5, v25
	s_wait_alu 0xfffe
	v_div_fmas_f32 v5, v7, v9, v16
	s_mov_b32 vcc_lo, s2
	v_dual_mul_f32 v9, v15, v24 :: v_dual_min_num_f32 v6, 0x7cf0bdc2, v10
	v_fma_f32 v7, -v22, v17, v20
	s_delay_alu instid0(VALU_DEP_3) | instskip(SKIP_2) | instid1(VALU_DEP_3)
	v_div_fixup_f32 v5, v5, v8, 1.0
	v_mul_f32_e32 v4, v18, v4
	s_wait_alu 0xfffe
	v_div_fmas_f32 v7, v7, v25, v17
	s_delay_alu instid0(VALU_DEP_3)
	v_mul_f32_e32 v8, v9, v5
	s_wait_loadcnt 0x3
	v_dual_mul_f32 v9, v12, v13 :: v_dual_mul_f32 v10, v78, v6
	v_min_num_f32_e32 v6, 0x7cf0bdc2, v4
	v_div_fixup_f32 v7, v7, v11, 1.0
	v_min_num_f32_e32 v8, 0x7cf0bdc2, v8
	v_add_co_u32 v4, vcc_lo, s8, v32
	s_wait_alu 0xfffd
	v_add_co_ci_u32_e64 v5, null, s9, v33, vcc_lo
	v_mul_f32_e32 v9, v9, v7
	s_wait_loadcnt 0x2
	v_mul_f32_e32 v11, v81, v6
	v_add_co_u32 v6, vcc_lo, s8, v48
	s_wait_alu 0xfffd
	v_add_co_ci_u32_e64 v7, null, s9, v49, vcc_lo
	s_wait_loadcnt 0x1
	v_dual_min_num_f32 v13, 0x7cf0bdc2, v9 :: v_dual_mul_f32 v12, v58, v8
	v_add_co_u32 v8, vcc_lo, s8, v34
	s_wait_alu 0xfffd
	v_add_co_ci_u32_e64 v9, null, s9, v35, vcc_lo
	v_add_co_u32 v0, vcc_lo, s8, v0
	s_wait_loadcnt 0x0
	v_mul_f32_e32 v13, v56, v13
	s_wait_alu 0xfffd
	v_add_co_ci_u32_e64 v1, null, s9, v1, vcc_lo
	s_clause 0x4
	global_store_b32 v[2:3], v23, off
	global_store_b32 v[4:5], v10, off
	global_store_b32 v[6:7], v11, off
	global_store_b32 v[8:9], v12, off
	global_store_b32 v[0:1], v13, off
	s_nop 0
	s_sendmsg sendmsg(MSG_DEALLOC_VGPRS)
	s_endpgm
	.section	.rodata,"a",@progbits
	.p2align	6, 0x0
	.amdhsa_kernel _Z12ratt9_kernelIfEvPKT_S2_PS0_S2_S0_
		.amdhsa_group_segment_fixed_size 0
		.amdhsa_private_segment_fixed_size 0
		.amdhsa_kernarg_size 296
		.amdhsa_user_sgpr_count 2
		.amdhsa_user_sgpr_dispatch_ptr 0
		.amdhsa_user_sgpr_queue_ptr 0
		.amdhsa_user_sgpr_kernarg_segment_ptr 1
		.amdhsa_user_sgpr_dispatch_id 0
		.amdhsa_user_sgpr_private_segment_size 0
		.amdhsa_wavefront_size32 1
		.amdhsa_uses_dynamic_stack 0
		.amdhsa_enable_private_segment 0
		.amdhsa_system_sgpr_workgroup_id_x 1
		.amdhsa_system_sgpr_workgroup_id_y 0
		.amdhsa_system_sgpr_workgroup_id_z 0
		.amdhsa_system_sgpr_workgroup_info 0
		.amdhsa_system_vgpr_workitem_id 0
		.amdhsa_next_free_vgpr 97
		.amdhsa_next_free_sgpr 12
		.amdhsa_reserve_vcc 1
		.amdhsa_float_round_mode_32 0
		.amdhsa_float_round_mode_16_64 0
		.amdhsa_float_denorm_mode_32 3
		.amdhsa_float_denorm_mode_16_64 3
		.amdhsa_fp16_overflow 0
		.amdhsa_workgroup_processor_mode 1
		.amdhsa_memory_ordered 1
		.amdhsa_forward_progress 1
		.amdhsa_inst_pref_size 61
		.amdhsa_round_robin_scheduling 0
		.amdhsa_exception_fp_ieee_invalid_op 0
		.amdhsa_exception_fp_denorm_src 0
		.amdhsa_exception_fp_ieee_div_zero 0
		.amdhsa_exception_fp_ieee_overflow 0
		.amdhsa_exception_fp_ieee_underflow 0
		.amdhsa_exception_fp_ieee_inexact 0
		.amdhsa_exception_int_div_zero 0
	.end_amdhsa_kernel
	.section	.text._Z12ratt9_kernelIfEvPKT_S2_PS0_S2_S0_,"axG",@progbits,_Z12ratt9_kernelIfEvPKT_S2_PS0_S2_S0_,comdat
.Lfunc_end10:
	.size	_Z12ratt9_kernelIfEvPKT_S2_PS0_S2_S0_, .Lfunc_end10-_Z12ratt9_kernelIfEvPKT_S2_PS0_S2_S0_
                                        ; -- End function
	.set _Z12ratt9_kernelIfEvPKT_S2_PS0_S2_S0_.num_vgpr, 97
	.set _Z12ratt9_kernelIfEvPKT_S2_PS0_S2_S0_.num_agpr, 0
	.set _Z12ratt9_kernelIfEvPKT_S2_PS0_S2_S0_.numbered_sgpr, 12
	.set _Z12ratt9_kernelIfEvPKT_S2_PS0_S2_S0_.num_named_barrier, 0
	.set _Z12ratt9_kernelIfEvPKT_S2_PS0_S2_S0_.private_seg_size, 0
	.set _Z12ratt9_kernelIfEvPKT_S2_PS0_S2_S0_.uses_vcc, 1
	.set _Z12ratt9_kernelIfEvPKT_S2_PS0_S2_S0_.uses_flat_scratch, 0
	.set _Z12ratt9_kernelIfEvPKT_S2_PS0_S2_S0_.has_dyn_sized_stack, 0
	.set _Z12ratt9_kernelIfEvPKT_S2_PS0_S2_S0_.has_recursion, 0
	.set _Z12ratt9_kernelIfEvPKT_S2_PS0_S2_S0_.has_indirect_call, 0
	.section	.AMDGPU.csdata,"",@progbits
; Kernel info:
; codeLenInByte = 7748
; TotalNumSgprs: 14
; NumVgprs: 97
; ScratchSize: 0
; MemoryBound: 0
; FloatMode: 240
; IeeeMode: 1
; LDSByteSize: 0 bytes/workgroup (compile time only)
; SGPRBlocks: 0
; VGPRBlocks: 12
; NumSGPRsForWavesPerEU: 14
; NumVGPRsForWavesPerEU: 97
; Occupancy: 12
; WaveLimiterHint : 0
; COMPUTE_PGM_RSRC2:SCRATCH_EN: 0
; COMPUTE_PGM_RSRC2:USER_SGPR: 2
; COMPUTE_PGM_RSRC2:TRAP_HANDLER: 0
; COMPUTE_PGM_RSRC2:TGID_X_EN: 1
; COMPUTE_PGM_RSRC2:TGID_Y_EN: 0
; COMPUTE_PGM_RSRC2:TGID_Z_EN: 0
; COMPUTE_PGM_RSRC2:TIDIG_COMP_CNT: 0
	.section	.text._Z13ratt10_kernelIfEvPKT_PS0_S0_,"axG",@progbits,_Z13ratt10_kernelIfEvPKT_PS0_S0_,comdat
	.protected	_Z13ratt10_kernelIfEvPKT_PS0_S0_ ; -- Begin function _Z13ratt10_kernelIfEvPKT_PS0_S0_
	.globl	_Z13ratt10_kernelIfEvPKT_PS0_S0_
	.p2align	8
	.type	_Z13ratt10_kernelIfEvPKT_PS0_S0_,@function
_Z13ratt10_kernelIfEvPKT_PS0_S0_:       ; @_Z13ratt10_kernelIfEvPKT_PS0_S0_
; %bb.0:
	s_clause 0x3
	s_load_b128 s[4:7], s[0:1], 0x0
	s_load_b32 s2, s[0:1], 0x10
	s_load_b32 s3, s[0:1], 0x18
	;; [unrolled: 1-line block ×3, first 2 shown]
	s_wait_kmcnt 0x0
	s_and_b32 s1, s0, 0xffff
	s_delay_alu instid0(SALU_CYCLE_1) | instskip(SKIP_1) | instid1(VALU_DEP_1)
	v_mad_co_u64_u32 v[0:1], null, ttmp9, s1, v[0:1]
	v_mov_b32_e32 v1, 0
	v_lshlrev_b64_e32 v[4:5], 2, v[0:1]
	s_delay_alu instid0(VALU_DEP_1) | instskip(NEXT) | instid1(VALU_DEP_1)
	v_add_co_u32 v2, vcc_lo, s4, v4
	v_add_co_ci_u32_e64 v3, null, s5, v5, vcc_lo
	global_load_b32 v2, v[2:3], off
	s_wait_loadcnt 0x0
	v_mul_f32_e32 v3, s2, v2
	s_delay_alu instid0(VALU_DEP_1) | instskip(SKIP_2) | instid1(VALU_DEP_1)
	v_cmp_gt_f32_e32 vcc_lo, 0x800000, v3
	s_wait_alu 0xfffd
	v_cndmask_b32_e64 v2, 0, 32, vcc_lo
	v_ldexp_f32 v2, v3, v2
	s_delay_alu instid0(VALU_DEP_1) | instskip(NEXT) | instid1(TRANS32_DEP_1)
	v_log_f32_e32 v2, v2
	v_mul_f32_e32 v6, 0x3f317217, v2
	v_cmp_gt_f32_e64 s0, 0x7f800000, |v2|
	s_delay_alu instid0(VALU_DEP_2) | instskip(NEXT) | instid1(VALU_DEP_1)
	v_fma_f32 v6, 0x3f317217, v2, -v6
	v_fmamk_f32 v6, v2, 0x3377d1cf, v6
	v_div_scale_f32 v7, null, v3, v3, 1.0
	s_delay_alu instid0(VALU_DEP_2) | instskip(NEXT) | instid1(VALU_DEP_2)
	v_fmac_f32_e32 v6, 0x3f317217, v2
	v_rcp_f32_e32 v8, v7
	s_wait_alu 0xf1ff
	s_delay_alu instid0(VALU_DEP_1) | instskip(SKIP_2) | instid1(TRANS32_DEP_1)
	v_cndmask_b32_e64 v2, v2, v6, s0
	v_cndmask_b32_e64 v6, 0, 0x41b17218, vcc_lo
	s_mov_b32 s0, 0xbf666666
	v_fma_f32 v9, -v7, v8, 1.0
	s_delay_alu instid0(VALU_DEP_2) | instskip(NEXT) | instid1(VALU_DEP_2)
	v_sub_f32_e32 v2, v2, v6
	v_fmac_f32_e32 v8, v9, v8
	v_div_scale_f32 v9, vcc_lo, 1.0, v3, 1.0
	s_wait_alu 0xfffe
	s_delay_alu instid0(VALU_DEP_3) | instskip(SKIP_1) | instid1(VALU_DEP_2)
	v_fmaak_f32 v6, s0, v2, 0x42291e26
	s_mov_b32 s0, 0xc05ae148
	v_mul_f32_e32 v10, v9, v8
	s_delay_alu instid0(VALU_DEP_1) | instskip(NEXT) | instid1(VALU_DEP_1)
	v_fma_f32 v11, -v7, v10, v9
	v_fmac_f32_e32 v10, v11, v8
	s_delay_alu instid0(VALU_DEP_1) | instskip(SKIP_1) | instid1(VALU_DEP_1)
	v_fma_f32 v7, -v7, v10, v9
	s_wait_alu 0xfffd
	v_div_fmas_f32 v7, v7, v8, v10
	s_delay_alu instid0(VALU_DEP_1) | instskip(NEXT) | instid1(VALU_DEP_1)
	v_div_fixup_f32 v3, v7, v3, 1.0
	v_fmamk_f32 v6, v3, 0x4455ddf9, v6
	s_delay_alu instid0(VALU_DEP_1) | instskip(SKIP_1) | instid1(VALU_DEP_2)
	v_mul_f32_e32 v7, 0x3fb8aa3b, v6
	v_cmp_ngt_f32_e32 vcc_lo, 0xc2ce8ed0, v6
	v_fma_f32 v8, 0x3fb8aa3b, v6, -v7
	v_rndne_f32_e32 v9, v7
	s_delay_alu instid0(VALU_DEP_1) | instskip(NEXT) | instid1(VALU_DEP_1)
	v_dual_fmac_f32 v8, 0x32a5705f, v6 :: v_dual_sub_f32 v7, v7, v9
	v_add_f32_e32 v7, v7, v8
	v_cvt_i32_f32_e32 v8, v9
	s_delay_alu instid0(VALU_DEP_2) | instskip(NEXT) | instid1(TRANS32_DEP_1)
	v_exp_f32_e32 v7, v7
	v_ldexp_f32 v7, v7, v8
	s_wait_alu 0xfffd
	s_delay_alu instid0(VALU_DEP_1) | instskip(SKIP_2) | instid1(VALU_DEP_2)
	v_cndmask_b32_e32 v7, 0, v7, vcc_lo
	v_cmp_nlt_f32_e32 vcc_lo, 0x42b17218, v6
	s_wait_alu 0xfffd
	v_cndmask_b32_e32 v6, 0x7f800000, v7, vcc_lo
	v_add_co_u32 v4, vcc_lo, s6, v4
	s_wait_alu 0xfffd
	v_add_co_ci_u32_e64 v5, null, s7, v5, vcc_lo
	global_store_b32 v[4:5], v6, off
	s_wait_alu 0xfffe
	v_fmaak_f32 v4, s0, v2, 0x427f2c2c
	s_mul_i32 s0, s3, s1
	s_mov_b32 s1, 0xc06f5c29
	s_wait_alu 0xfffe
	v_add_nc_u32_e32 v0, s0, v0
	v_fmamk_f32 v4, v3, 0xc725ce53, v4
	s_delay_alu instid0(VALU_DEP_1) | instskip(SKIP_1) | instid1(VALU_DEP_2)
	v_mul_f32_e32 v5, 0x3fb8aa3b, v4
	v_cmp_ngt_f32_e32 vcc_lo, 0xc2ce8ed0, v4
	v_fma_f32 v6, 0x3fb8aa3b, v4, -v5
	v_rndne_f32_e32 v7, v5
	s_delay_alu instid0(VALU_DEP_1) | instskip(NEXT) | instid1(VALU_DEP_1)
	v_dual_fmac_f32 v6, 0x32a5705f, v4 :: v_dual_sub_f32 v5, v5, v7
	v_add_f32_e32 v5, v5, v6
	v_cvt_i32_f32_e32 v6, v7
	s_delay_alu instid0(VALU_DEP_2) | instskip(NEXT) | instid1(TRANS32_DEP_1)
	v_exp_f32_e32 v5, v5
	v_ldexp_f32 v5, v5, v6
	s_wait_alu 0xfffd
	s_delay_alu instid0(VALU_DEP_1) | instskip(SKIP_2) | instid1(VALU_DEP_2)
	v_cndmask_b32_e32 v5, 0, v5, vcc_lo
	v_cmp_nlt_f32_e32 vcc_lo, 0x42b17218, v4
	s_wait_alu 0xfffd
	v_cndmask_b32_e32 v6, 0x7f800000, v5, vcc_lo
	v_lshlrev_b64_e32 v[4:5], 2, v[0:1]
	v_add_nc_u32_e32 v0, s0, v0
	s_delay_alu instid0(VALU_DEP_2) | instskip(SKIP_1) | instid1(VALU_DEP_3)
	v_add_co_u32 v4, vcc_lo, s6, v4
	s_wait_alu 0xfffd
	v_add_co_ci_u32_e64 v5, null, s7, v5, vcc_lo
	global_store_b32 v[4:5], v6, off
	v_fmaak_f32 v4, s1, v2, 0x4282ec81
	s_mov_b32 s1, 0xc0247ae1
	s_delay_alu instid0(VALU_DEP_1) | instskip(NEXT) | instid1(VALU_DEP_1)
	v_fmamk_f32 v4, v3, 0xc4738e8f, v4
	v_mul_f32_e32 v5, 0x3fb8aa3b, v4
	v_cmp_ngt_f32_e32 vcc_lo, 0xc2ce8ed0, v4
	s_delay_alu instid0(VALU_DEP_2) | instskip(SKIP_1) | instid1(VALU_DEP_1)
	v_fma_f32 v6, 0x3fb8aa3b, v4, -v5
	v_rndne_f32_e32 v7, v5
	v_dual_fmac_f32 v6, 0x32a5705f, v4 :: v_dual_sub_f32 v5, v5, v7
	s_delay_alu instid0(VALU_DEP_1) | instskip(SKIP_1) | instid1(VALU_DEP_2)
	v_add_f32_e32 v5, v5, v6
	v_cvt_i32_f32_e32 v6, v7
	v_exp_f32_e32 v5, v5
	s_delay_alu instid0(TRANS32_DEP_1) | instskip(SKIP_1) | instid1(VALU_DEP_1)
	v_ldexp_f32 v5, v5, v6
	s_wait_alu 0xfffd
	v_cndmask_b32_e32 v5, 0, v5, vcc_lo
	v_cmp_nlt_f32_e32 vcc_lo, 0x42b17218, v4
	s_wait_alu 0xfffd
	s_delay_alu instid0(VALU_DEP_2) | instskip(SKIP_2) | instid1(VALU_DEP_2)
	v_cndmask_b32_e32 v6, 0x7f800000, v5, vcc_lo
	v_lshlrev_b64_e32 v[4:5], 2, v[0:1]
	v_add_nc_u32_e32 v0, s0, v0
	v_add_co_u32 v4, vcc_lo, s6, v4
	s_wait_alu 0xfffd
	s_delay_alu instid0(VALU_DEP_3) | instskip(SKIP_4) | instid1(VALU_DEP_1)
	v_add_co_ci_u32_e64 v5, null, s7, v5, vcc_lo
	global_store_b32 v[4:5], v6, off
	s_wait_alu 0xfffe
	v_fmaak_f32 v4, s1, v2, 0x425e3fa3
	s_mov_b32 s1, 0xc048f5c3
	v_fmamk_f32 v4, v3, 0xc433455c, v4
	s_delay_alu instid0(VALU_DEP_1) | instskip(SKIP_1) | instid1(VALU_DEP_2)
	v_mul_f32_e32 v5, 0x3fb8aa3b, v4
	v_cmp_ngt_f32_e32 vcc_lo, 0xc2ce8ed0, v4
	v_fma_f32 v6, 0x3fb8aa3b, v4, -v5
	v_rndne_f32_e32 v7, v5
	s_delay_alu instid0(VALU_DEP_1) | instskip(NEXT) | instid1(VALU_DEP_1)
	v_dual_fmac_f32 v6, 0x32a5705f, v4 :: v_dual_sub_f32 v5, v5, v7
	v_add_f32_e32 v5, v5, v6
	v_cvt_i32_f32_e32 v6, v7
	s_delay_alu instid0(VALU_DEP_2) | instskip(NEXT) | instid1(TRANS32_DEP_1)
	v_exp_f32_e32 v5, v5
	v_ldexp_f32 v5, v5, v6
	s_wait_alu 0xfffd
	s_delay_alu instid0(VALU_DEP_1) | instskip(SKIP_2) | instid1(VALU_DEP_2)
	v_cndmask_b32_e32 v5, 0, v5, vcc_lo
	v_cmp_nlt_f32_e32 vcc_lo, 0x42b17218, v4
	s_wait_alu 0xfffd
	v_cndmask_b32_e32 v6, 0x7f800000, v5, vcc_lo
	v_lshlrev_b64_e32 v[4:5], 2, v[0:1]
	v_add_nc_u32_e32 v0, s0, v0
	s_delay_alu instid0(VALU_DEP_2) | instskip(SKIP_1) | instid1(VALU_DEP_3)
	v_add_co_u32 v4, vcc_lo, s6, v4
	s_wait_alu 0xfffd
	v_add_co_ci_u32_e64 v5, null, s7, v5, vcc_lo
	global_store_b32 v[4:5], v6, off
	s_wait_alu 0xfffe
	v_fmaak_f32 v4, s1, v2, 0x427d54f0
	s_mov_b32 s1, 0xc0a3851f
	s_delay_alu instid0(VALU_DEP_1) | instskip(NEXT) | instid1(VALU_DEP_1)
	v_fmamk_f32 v4, v3, 0xc41abd37, v4
	v_mul_f32_e32 v5, 0x3fb8aa3b, v4
	v_cmp_ngt_f32_e32 vcc_lo, 0xc2ce8ed0, v4
	s_delay_alu instid0(VALU_DEP_2) | instskip(SKIP_1) | instid1(VALU_DEP_1)
	v_fma_f32 v6, 0x3fb8aa3b, v4, -v5
	v_rndne_f32_e32 v7, v5
	v_dual_fmac_f32 v6, 0x32a5705f, v4 :: v_dual_sub_f32 v5, v5, v7
	s_delay_alu instid0(VALU_DEP_1) | instskip(SKIP_1) | instid1(VALU_DEP_2)
	v_add_f32_e32 v5, v5, v6
	v_cvt_i32_f32_e32 v6, v7
	v_exp_f32_e32 v5, v5
	s_delay_alu instid0(TRANS32_DEP_1) | instskip(SKIP_1) | instid1(VALU_DEP_1)
	v_ldexp_f32 v5, v5, v6
	s_wait_alu 0xfffd
	v_cndmask_b32_e32 v5, 0, v5, vcc_lo
	v_cmp_nlt_f32_e32 vcc_lo, 0x42b17218, v4
	s_wait_alu 0xfffd
	s_delay_alu instid0(VALU_DEP_2) | instskip(SKIP_2) | instid1(VALU_DEP_2)
	v_cndmask_b32_e32 v6, 0x7f800000, v5, vcc_lo
	v_lshlrev_b64_e32 v[4:5], 2, v[0:1]
	v_add_nc_u32_e32 v0, s0, v0
	v_add_co_u32 v4, vcc_lo, s6, v4
	s_wait_alu 0xfffd
	s_delay_alu instid0(VALU_DEP_3) | instskip(SKIP_4) | instid1(VALU_DEP_1)
	v_add_co_ci_u32_e64 v5, null, s7, v5, vcc_lo
	global_store_b32 v[4:5], v6, off
	s_wait_alu 0xfffe
	v_fmaak_f32 v4, s1, v2, 0x4299f31f
	s_mov_b32 s1, 0xc099999a
	v_fmamk_f32 v4, v3, 0xc55f2528, v4
	s_delay_alu instid0(VALU_DEP_1) | instskip(SKIP_1) | instid1(VALU_DEP_2)
	v_mul_f32_e32 v5, 0x3fb8aa3b, v4
	v_cmp_ngt_f32_e32 vcc_lo, 0xc2ce8ed0, v4
	v_fma_f32 v6, 0x3fb8aa3b, v4, -v5
	v_rndne_f32_e32 v7, v5
	s_delay_alu instid0(VALU_DEP_1) | instskip(NEXT) | instid1(VALU_DEP_1)
	v_dual_fmac_f32 v6, 0x32a5705f, v4 :: v_dual_sub_f32 v5, v5, v7
	v_add_f32_e32 v5, v5, v6
	v_cvt_i32_f32_e32 v6, v7
	s_delay_alu instid0(VALU_DEP_2) | instskip(NEXT) | instid1(TRANS32_DEP_1)
	v_exp_f32_e32 v5, v5
	v_ldexp_f32 v5, v5, v6
	s_wait_alu 0xfffd
	s_delay_alu instid0(VALU_DEP_1) | instskip(SKIP_2) | instid1(VALU_DEP_2)
	v_cndmask_b32_e32 v5, 0, v5, vcc_lo
	v_cmp_nlt_f32_e32 vcc_lo, 0x42b17218, v4
	s_wait_alu 0xfffd
	v_cndmask_b32_e32 v6, 0x7f800000, v5, vcc_lo
	v_lshlrev_b64_e32 v[4:5], 2, v[0:1]
	v_add_nc_u32_e32 v0, s0, v0
	s_delay_alu instid0(VALU_DEP_2) | instskip(SKIP_1) | instid1(VALU_DEP_3)
	v_add_co_u32 v4, vcc_lo, s6, v4
	s_wait_alu 0xfffd
	v_add_co_ci_u32_e64 v5, null, s7, v5, vcc_lo
	global_store_b32 v[4:5], v6, off
	s_wait_alu 0xfffe
	;; [unrolled: 59-line block ×8, first 2 shown]
	v_fmaak_f32 v4, s1, v2, 0x42be3031
	s_mov_b32 s1, 0xc1400000
	s_delay_alu instid0(VALU_DEP_1) | instskip(NEXT) | instid1(VALU_DEP_1)
	v_fmamk_f32 v4, v3, 0xc552400e, v4
	v_mul_f32_e32 v5, 0x3fb8aa3b, v4
	v_cmp_ngt_f32_e32 vcc_lo, 0xc2ce8ed0, v4
	s_delay_alu instid0(VALU_DEP_2) | instskip(SKIP_1) | instid1(VALU_DEP_1)
	v_fma_f32 v6, 0x3fb8aa3b, v4, -v5
	v_rndne_f32_e32 v7, v5
	v_dual_fmac_f32 v6, 0x32a5705f, v4 :: v_dual_sub_f32 v5, v5, v7
	s_delay_alu instid0(VALU_DEP_1) | instskip(SKIP_1) | instid1(VALU_DEP_2)
	v_add_f32_e32 v5, v5, v6
	v_cvt_i32_f32_e32 v6, v7
	v_exp_f32_e32 v5, v5
	s_delay_alu instid0(TRANS32_DEP_1) | instskip(SKIP_1) | instid1(VALU_DEP_1)
	v_ldexp_f32 v5, v5, v6
	s_wait_alu 0xfffd
	v_cndmask_b32_e32 v5, 0, v5, vcc_lo
	v_cmp_nlt_f32_e32 vcc_lo, 0x42b17218, v4
	s_wait_alu 0xfffd
	s_delay_alu instid0(VALU_DEP_2) | instskip(SKIP_2) | instid1(VALU_DEP_2)
	v_cndmask_b32_e32 v6, 0x7f800000, v5, vcc_lo
	v_lshlrev_b64_e32 v[4:5], 2, v[0:1]
	v_add_nc_u32_e32 v0, s0, v0
	v_add_co_u32 v4, vcc_lo, s6, v4
	s_wait_alu 0xfffd
	s_delay_alu instid0(VALU_DEP_3)
	v_add_co_ci_u32_e64 v5, null, s7, v5, vcc_lo
	global_store_b32 v[4:5], v6, off
	s_wait_alu 0xfffe
	v_fmaak_f32 v4, s1, v2, 0x430a70b7
	s_mov_b32 s1, 0xc0d51eb8
	s_wait_alu 0xfffe
	v_fmaak_f32 v2, s1, v2, 0x42b2aa32
	s_delay_alu instid0(VALU_DEP_2) | instskip(NEXT) | instid1(VALU_DEP_2)
	v_fmamk_f32 v4, v3, 0xc53bb18b, v4
	v_fmamk_f32 v2, v3, 0xc55c2844, v2
	s_delay_alu instid0(VALU_DEP_2) | instskip(SKIP_1) | instid1(VALU_DEP_3)
	v_mul_f32_e32 v5, 0x3fb8aa3b, v4
	v_cmp_ngt_f32_e32 vcc_lo, 0xc2ce8ed0, v4
	v_mul_f32_e32 v3, 0x3fb8aa3b, v2
	s_delay_alu instid0(VALU_DEP_3) | instskip(SKIP_1) | instid1(VALU_DEP_1)
	v_fma_f32 v6, 0x3fb8aa3b, v4, -v5
	v_rndne_f32_e32 v7, v5
	v_dual_fmac_f32 v6, 0x32a5705f, v4 :: v_dual_sub_f32 v5, v5, v7
	s_delay_alu instid0(VALU_DEP_1) | instskip(SKIP_1) | instid1(VALU_DEP_2)
	v_add_f32_e32 v5, v5, v6
	v_cvt_i32_f32_e32 v6, v7
	v_exp_f32_e32 v5, v5
	s_delay_alu instid0(TRANS32_DEP_1) | instskip(SKIP_1) | instid1(VALU_DEP_1)
	v_ldexp_f32 v5, v5, v6
	s_wait_alu 0xfffd
	v_cndmask_b32_e32 v5, 0, v5, vcc_lo
	v_cmp_nlt_f32_e32 vcc_lo, 0x42b17218, v4
	s_wait_alu 0xfffd
	s_delay_alu instid0(VALU_DEP_2) | instskip(SKIP_2) | instid1(VALU_DEP_2)
	v_cndmask_b32_e32 v6, 0x7f800000, v5, vcc_lo
	v_lshlrev_b64_e32 v[4:5], 2, v[0:1]
	v_add_nc_u32_e32 v0, s0, v0
	v_add_co_u32 v4, vcc_lo, s6, v4
	s_wait_alu 0xfffd
	s_delay_alu instid0(VALU_DEP_3)
	v_add_co_ci_u32_e64 v5, null, s7, v5, vcc_lo
	v_cmp_ngt_f32_e32 vcc_lo, 0xc2ce8ed0, v2
	v_lshlrev_b64_e32 v[0:1], 2, v[0:1]
	global_store_b32 v[4:5], v6, off
	v_fma_f32 v4, 0x3fb8aa3b, v2, -v3
	v_rndne_f32_e32 v5, v3
	s_delay_alu instid0(VALU_DEP_1) | instskip(NEXT) | instid1(VALU_DEP_1)
	v_dual_fmac_f32 v4, 0x32a5705f, v2 :: v_dual_sub_f32 v3, v3, v5
	v_add_f32_e32 v3, v3, v4
	v_cvt_i32_f32_e32 v4, v5
	s_delay_alu instid0(VALU_DEP_2) | instskip(NEXT) | instid1(TRANS32_DEP_1)
	v_exp_f32_e32 v3, v3
	v_ldexp_f32 v3, v3, v4
	s_wait_alu 0xfffd
	s_delay_alu instid0(VALU_DEP_1) | instskip(SKIP_2) | instid1(VALU_DEP_2)
	v_cndmask_b32_e32 v3, 0, v3, vcc_lo
	v_cmp_nlt_f32_e32 vcc_lo, 0x42b17218, v2
	s_wait_alu 0xfffd
	v_cndmask_b32_e32 v2, 0x7f800000, v3, vcc_lo
	v_add_co_u32 v0, vcc_lo, s6, v0
	s_wait_alu 0xfffd
	v_add_co_ci_u32_e64 v1, null, s7, v1, vcc_lo
	global_store_b32 v[0:1], v2, off
	s_endpgm
	.section	.rodata,"a",@progbits
	.p2align	6, 0x0
	.amdhsa_kernel _Z13ratt10_kernelIfEvPKT_PS0_S0_
		.amdhsa_group_segment_fixed_size 0
		.amdhsa_private_segment_fixed_size 0
		.amdhsa_kernarg_size 280
		.amdhsa_user_sgpr_count 2
		.amdhsa_user_sgpr_dispatch_ptr 0
		.amdhsa_user_sgpr_queue_ptr 0
		.amdhsa_user_sgpr_kernarg_segment_ptr 1
		.amdhsa_user_sgpr_dispatch_id 0
		.amdhsa_user_sgpr_private_segment_size 0
		.amdhsa_wavefront_size32 1
		.amdhsa_uses_dynamic_stack 0
		.amdhsa_enable_private_segment 0
		.amdhsa_system_sgpr_workgroup_id_x 1
		.amdhsa_system_sgpr_workgroup_id_y 0
		.amdhsa_system_sgpr_workgroup_id_z 0
		.amdhsa_system_sgpr_workgroup_info 0
		.amdhsa_system_vgpr_workitem_id 0
		.amdhsa_next_free_vgpr 12
		.amdhsa_next_free_sgpr 8
		.amdhsa_reserve_vcc 1
		.amdhsa_float_round_mode_32 0
		.amdhsa_float_round_mode_16_64 0
		.amdhsa_float_denorm_mode_32 3
		.amdhsa_float_denorm_mode_16_64 3
		.amdhsa_fp16_overflow 0
		.amdhsa_workgroup_processor_mode 1
		.amdhsa_memory_ordered 1
		.amdhsa_forward_progress 1
		.amdhsa_inst_pref_size 33
		.amdhsa_round_robin_scheduling 0
		.amdhsa_exception_fp_ieee_invalid_op 0
		.amdhsa_exception_fp_denorm_src 0
		.amdhsa_exception_fp_ieee_div_zero 0
		.amdhsa_exception_fp_ieee_overflow 0
		.amdhsa_exception_fp_ieee_underflow 0
		.amdhsa_exception_fp_ieee_inexact 0
		.amdhsa_exception_int_div_zero 0
	.end_amdhsa_kernel
	.section	.text._Z13ratt10_kernelIfEvPKT_PS0_S0_,"axG",@progbits,_Z13ratt10_kernelIfEvPKT_PS0_S0_,comdat
.Lfunc_end11:
	.size	_Z13ratt10_kernelIfEvPKT_PS0_S0_, .Lfunc_end11-_Z13ratt10_kernelIfEvPKT_PS0_S0_
                                        ; -- End function
	.set _Z13ratt10_kernelIfEvPKT_PS0_S0_.num_vgpr, 12
	.set _Z13ratt10_kernelIfEvPKT_PS0_S0_.num_agpr, 0
	.set _Z13ratt10_kernelIfEvPKT_PS0_S0_.numbered_sgpr, 8
	.set _Z13ratt10_kernelIfEvPKT_PS0_S0_.num_named_barrier, 0
	.set _Z13ratt10_kernelIfEvPKT_PS0_S0_.private_seg_size, 0
	.set _Z13ratt10_kernelIfEvPKT_PS0_S0_.uses_vcc, 1
	.set _Z13ratt10_kernelIfEvPKT_PS0_S0_.uses_flat_scratch, 0
	.set _Z13ratt10_kernelIfEvPKT_PS0_S0_.has_dyn_sized_stack, 0
	.set _Z13ratt10_kernelIfEvPKT_PS0_S0_.has_recursion, 0
	.set _Z13ratt10_kernelIfEvPKT_PS0_S0_.has_indirect_call, 0
	.section	.AMDGPU.csdata,"",@progbits
; Kernel info:
; codeLenInByte = 4144
; TotalNumSgprs: 10
; NumVgprs: 12
; ScratchSize: 0
; MemoryBound: 0
; FloatMode: 240
; IeeeMode: 1
; LDSByteSize: 0 bytes/workgroup (compile time only)
; SGPRBlocks: 0
; VGPRBlocks: 1
; NumSGPRsForWavesPerEU: 10
; NumVGPRsForWavesPerEU: 12
; Occupancy: 16
; WaveLimiterHint : 0
; COMPUTE_PGM_RSRC2:SCRATCH_EN: 0
; COMPUTE_PGM_RSRC2:USER_SGPR: 2
; COMPUTE_PGM_RSRC2:TRAP_HANDLER: 0
; COMPUTE_PGM_RSRC2:TGID_X_EN: 1
; COMPUTE_PGM_RSRC2:TGID_Y_EN: 0
; COMPUTE_PGM_RSRC2:TGID_Z_EN: 0
; COMPUTE_PGM_RSRC2:TIDIG_COMP_CNT: 0
	.section	.text._Z11ratx_kernelIfEvPKT_S2_PS0_S3_S2_S0_,"axG",@progbits,_Z11ratx_kernelIfEvPKT_S2_PS0_S3_S2_S0_,comdat
	.protected	_Z11ratx_kernelIfEvPKT_S2_PS0_S3_S2_S0_ ; -- Begin function _Z11ratx_kernelIfEvPKT_S2_PS0_S3_S2_S0_
	.globl	_Z11ratx_kernelIfEvPKT_S2_PS0_S3_S2_S0_
	.p2align	8
	.type	_Z11ratx_kernelIfEvPKT_S2_PS0_S3_S2_S0_,@function
_Z11ratx_kernelIfEvPKT_S2_PS0_S3_S2_S0_: ; @_Z11ratx_kernelIfEvPKT_S2_PS0_S3_S2_S0_
; %bb.0:
	s_clause 0x3
	s_load_b32 s2, s[0:1], 0x3c
	s_load_b32 s3, s[0:1], 0x30
	s_load_b256 s[4:11], s[0:1], 0x0
	s_load_b96 s[12:14], s[0:1], 0x20
	s_wait_kmcnt 0x0
	s_and_b32 s2, s2, 0xffff
	s_delay_alu instid0(SALU_CYCLE_1) | instskip(SKIP_3) | instid1(VALU_DEP_1)
	v_mad_co_u64_u32 v[0:1], null, ttmp9, s2, v[0:1]
	s_mul_i32 s2, s3, s2
	v_mov_b32_e32 v1, 0
	s_mov_b32 s3, 0x3f2b851f
	v_lshlrev_b64_e32 v[16:17], 2, v[0:1]
	s_wait_alu 0xfffe
	v_add_nc_u32_e32 v0, s2, v0
	s_delay_alu instid0(VALU_DEP_1) | instskip(SKIP_1) | instid1(VALU_DEP_4)
	v_lshlrev_b64_e32 v[18:19], 2, v[0:1]
	v_add_nc_u32_e32 v0, s2, v0
	v_add_co_u32 v2, vcc_lo, s6, v16
	s_delay_alu instid0(VALU_DEP_1) | instskip(NEXT) | instid1(VALU_DEP_3)
	v_add_co_ci_u32_e64 v3, null, s7, v17, vcc_lo
	v_lshlrev_b64_e32 v[4:5], 2, v[0:1]
	v_add_nc_u32_e32 v0, s2, v0
	v_add_co_u32 v14, vcc_lo, s6, v18
	s_wait_alu 0xfffd
	v_add_co_ci_u32_e64 v15, null, s7, v19, vcc_lo
	s_delay_alu instid0(VALU_DEP_3) | instskip(SKIP_4) | instid1(VALU_DEP_3)
	v_lshlrev_b64_e32 v[20:21], 2, v[0:1]
	v_add_nc_u32_e32 v0, s2, v0
	v_add_co_u32 v4, vcc_lo, s6, v4
	s_wait_alu 0xfffd
	v_add_co_ci_u32_e64 v5, null, s7, v5, vcc_lo
	v_lshlrev_b64_e32 v[6:7], 2, v[0:1]
	v_add_nc_u32_e32 v0, s2, v0
	v_add_co_u32 v22, vcc_lo, s6, v20
	s_wait_alu 0xfffd
	v_add_co_ci_u32_e64 v23, null, s7, v21, vcc_lo
	s_delay_alu instid0(VALU_DEP_3) | instskip(SKIP_4) | instid1(VALU_DEP_3)
	v_lshlrev_b64_e32 v[12:13], 2, v[0:1]
	v_add_nc_u32_e32 v0, s2, v0
	v_add_co_u32 v24, vcc_lo, s6, v6
	s_wait_alu 0xfffd
	v_add_co_ci_u32_e64 v25, null, s7, v7, vcc_lo
	v_lshlrev_b64_e32 v[10:11], 2, v[0:1]
	v_add_nc_u32_e32 v0, s2, v0
	v_add_co_u32 v26, vcc_lo, s6, v12
	s_wait_alu 0xfffd
	v_add_co_ci_u32_e64 v27, null, s7, v13, vcc_lo
	s_delay_alu instid0(VALU_DEP_3) | instskip(SKIP_4) | instid1(VALU_DEP_4)
	v_lshlrev_b64_e32 v[8:9], 2, v[0:1]
	v_add_co_u32 v28, vcc_lo, s6, v10
	s_wait_alu 0xfffd
	v_add_co_ci_u32_e64 v29, null, s7, v11, vcc_lo
	v_add_nc_u32_e32 v0, s2, v0
	v_add_co_u32 v32, vcc_lo, s6, v8
	s_wait_alu 0xfffd
	v_add_co_ci_u32_e64 v33, null, s7, v9, vcc_lo
	s_clause 0x7
	global_load_b32 v36, v[2:3], off
	global_load_b32 v37, v[14:15], off
	;; [unrolled: 1-line block ×8, first 2 shown]
	v_lshlrev_b64_e32 v[30:31], 2, v[0:1]
	v_add_nc_u32_e32 v0, s2, v0
	s_delay_alu instid0(VALU_DEP_1) | instskip(SKIP_1) | instid1(VALU_DEP_4)
	v_lshlrev_b64_e32 v[6:7], 2, v[0:1]
	v_add_nc_u32_e32 v0, s2, v0
	v_add_co_u32 v14, vcc_lo, s6, v30
	s_wait_alu 0xfffd
	v_add_co_ci_u32_e64 v15, null, s7, v31, vcc_lo
	s_delay_alu instid0(VALU_DEP_3) | instskip(SKIP_4) | instid1(VALU_DEP_3)
	v_lshlrev_b64_e32 v[4:5], 2, v[0:1]
	v_add_nc_u32_e32 v0, s2, v0
	v_add_co_u32 v22, vcc_lo, s6, v6
	s_wait_alu 0xfffd
	v_add_co_ci_u32_e64 v23, null, s7, v7, vcc_lo
	v_lshlrev_b64_e32 v[2:3], 2, v[0:1]
	v_add_nc_u32_e32 v0, s2, v0
	v_add_co_u32 v24, vcc_lo, s6, v4
	s_wait_alu 0xfffd
	v_add_co_ci_u32_e64 v25, null, s7, v5, vcc_lo
	s_delay_alu instid0(VALU_DEP_3) | instskip(SKIP_4) | instid1(VALU_DEP_3)
	v_lshlrev_b64_e32 v[26:27], 2, v[0:1]
	v_add_nc_u32_e32 v0, s2, v0
	v_add_co_u32 v28, vcc_lo, s6, v2
	s_wait_alu 0xfffd
	v_add_co_ci_u32_e64 v29, null, s7, v3, vcc_lo
	v_lshlrev_b64_e32 v[30:31], 2, v[0:1]
	v_add_co_u32 v26, vcc_lo, s6, v26
	v_add_nc_u32_e32 v0, s2, v0
	s_wait_alu 0xfffd
	v_add_co_ci_u32_e64 v27, null, s7, v27, vcc_lo
	s_delay_alu instid0(VALU_DEP_4)
	v_add_co_u32 v30, vcc_lo, s6, v30
	s_wait_alu 0xfffd
	v_add_co_ci_u32_e64 v31, null, s7, v31, vcc_lo
	s_clause 0x5
	global_load_b32 v44, v[14:15], off
	global_load_b32 v45, v[22:23], off
	;; [unrolled: 1-line block ×6, first 2 shown]
	v_lshlrev_b64_e32 v[32:33], 2, v[0:1]
	v_add_nc_u32_e32 v0, s2, v0
	s_delay_alu instid0(VALU_DEP_1) | instskip(SKIP_1) | instid1(VALU_DEP_4)
	v_lshlrev_b64_e32 v[14:15], 2, v[0:1]
	v_add_nc_u32_e32 v0, s2, v0
	v_add_co_u32 v22, vcc_lo, s6, v32
	s_wait_alu 0xfffd
	v_add_co_ci_u32_e64 v23, null, s7, v33, vcc_lo
	s_delay_alu instid0(VALU_DEP_3) | instskip(SKIP_4) | instid1(VALU_DEP_3)
	v_lshlrev_b64_e32 v[24:25], 2, v[0:1]
	v_add_nc_u32_e32 v0, s2, v0
	v_add_co_u32 v30, vcc_lo, s6, v14
	s_wait_alu 0xfffd
	v_add_co_ci_u32_e64 v31, null, s7, v15, vcc_lo
	v_lshlrev_b64_e32 v[28:29], 2, v[0:1]
	v_add_co_u32 v24, vcc_lo, s6, v24
	v_add_nc_u32_e32 v0, s2, v0
	s_wait_alu 0xfffd
	v_add_co_ci_u32_e64 v25, null, s7, v25, vcc_lo
	s_delay_alu instid0(VALU_DEP_4)
	v_add_co_u32 v32, vcc_lo, s6, v28
	s_wait_alu 0xfffd
	v_add_co_ci_u32_e64 v33, null, s7, v29, vcc_lo
	v_lshlrev_b64_e32 v[34:35], 2, v[0:1]
	v_add_nc_u32_e32 v0, s2, v0
	s_clause 0x3
	global_load_b32 v29, v[22:23], off
	global_load_b32 v28, v[30:31], off
	;; [unrolled: 1-line block ×4, first 2 shown]
	v_lshlrev_b64_e32 v[22:23], 2, v[0:1]
	v_add_nc_u32_e32 v0, s2, v0
	v_add_co_u32 v24, vcc_lo, s6, v34
	s_wait_alu 0xfffd
	v_add_co_ci_u32_e64 v25, null, s7, v35, vcc_lo
	s_delay_alu instid0(VALU_DEP_4)
	v_add_co_u32 v22, vcc_lo, s6, v22
	v_lshlrev_b64_e32 v[30:31], 2, v[0:1]
	v_add_nc_u32_e32 v0, s2, v0
	s_wait_alu 0xfffd
	v_add_co_ci_u32_e64 v23, null, s7, v23, vcc_lo
	s_clause 0x1
	global_load_b32 v33, v[24:25], off
	global_load_b32 v49, v[22:23], off
	v_lshlrev_b64_e32 v[22:23], 2, v[0:1]
	v_add_co_u32 v34, vcc_lo, s8, v14
	s_wait_alu 0xfffd
	v_add_co_ci_u32_e64 v35, null, s9, v15, vcc_lo
	v_add_co_u32 v24, vcc_lo, s6, v30
	s_wait_alu 0xfffd
	v_add_co_ci_u32_e64 v25, null, s7, v31, vcc_lo
	;; [unrolled: 3-line block ×3, first 2 shown]
	global_load_b32 v50, v[34:35], off
	s_clause 0x1
	global_load_b32 v24, v[24:25], off
	global_load_b32 v25, v[22:23], off
	v_add_co_u32 v22, vcc_lo, s12, v16
	s_wait_alu 0xfffd
	v_add_co_ci_u32_e64 v23, null, s13, v17, vcc_lo
	v_add_co_u32 v16, vcc_lo, s4, v16
	s_wait_alu 0xfffd
	v_add_co_ci_u32_e64 v17, null, s5, v17, vcc_lo
	global_load_b32 v22, v[22:23], off
	global_load_b32 v16, v[16:17], off
	s_mov_b32 s4, 0xbfa28f5c
	s_wait_loadcnt 0x18
	v_add_f32_e32 v17, 0, v36
	s_wait_loadcnt 0x17
	s_delay_alu instid0(VALU_DEP_1) | instskip(SKIP_1) | instid1(VALU_DEP_1)
	v_add_f32_e32 v17, v17, v37
	s_wait_loadcnt 0x16
	v_add_f32_e32 v17, v17, v38
	s_wait_loadcnt 0x15
	s_delay_alu instid0(VALU_DEP_1) | instskip(SKIP_1) | instid1(VALU_DEP_1)
	v_add_f32_e32 v17, v17, v39
	;; [unrolled: 5-line block ×9, first 2 shown]
	s_wait_loadcnt 0x6
	v_add_f32_e32 v17, v17, v33
	s_wait_loadcnt 0x5
	s_delay_alu instid0(VALU_DEP_1) | instskip(SKIP_3) | instid1(VALU_DEP_2)
	v_add_f32_e32 v17, v17, v49
	s_wait_loadcnt 0x4
	v_div_scale_f32 v23, null, v50, v50, 1.0
	s_wait_loadcnt 0x3
	v_add_f32_e32 v17, v17, v24
	s_delay_alu instid0(VALU_DEP_2) | instskip(SKIP_1) | instid1(VALU_DEP_1)
	v_rcp_f32_e32 v26, v23
	s_wait_loadcnt 0x2
	v_add_f32_e32 v17, v17, v25
	v_div_scale_f32 v25, vcc_lo, 1.0, v50, 1.0
	s_delay_alu instid0(VALU_DEP_2) | instskip(NEXT) | instid1(TRANS32_DEP_1)
	v_add_f32_e32 v17, v17, v36
	v_fma_f32 v24, -v23, v26, 1.0
	s_delay_alu instid0(VALU_DEP_1) | instskip(NEXT) | instid1(VALU_DEP_1)
	v_dual_fmamk_f32 v17, v41, 0x40a00000, v17 :: v_dual_fmac_f32 v26, v24, v26
	v_add_f32_e32 v17, v45, v17
	s_delay_alu instid0(VALU_DEP_1) | instskip(NEXT) | instid1(VALU_DEP_1)
	v_fmac_f32_e32 v17, 0.5, v46
	v_dual_add_f32 v31, v47, v17 :: v_dual_mul_f32 v24, v25, v26
	s_delay_alu instid0(VALU_DEP_1) | instskip(NEXT) | instid1(VALU_DEP_2)
	v_fmac_f32_e32 v31, 2.0, v28
	v_fma_f32 v30, -v23, v24, v25
	s_delay_alu instid0(VALU_DEP_1) | instskip(SKIP_2) | instid1(VALU_DEP_2)
	v_fmac_f32_e32 v24, v30, v26
	s_wait_loadcnt 0x0
	v_mul_f32_e32 v30, s14, v16
	v_fma_f32 v17, -v23, v24, v25
	s_wait_alu 0xfffd
	s_delay_alu instid0(VALU_DEP_1) | instskip(SKIP_2) | instid1(VALU_DEP_3)
	v_div_fmas_f32 v17, v17, v26, v24
	v_fma_f32 v26, 2.0, v27, v31
	v_fmac_f32_e32 v31, 0x3fc00000, v27
	v_div_fixup_f32 v17, v17, v50, 1.0
	s_delay_alu instid0(VALU_DEP_3) | instskip(NEXT) | instid1(VALU_DEP_3)
	v_fmac_f32_e32 v26, 2.0, v29
	v_fmac_f32_e32 v31, 0x3fc00000, v29
	s_delay_alu instid0(VALU_DEP_2) | instskip(NEXT) | instid1(VALU_DEP_1)
	v_mul_f32_e32 v17, v26, v17
	v_fma_f32 v23, v22, v17, 1.0
	v_mul_f32_e32 v17, v22, v17
	s_delay_alu instid0(VALU_DEP_2) | instskip(SKIP_1) | instid1(VALU_DEP_2)
	v_div_scale_f32 v16, null, v23, v23, 1.0
	v_div_scale_f32 v36, vcc_lo, 1.0, v23, 1.0
	v_rcp_f32_e32 v25, v16
	s_delay_alu instid0(TRANS32_DEP_1) | instskip(NEXT) | instid1(VALU_DEP_1)
	v_fma_f32 v32, -v16, v25, 1.0
	v_fmac_f32_e32 v25, v32, v25
	v_div_scale_f32 v24, null, v30, v30, 1.0
	v_div_scale_f32 v32, s0, 1.0, v30, 1.0
	s_delay_alu instid0(VALU_DEP_2) | instskip(NEXT) | instid1(TRANS32_DEP_1)
	v_rcp_f32_e32 v28, v24
	v_fma_f32 v33, -v24, v28, 1.0
	s_delay_alu instid0(VALU_DEP_1) | instskip(NEXT) | instid1(VALU_DEP_1)
	v_dual_fmac_f32 v28, v33, v28 :: v_dual_mul_f32 v33, v36, v25
	v_mul_f32_e32 v37, v32, v28
	s_delay_alu instid0(VALU_DEP_2) | instskip(NEXT) | instid1(VALU_DEP_2)
	v_fma_f32 v38, -v16, v33, v36
	v_fma_f32 v39, -v24, v37, v32
	s_delay_alu instid0(VALU_DEP_2) | instskip(NEXT) | instid1(VALU_DEP_2)
	v_fmac_f32_e32 v33, v38, v25
	v_fmac_f32_e32 v37, v39, v28
	s_delay_alu instid0(VALU_DEP_2) | instskip(SKIP_1) | instid1(VALU_DEP_3)
	v_fma_f32 v16, -v16, v33, v36
	v_mul_f32_e32 v36, 0xba1548e5, v30
	v_fma_f32 v24, -v24, v37, v32
	s_delay_alu instid0(VALU_DEP_2)
	v_mul_f32_e32 v32, 0x3fb8aa3b, v36
	s_wait_alu 0xfffd
	v_div_fmas_f32 v16, v16, v25, v33
	s_mov_b32 vcc_lo, s0
	v_mul_f32_e32 v25, 0xbc2e4c41, v30
	s_wait_alu 0xfffe
	v_div_fmas_f32 v24, v24, v28, v37
	v_fma_f32 v33, 0x3fb8aa3b, v36, -v32
	v_rndne_f32_e32 v37, v32
	v_cmp_ngt_f32_e32 vcc_lo, 0xc2ce8ed0, v36
	v_div_fixup_f32 v16, v16, v23, 1.0
	v_div_fixup_f32 v28, v24, v30, 1.0
	s_delay_alu instid0(VALU_DEP_4) | instskip(SKIP_2) | instid1(VALU_DEP_4)
	v_dual_fmac_f32 v33, 0x32a5705f, v36 :: v_dual_sub_f32 v32, v32, v37
	v_mul_f32_e32 v24, 0x3fb8aa3b, v25
	v_cvt_i32_f32_e32 v37, v37
	v_mul_f32_e32 v38, 0xc5a1f000, v28
	s_delay_alu instid0(VALU_DEP_4) | instskip(NEXT) | instid1(VALU_DEP_4)
	v_add_f32_e32 v32, v32, v33
	v_fma_f32 v39, 0x3fb8aa3b, v25, -v24
	v_rndne_f32_e32 v40, v24
	s_delay_alu instid0(VALU_DEP_3) | instskip(NEXT) | instid1(VALU_DEP_1)
	v_exp_f32_e32 v32, v32
	v_sub_f32_e32 v24, v24, v40
	s_delay_alu instid0(TRANS32_DEP_1) | instskip(SKIP_1) | instid1(VALU_DEP_1)
	v_ldexp_f32 v32, v32, v37
	s_wait_alu 0xfffd
	v_dual_mul_f32 v41, 0x3fb8aa3b, v38 :: v_dual_cndmask_b32 v32, 0, v32
	s_delay_alu instid0(VALU_DEP_1) | instskip(SKIP_2) | instid1(VALU_DEP_3)
	v_rndne_f32_e32 v42, v41
	v_cmp_ngt_f32_e32 vcc_lo, 0xc2ce8ed0, v25
	v_fmac_f32_e32 v39, 0x32a5705f, v25
	v_cvt_i32_f32_e32 v37, v42
	s_delay_alu instid0(VALU_DEP_2) | instskip(SKIP_1) | instid1(VALU_DEP_2)
	v_dual_add_f32 v24, v24, v39 :: v_dual_sub_f32 v39, v41, v42
	v_fma_f32 v33, 0x3fb8aa3b, v38, -v41
	v_exp_f32_e32 v24, v24
	s_delay_alu instid0(VALU_DEP_1) | instskip(NEXT) | instid1(VALU_DEP_1)
	v_fmac_f32_e32 v33, 0x32a5705f, v38
	v_add_f32_e32 v33, v39, v33
	v_cvt_i32_f32_e32 v39, v40
	v_mul_f32_e32 v40, 0xc620f000, v28
	s_delay_alu instid0(TRANS32_DEP_1) | instid1(VALU_DEP_2)
	v_ldexp_f32 v24, v24, v39
	s_wait_alu 0xfffd
	s_delay_alu instid0(VALU_DEP_1)
	v_cndmask_b32_e32 v24, 0, v24, vcc_lo
	v_cmp_nlt_f32_e32 vcc_lo, 0x42b17218, v36
	s_wait_alu 0xfffd
	v_cndmask_b32_e32 v36, 0x7f800000, v32, vcc_lo
	v_exp_f32_e32 v33, v33
	v_cmp_nlt_f32_e32 vcc_lo, 0x42b17218, v25
	s_wait_alu 0xfffd
	v_cndmask_b32_e32 v32, 0x7f800000, v24, vcc_lo
	v_cmp_ngt_f32_e32 vcc_lo, 0xc2ce8ed0, v38
	s_delay_alu instid0(TRANS32_DEP_1) | instskip(SKIP_1) | instid1(VALU_DEP_1)
	v_ldexp_f32 v33, v33, v37
	s_wait_alu 0xfffd
	v_dual_mul_f32 v24, 0x3f3c0ebf, v36 :: v_dual_cndmask_b32 v25, 0, v33
	v_cmp_nlt_f32_e32 vcc_lo, 0x42b17218, v38
	s_delay_alu instid0(VALU_DEP_2) | instskip(SKIP_1) | instid1(VALU_DEP_3)
	v_fmamk_f32 v24, v32, 0x3e87e282, v24
	s_wait_alu 0xfffd
	v_cndmask_b32_e32 v25, 0x7f800000, v25, vcc_lo
	s_delay_alu instid0(VALU_DEP_1) | instskip(NEXT) | instid1(VALU_DEP_1)
	v_add_f32_e32 v24, v25, v24
	v_max_num_f32_e32 v22, 0x800000, v24
	v_max_num_f32_e32 v24, 0x800000, v17
	s_delay_alu instid0(VALU_DEP_2) | instskip(NEXT) | instid1(VALU_DEP_2)
	v_cmp_gt_f32_e32 vcc_lo, 0x800000, v22
	v_cmp_gt_f32_e64 s0, 0x800000, v24
	s_wait_alu 0xfffd
	v_cndmask_b32_e64 v25, 0, 32, vcc_lo
	s_wait_alu 0xf1ff
	s_delay_alu instid0(VALU_DEP_2) | instskip(SKIP_1) | instid1(VALU_DEP_3)
	v_cndmask_b32_e64 v33, 0, 32, s0
	v_cndmask_b32_e64 v36, 0, 0x411a209b, vcc_lo
	v_ldexp_f32 v22, v22, v25
	s_delay_alu instid0(VALU_DEP_3) | instskip(NEXT) | instid1(VALU_DEP_2)
	v_ldexp_f32 v24, v24, v33
	v_log_f32_e32 v22, v22
	s_delay_alu instid0(VALU_DEP_1) | instskip(NEXT) | instid1(TRANS32_DEP_2)
	v_log_f32_e32 v24, v24
	v_cmp_gt_f32_e64 vcc_lo, 0x7f800000, |v22|
	s_delay_alu instid0(TRANS32_DEP_1) | instskip(NEXT) | instid1(VALU_DEP_1)
	v_mul_f32_e32 v33, 0x3e9a209a, v24
	v_fma_f32 v33, 0x3e9a209a, v24, -v33
	s_delay_alu instid0(VALU_DEP_1) | instskip(NEXT) | instid1(VALU_DEP_1)
	v_fmac_f32_e32 v33, 0x3284fbcf, v24
	v_fmac_f32_e32 v33, 0x3e9a209a, v24
	v_mul_f32_e32 v25, 0x3e9a209a, v22
	s_delay_alu instid0(VALU_DEP_1) | instskip(NEXT) | instid1(VALU_DEP_1)
	v_fma_f32 v25, 0x3e9a209a, v22, -v25
	v_fmac_f32_e32 v25, 0x3284fbcf, v22
	s_delay_alu instid0(VALU_DEP_1) | instskip(SKIP_1) | instid1(VALU_DEP_1)
	v_fmac_f32_e32 v25, 0x3e9a209a, v22
	s_wait_alu 0xfffd
	v_cndmask_b32_e32 v22, v22, v25, vcc_lo
	v_cmp_gt_f32_e64 vcc_lo, 0x7f800000, |v24|
	v_cndmask_b32_e64 v25, 0, 0x411a209b, s0
	s_delay_alu instid0(VALU_DEP_3) | instskip(SKIP_2) | instid1(VALU_DEP_1)
	v_sub_f32_e32 v22, v22, v36
	s_wait_alu 0xfffd
	v_cndmask_b32_e32 v24, v24, v33, vcc_lo
	v_dual_fmaak_f32 v33, s4, v22, 0x3f400000 :: v_dual_sub_f32 v24, v24, v25
	v_fmaak_f32 v25, s3, v22, 0x3ecccccd
	s_delay_alu instid0(VALU_DEP_1) | instskip(NEXT) | instid1(VALU_DEP_1)
	v_sub_f32_e32 v24, v24, v25
	v_fmac_f32_e32 v33, 0xbe0f5c29, v24
	s_delay_alu instid0(VALU_DEP_1) | instskip(SKIP_1) | instid1(VALU_DEP_2)
	v_div_scale_f32 v25, null, v33, v33, 1.0
	v_div_scale_f32 v38, vcc_lo, 1.0, v33, 1.0
	v_rcp_f32_e32 v36, v25
	s_delay_alu instid0(TRANS32_DEP_1) | instskip(NEXT) | instid1(VALU_DEP_1)
	v_fma_f32 v37, -v25, v36, 1.0
	v_fmac_f32_e32 v36, v37, v36
	s_delay_alu instid0(VALU_DEP_1) | instskip(NEXT) | instid1(VALU_DEP_1)
	v_mul_f32_e32 v37, v38, v36
	v_fma_f32 v39, -v25, v37, v38
	s_delay_alu instid0(VALU_DEP_1) | instskip(NEXT) | instid1(VALU_DEP_1)
	v_fmac_f32_e32 v37, v39, v36
	v_fma_f32 v25, -v25, v37, v38
	s_wait_alu 0xfffd
	s_delay_alu instid0(VALU_DEP_1) | instskip(NEXT) | instid1(VALU_DEP_1)
	v_div_fmas_f32 v25, v25, v36, v37
	v_div_fixup_f32 v25, v25, v33, 1.0
	s_delay_alu instid0(VALU_DEP_1) | instskip(NEXT) | instid1(VALU_DEP_1)
	v_mul_f32_e32 v24, v24, v25
	v_fma_f32 v24, v24, v24, 1.0
	s_delay_alu instid0(VALU_DEP_1) | instskip(SKIP_1) | instid1(VALU_DEP_2)
	v_div_scale_f32 v25, null, v24, v24, 1.0
	v_div_scale_f32 v37, vcc_lo, 1.0, v24, 1.0
	v_rcp_f32_e32 v33, v25
	s_delay_alu instid0(TRANS32_DEP_1) | instskip(NEXT) | instid1(VALU_DEP_1)
	v_fma_f32 v36, -v25, v33, 1.0
	v_fmac_f32_e32 v33, v36, v33
	s_delay_alu instid0(VALU_DEP_1) | instskip(NEXT) | instid1(VALU_DEP_1)
	v_mul_f32_e32 v36, v37, v33
	v_fma_f32 v38, -v25, v36, v37
	s_delay_alu instid0(VALU_DEP_1) | instskip(NEXT) | instid1(VALU_DEP_1)
	v_fmac_f32_e32 v36, v38, v33
	v_fma_f32 v25, -v25, v36, v37
	s_wait_alu 0xfffd
	s_delay_alu instid0(VALU_DEP_1) | instskip(NEXT) | instid1(VALU_DEP_1)
	v_div_fmas_f32 v25, v25, v33, v36
	v_div_fixup_f32 v24, v25, v24, 1.0
	s_delay_alu instid0(VALU_DEP_1) | instskip(NEXT) | instid1(VALU_DEP_1)
	v_mul_f32_e32 v24, v22, v24
	v_mul_f32_e32 v22, 0x40549a78, v24
	v_cmp_ngt_f32_e32 vcc_lo, 0xc23369f4, v24
	s_delay_alu instid0(VALU_DEP_2) | instskip(SKIP_1) | instid1(VALU_DEP_1)
	v_fma_f32 v25, 0x40549a78, v24, -v22
	v_rndne_f32_e32 v33, v22
	v_dual_fmac_f32 v25, 0x33979a37, v24 :: v_dual_sub_f32 v22, v22, v33
	s_delay_alu instid0(VALU_DEP_1) | instskip(SKIP_1) | instid1(VALU_DEP_2)
	v_add_f32_e32 v22, v22, v25
	v_cvt_i32_f32_e32 v25, v33
	v_exp_f32_e32 v22, v22
	s_delay_alu instid0(TRANS32_DEP_1) | instskip(SKIP_1) | instid1(VALU_DEP_1)
	v_ldexp_f32 v22, v22, v25
	s_wait_alu 0xfffd
	v_cndmask_b32_e32 v25, 0, v22, vcc_lo
	v_cmp_nlt_f32_e32 vcc_lo, 0x421a209b, v24
	v_mad_co_u64_u32 v[22:23], null, s2, 9, v[0:1]
	v_mul_f32_e32 v0, v17, v16
	s_wait_alu 0xfffd
	v_dual_mov_b32 v23, v1 :: v_dual_cndmask_b32 v16, 0x7f800000, v25
	s_delay_alu instid0(VALU_DEP_1) | instskip(NEXT) | instid1(VALU_DEP_2)
	v_mul_f32_e32 v33, v0, v16
	v_lshlrev_b64_e32 v[16:17], 2, v[22:23]
	s_delay_alu instid0(VALU_DEP_2) | instskip(NEXT) | instid1(VALU_DEP_2)
	v_mul_f32_e32 v0, v50, v33
	v_add_co_u32 v23, vcc_lo, s8, v16
	s_wait_alu 0xfffd
	s_delay_alu instid0(VALU_DEP_3)
	v_add_co_ci_u32_e64 v24, null, s9, v17, vcc_lo
	global_store_b32 v[34:35], v0, off
	v_add_co_u32 v18, vcc_lo, s12, v18
	global_load_b32 v0, v[23:24], off
	s_wait_alu 0xfffd
	v_add_co_ci_u32_e64 v19, null, s13, v19, vcc_lo
	global_load_b32 v18, v[18:19], off
	v_mul_f32_e32 v19, 0xba2a392f, v30
	s_delay_alu instid0(VALU_DEP_1) | instskip(NEXT) | instid1(VALU_DEP_1)
	v_mul_f32_e32 v34, 0x3fb8aa3b, v19
	v_fma_f32 v36, 0x3fb8aa3b, v19, -v34
	v_rndne_f32_e32 v37, v34
	s_delay_alu instid0(VALU_DEP_1) | instskip(NEXT) | instid1(VALU_DEP_3)
	v_sub_f32_e32 v34, v34, v37
	v_fmac_f32_e32 v36, 0x32a5705f, v19
	v_mul_f32_e32 v25, 0xbba655c4, v30
	v_cvt_i32_f32_e32 v37, v37
	v_cmp_ngt_f32_e64 s0, 0xc2ce8ed0, v19
	s_delay_alu instid0(VALU_DEP_3) | instskip(NEXT) | instid1(VALU_DEP_1)
	v_dual_add_f32 v34, v34, v36 :: v_dual_mul_f32 v35, 0x3fb8aa3b, v25
	v_exp_f32_e32 v34, v34
	s_delay_alu instid0(VALU_DEP_1) | instskip(SKIP_1) | instid1(VALU_DEP_1)
	v_fma_f32 v38, 0x3fb8aa3b, v25, -v35
	v_rndne_f32_e32 v39, v35
	v_dual_fmac_f32 v38, 0x32a5705f, v25 :: v_dual_sub_f32 v35, v35, v39
	v_cvt_i32_f32_e32 v39, v39
	s_delay_alu instid0(TRANS32_DEP_1) | instskip(NEXT) | instid1(VALU_DEP_3)
	v_ldexp_f32 v34, v34, v37
	v_add_f32_e32 v35, v35, v38
	s_wait_alu 0xf1ff
	s_delay_alu instid0(VALU_DEP_2) | instskip(SKIP_1) | instid1(VALU_DEP_3)
	v_cndmask_b32_e64 v34, 0, v34, s0
	v_cmp_ngt_f32_e64 s0, 0xc2ce8ed0, v25
	v_exp_f32_e32 v35, v35
	s_delay_alu instid0(TRANS32_DEP_1) | instskip(SKIP_1) | instid1(VALU_DEP_1)
	v_ldexp_f32 v35, v35, v39
	s_wait_alu 0xf1ff
	v_cndmask_b32_e64 v35, 0, v35, s0
	v_cmp_nlt_f32_e64 s0, 0x42b17218, v19
	s_wait_alu 0xf1ff
	s_delay_alu instid0(VALU_DEP_1) | instskip(SKIP_1) | instid1(VALU_DEP_2)
	v_cndmask_b32_e64 v19, 0x7f800000, v34, s0
	v_cmp_nlt_f32_e64 s0, 0x42b17218, v25
	v_mul_f32_e32 v19, 0x3f6e978d, v19
	s_wait_alu 0xf1ff
	s_delay_alu instid0(VALU_DEP_2) | instskip(NEXT) | instid1(VALU_DEP_1)
	v_cndmask_b32_e64 v25, 0x7f800000, v35, s0
	v_fmamk_f32 v19, v25, 0x3d8b4396, v19
	s_wait_loadcnt 0x1
	v_div_scale_f32 v36, null, v0, v0, 1.0
	v_div_scale_f32 v44, vcc_lo, 1.0, v0, 1.0
	s_delay_alu instid0(VALU_DEP_2) | instskip(NEXT) | instid1(TRANS32_DEP_1)
	v_rcp_f32_e32 v38, v36
	v_fma_f32 v37, -v36, v38, 1.0
	s_delay_alu instid0(VALU_DEP_1) | instskip(NEXT) | instid1(VALU_DEP_1)
	v_fmac_f32_e32 v38, v37, v38
	v_mul_f32_e32 v39, v44, v38
	s_delay_alu instid0(VALU_DEP_1) | instskip(NEXT) | instid1(VALU_DEP_1)
	v_fma_f32 v34, -v36, v39, v44
	v_fmac_f32_e32 v39, v34, v38
	s_delay_alu instid0(VALU_DEP_1) | instskip(SKIP_1) | instid1(VALU_DEP_1)
	v_fma_f32 v25, -v36, v39, v44
	s_wait_alu 0xfffd
	v_div_fmas_f32 v25, v25, v38, v39
	s_delay_alu instid0(VALU_DEP_1) | instskip(NEXT) | instid1(VALU_DEP_1)
	v_div_fixup_f32 v25, v25, v0, 1.0
	v_mul_f32_e32 v25, v26, v25
	v_mul_f32_e32 v41, 0x3fb8aa3b, v40
	s_delay_alu instid0(VALU_DEP_1) | instskip(SKIP_1) | instid1(VALU_DEP_1)
	v_fma_f32 v42, 0x3fb8aa3b, v40, -v41
	v_rndne_f32_e32 v43, v41
	v_dual_sub_f32 v41, v41, v43 :: v_dual_fmac_f32 v42, 0x32a5705f, v40
	v_cmp_ngt_f32_e64 s0, 0xc2ce8ed0, v40
	v_cmp_nlt_f32_e32 vcc_lo, 0x42b17218, v40
	s_delay_alu instid0(VALU_DEP_3) | instskip(SKIP_1) | instid1(VALU_DEP_2)
	v_add_f32_e32 v37, v41, v42
	v_cvt_i32_f32_e32 v41, v43
	v_exp_f32_e32 v37, v37
	s_delay_alu instid0(TRANS32_DEP_1) | instskip(SKIP_1) | instid1(VALU_DEP_1)
	v_ldexp_f32 v34, v37, v41
	s_wait_alu 0xf1ff
	v_cndmask_b32_e64 v34, 0, v34, s0
	s_wait_alu 0xfffd
	s_delay_alu instid0(VALU_DEP_1) | instskip(NEXT) | instid1(VALU_DEP_1)
	v_cndmask_b32_e32 v34, 0x7f800000, v34, vcc_lo
	v_add_f32_e32 v19, v34, v19
	s_wait_loadcnt 0x0
	s_delay_alu instid0(VALU_DEP_1) | instskip(NEXT) | instid1(VALU_DEP_1)
	v_dual_mul_f32 v34, v18, v25 :: v_dual_max_num_f32 v19, 0x800000, v19
	v_max_num_f32_e32 v36, 0x800000, v34
	v_fma_f32 v18, v18, v25, 1.0
	s_delay_alu instid0(VALU_DEP_3) | instskip(NEXT) | instid1(VALU_DEP_3)
	v_cmp_gt_f32_e32 vcc_lo, 0x800000, v19
	v_cmp_gt_f32_e64 s0, 0x800000, v36
	s_delay_alu instid0(VALU_DEP_3) | instskip(SKIP_3) | instid1(VALU_DEP_2)
	v_div_scale_f32 v25, null, v18, v18, 1.0
	s_wait_alu 0xfffd
	v_cndmask_b32_e64 v35, 0, 32, vcc_lo
	v_cndmask_b32_e64 v38, 0, 0x411a209b, vcc_lo
	v_ldexp_f32 v19, v19, v35
	s_wait_alu 0xf1ff
	v_cndmask_b32_e64 v35, 0, 32, s0
	s_delay_alu instid0(VALU_DEP_2) | instskip(NEXT) | instid1(VALU_DEP_1)
	v_log_f32_e32 v19, v19
	v_ldexp_f32 v35, v36, v35
	s_delay_alu instid0(VALU_DEP_1) | instskip(NEXT) | instid1(TRANS32_DEP_2)
	v_log_f32_e32 v35, v35
	v_mul_f32_e32 v36, 0x3e9a209a, v19
	v_cmp_gt_f32_e64 vcc_lo, 0x7f800000, |v19|
	s_delay_alu instid0(VALU_DEP_2) | instskip(NEXT) | instid1(TRANS32_DEP_1)
	v_fma_f32 v36, 0x3e9a209a, v19, -v36
	v_mul_f32_e32 v37, 0x3e9a209a, v35
	s_delay_alu instid0(VALU_DEP_2) | instskip(NEXT) | instid1(VALU_DEP_2)
	v_fmac_f32_e32 v36, 0x3284fbcf, v19
	v_fma_f32 v37, 0x3e9a209a, v35, -v37
	s_delay_alu instid0(VALU_DEP_2) | instskip(NEXT) | instid1(VALU_DEP_2)
	v_fmac_f32_e32 v36, 0x3e9a209a, v19
	v_fmac_f32_e32 v37, 0x3284fbcf, v35
	s_wait_alu 0xfffd
	s_delay_alu instid0(VALU_DEP_2) | instskip(NEXT) | instid1(VALU_DEP_2)
	v_cndmask_b32_e32 v19, v19, v36, vcc_lo
	v_fmac_f32_e32 v37, 0x3e9a209a, v35
	v_cmp_gt_f32_e64 vcc_lo, 0x7f800000, |v35|
	v_cndmask_b32_e64 v36, 0, 0x411a209b, s0
	s_delay_alu instid0(VALU_DEP_4)
	v_sub_f32_e32 v19, v19, v38
	v_rcp_f32_e32 v38, v25
	s_wait_alu 0xfffd
	v_cndmask_b32_e32 v35, v35, v37, vcc_lo
	v_div_scale_f32 v42, vcc_lo, 1.0, v18, 1.0
	v_fmaak_f32 v37, s3, v19, 0x3ecccccd
	s_delay_alu instid0(VALU_DEP_3) | instskip(NEXT) | instid1(TRANS32_DEP_1)
	v_dual_sub_f32 v35, v35, v36 :: v_dual_fmaak_f32 v36, s4, v19, 0x3f400000
	v_fma_f32 v40, -v25, v38, 1.0
	s_delay_alu instid0(VALU_DEP_1) | instskip(NEXT) | instid1(VALU_DEP_1)
	v_dual_sub_f32 v35, v35, v37 :: v_dual_fmac_f32 v38, v40, v38
	v_fmac_f32_e32 v36, 0xbe0f5c29, v35
	s_delay_alu instid0(VALU_DEP_1) | instskip(SKIP_1) | instid1(VALU_DEP_2)
	v_div_scale_f32 v37, null, v36, v36, 1.0
	v_div_scale_f32 v40, s0, 1.0, v36, 1.0
	v_rcp_f32_e32 v39, v37
	s_delay_alu instid0(TRANS32_DEP_1) | instskip(NEXT) | instid1(VALU_DEP_1)
	v_fma_f32 v41, -v37, v39, 1.0
	v_fmac_f32_e32 v39, v41, v39
	v_mul_f32_e32 v41, v42, v38
	s_delay_alu instid0(VALU_DEP_2) | instskip(NEXT) | instid1(VALU_DEP_2)
	v_mul_f32_e32 v43, v40, v39
	v_fma_f32 v44, -v25, v41, v42
	s_delay_alu instid0(VALU_DEP_2) | instskip(NEXT) | instid1(VALU_DEP_2)
	v_fma_f32 v45, -v37, v43, v40
	v_fmac_f32_e32 v41, v44, v38
	s_delay_alu instid0(VALU_DEP_2) | instskip(NEXT) | instid1(VALU_DEP_2)
	v_fmac_f32_e32 v43, v45, v39
	v_fma_f32 v25, -v25, v41, v42
	s_delay_alu instid0(VALU_DEP_2) | instskip(SKIP_1) | instid1(VALU_DEP_2)
	v_fma_f32 v37, -v37, v43, v40
	s_wait_alu 0xfffd
	v_div_fmas_f32 v25, v25, v38, v41
	s_mov_b32 vcc_lo, s0
	s_wait_alu 0xfffe
	v_div_fmas_f32 v37, v37, v39, v43
	v_mul_f32_e32 v43, 0xc59e6800, v28
	v_div_fixup_f32 v18, v25, v18, 1.0
	s_delay_alu instid0(VALU_DEP_3) | instskip(NEXT) | instid1(VALU_DEP_3)
	v_div_fixup_f32 v36, v37, v36, 1.0
	v_mul_f32_e32 v44, 0x3fb8aa3b, v43
	s_delay_alu instid0(VALU_DEP_3) | instskip(NEXT) | instid1(VALU_DEP_2)
	v_mul_f32_e32 v18, v34, v18
	v_fma_f32 v45, 0x3fb8aa3b, v43, -v44
	v_rndne_f32_e32 v46, v44
	s_delay_alu instid0(VALU_DEP_1) | instskip(SKIP_1) | instid1(VALU_DEP_1)
	v_dual_fmac_f32 v45, 0x32a5705f, v43 :: v_dual_sub_f32 v44, v44, v46
	v_mul_f32_e32 v35, v35, v36
	v_fma_f32 v35, v35, v35, 1.0
	s_delay_alu instid0(VALU_DEP_1) | instskip(SKIP_1) | instid1(VALU_DEP_2)
	v_div_scale_f32 v36, null, v35, v35, 1.0
	v_div_scale_f32 v39, vcc_lo, 1.0, v35, 1.0
	v_rcp_f32_e32 v37, v36
	s_delay_alu instid0(TRANS32_DEP_1) | instskip(NEXT) | instid1(VALU_DEP_1)
	v_fma_f32 v38, -v36, v37, 1.0
	v_fmac_f32_e32 v37, v38, v37
	s_delay_alu instid0(VALU_DEP_1) | instskip(NEXT) | instid1(VALU_DEP_1)
	v_mul_f32_e32 v38, v39, v37
	v_fma_f32 v40, -v36, v38, v39
	s_delay_alu instid0(VALU_DEP_1) | instskip(NEXT) | instid1(VALU_DEP_1)
	v_fmac_f32_e32 v38, v40, v37
	v_fma_f32 v36, -v36, v38, v39
	s_wait_alu 0xfffd
	s_delay_alu instid0(VALU_DEP_1) | instskip(NEXT) | instid1(VALU_DEP_1)
	v_div_fmas_f32 v36, v36, v37, v38
	v_div_fixup_f32 v35, v36, v35, 1.0
	s_delay_alu instid0(VALU_DEP_1) | instskip(NEXT) | instid1(VALU_DEP_1)
	v_mul_f32_e32 v19, v19, v35
	v_mul_f32_e32 v35, 0x40549a78, v19
	v_cmp_ngt_f32_e32 vcc_lo, 0xc23369f4, v19
	s_delay_alu instid0(VALU_DEP_2) | instskip(SKIP_1) | instid1(VALU_DEP_1)
	v_fma_f32 v36, 0x40549a78, v19, -v35
	v_rndne_f32_e32 v37, v35
	v_dual_fmac_f32 v36, 0x33979a37, v19 :: v_dual_sub_f32 v35, v35, v37
	v_cvt_i32_f32_e32 v37, v37
	s_delay_alu instid0(VALU_DEP_2) | instskip(NEXT) | instid1(VALU_DEP_1)
	v_add_f32_e32 v35, v35, v36
	v_exp_f32_e32 v38, v35
	v_mad_co_u64_u32 v[35:36], null, 0xffffffe4, s2, v[22:23]
	v_mov_b32_e32 v36, v1
	s_delay_alu instid0(TRANS32_DEP_1) | instskip(NEXT) | instid1(VALU_DEP_2)
	v_ldexp_f32 v22, v38, v37
	v_mad_co_u64_u32 v[37:38], null, s2, 36, v[35:36]
	v_mov_b32_e32 v38, v1
	s_wait_alu 0xfffd
	s_delay_alu instid0(VALU_DEP_3) | instskip(SKIP_2) | instid1(VALU_DEP_2)
	v_cndmask_b32_e32 v22, 0, v22, vcc_lo
	v_cmp_nlt_f32_e32 vcc_lo, 0x421a209b, v19
	s_wait_alu 0xfffd
	v_cndmask_b32_e32 v19, 0x7f800000, v22, vcc_lo
	s_delay_alu instid0(VALU_DEP_1) | instskip(SKIP_1) | instid1(VALU_DEP_2)
	v_mul_f32_e32 v34, v18, v19
	v_lshlrev_b64_e32 v[18:19], 2, v[37:38]
	v_mul_f32_e32 v0, v0, v34
	s_delay_alu instid0(VALU_DEP_2) | instskip(SKIP_1) | instid1(VALU_DEP_3)
	v_add_co_u32 v38, vcc_lo, s8, v18
	s_wait_alu 0xfffd
	v_add_co_ci_u32_e64 v39, null, s9, v19, vcc_lo
	global_store_b32 v[23:24], v0, off
	v_lshlrev_b64_e32 v[22:23], 2, v[35:36]
	global_load_b32 v24, v[38:39], off
	v_add_co_u32 v22, vcc_lo, s12, v22
	s_wait_alu 0xfffd
	v_add_co_ci_u32_e64 v23, null, s13, v23, vcc_lo
	global_load_b32 v0, v[22:23], off
	v_mul_f32_e32 v22, 0xba1eaecd, v30
	v_mul_f32_e32 v23, 0xbb8a42f8, v30
	s_delay_alu instid0(VALU_DEP_2) | instskip(NEXT) | instid1(VALU_DEP_2)
	v_mul_f32_e32 v25, 0x3fb8aa3b, v22
	v_mul_f32_e32 v35, 0x3fb8aa3b, v23
	v_cmp_ngt_f32_e64 s0, 0xc2ce8ed0, v22
	s_delay_alu instid0(VALU_DEP_3) | instskip(SKIP_1) | instid1(VALU_DEP_4)
	v_fma_f32 v36, 0x3fb8aa3b, v22, -v25
	v_rndne_f32_e32 v40, v25
	v_fma_f32 v41, 0x3fb8aa3b, v23, -v35
	v_rndne_f32_e32 v42, v35
	s_delay_alu instid0(VALU_DEP_3) | instskip(NEXT) | instid1(VALU_DEP_3)
	v_dual_fmac_f32 v36, 0x32a5705f, v22 :: v_dual_sub_f32 v25, v25, v40
	v_fmac_f32_e32 v41, 0x32a5705f, v23
	s_delay_alu instid0(VALU_DEP_3) | instskip(SKIP_3) | instid1(VALU_DEP_4)
	v_sub_f32_e32 v35, v35, v42
	v_cvt_i32_f32_e32 v40, v40
	v_cvt_i32_f32_e32 v42, v42
	v_add_f32_e32 v25, v25, v36
	v_add_f32_e32 v35, v35, v41
	s_delay_alu instid0(VALU_DEP_2) | instskip(NEXT) | instid1(VALU_DEP_1)
	v_exp_f32_e32 v25, v25
	v_exp_f32_e32 v35, v35
	s_delay_alu instid0(TRANS32_DEP_2) | instskip(NEXT) | instid1(TRANS32_DEP_1)
	v_ldexp_f32 v25, v25, v40
	v_ldexp_f32 v35, v35, v42
	s_wait_alu 0xf1ff
	s_delay_alu instid0(VALU_DEP_2) | instskip(SKIP_2) | instid1(VALU_DEP_1)
	v_cndmask_b32_e64 v25, 0, v25, s0
	v_cmp_ngt_f32_e64 s0, 0xc2ce8ed0, v23
	s_wait_alu 0xf1ff
	v_cndmask_b32_e64 v35, 0, v35, s0
	v_cmp_nlt_f32_e64 s0, 0x42b17218, v22
	s_wait_alu 0xf1ff
	s_delay_alu instid0(VALU_DEP_1) | instskip(SKIP_1) | instid1(VALU_DEP_2)
	v_cndmask_b32_e64 v22, 0x7f800000, v25, s0
	v_cmp_nlt_f32_e64 s0, 0x42b17218, v23
	v_mul_f32_e32 v22, 0x3f136113, v22
	s_wait_alu 0xf1ff
	s_delay_alu instid0(VALU_DEP_2) | instskip(SKIP_1) | instid1(VALU_DEP_2)
	v_cndmask_b32_e64 v23, 0x7f800000, v35, s0
	v_cmp_ngt_f32_e64 s0, 0xc2ce8ed0, v43
	v_fmamk_f32 v22, v23, 0x3ed93dd9, v22
	s_wait_loadcnt 0x1
	v_div_scale_f32 v36, null, v24, v24, 1.0
	v_div_scale_f32 v47, vcc_lo, 1.0, v24, 1.0
	s_delay_alu instid0(VALU_DEP_2) | instskip(NEXT) | instid1(TRANS32_DEP_1)
	v_rcp_f32_e32 v41, v36
	v_fma_f32 v40, -v36, v41, 1.0
	s_delay_alu instid0(VALU_DEP_1) | instskip(SKIP_2) | instid1(VALU_DEP_3)
	v_fmac_f32_e32 v41, v40, v41
	v_add_f32_e32 v40, v44, v45
	v_cvt_i32_f32_e32 v44, v46
	v_mul_f32_e32 v42, v47, v41
	s_delay_alu instid0(VALU_DEP_3) | instskip(NEXT) | instid1(VALU_DEP_1)
	v_exp_f32_e32 v40, v40
	v_fma_f32 v25, -v36, v42, v47
	s_delay_alu instid0(VALU_DEP_1) | instskip(NEXT) | instid1(TRANS32_DEP_1)
	v_fmac_f32_e32 v42, v25, v41
	v_ldexp_f32 v25, v40, v44
	s_delay_alu instid0(VALU_DEP_2) | instskip(SKIP_1) | instid1(VALU_DEP_2)
	v_fma_f32 v23, -v36, v42, v47
	s_wait_alu 0xf1ff
	v_cndmask_b32_e64 v25, 0, v25, s0
	s_wait_alu 0xfffd
	s_delay_alu instid0(VALU_DEP_2) | instskip(SKIP_1) | instid1(VALU_DEP_2)
	v_div_fmas_f32 v23, v23, v41, v42
	v_cmp_nlt_f32_e32 vcc_lo, 0x42b17218, v43
	v_div_fixup_f32 v23, v23, v24, 1.0
	s_wait_alu 0xfffd
	v_cndmask_b32_e32 v25, 0x7f800000, v25, vcc_lo
	s_delay_alu instid0(VALU_DEP_1) | instskip(NEXT) | instid1(VALU_DEP_1)
	v_add_f32_e32 v22, v25, v22
	v_max_num_f32_e32 v22, 0x800000, v22
	s_delay_alu instid0(VALU_DEP_1) | instskip(SKIP_3) | instid1(VALU_DEP_2)
	v_cmp_gt_f32_e32 vcc_lo, 0x800000, v22
	s_wait_alu 0xfffd
	v_cndmask_b32_e64 v35, 0, 32, vcc_lo
	v_cndmask_b32_e64 v41, 0, 0x411a209b, vcc_lo
	v_ldexp_f32 v22, v22, v35
	s_delay_alu instid0(VALU_DEP_1) | instskip(SKIP_2) | instid1(VALU_DEP_1)
	v_log_f32_e32 v22, v22
	v_mul_f32_e32 v23, v26, v23
	s_wait_loadcnt 0x0
	v_mul_f32_e32 v25, v0, v23
	s_delay_alu instid0(TRANS32_DEP_1) | instskip(NEXT) | instid1(VALU_DEP_2)
	v_cmp_gt_f32_e64 vcc_lo, 0x7f800000, |v22|
	v_max_num_f32_e32 v36, 0x800000, v25
	s_delay_alu instid0(VALU_DEP_1) | instskip(SKIP_1) | instid1(VALU_DEP_1)
	v_cmp_gt_f32_e64 s0, 0x800000, v36
	s_wait_alu 0xf1ff
	v_cndmask_b32_e64 v35, 0, 32, s0
	s_delay_alu instid0(VALU_DEP_1) | instskip(SKIP_1) | instid1(VALU_DEP_2)
	v_ldexp_f32 v35, v36, v35
	v_mul_f32_e32 v36, 0x3e9a209a, v22
	v_log_f32_e32 v35, v35
	s_delay_alu instid0(VALU_DEP_1) | instskip(NEXT) | instid1(VALU_DEP_1)
	v_fma_f32 v36, 0x3e9a209a, v22, -v36
	v_fmac_f32_e32 v36, 0x3284fbcf, v22
	s_delay_alu instid0(TRANS32_DEP_1) | instskip(NEXT) | instid1(VALU_DEP_2)
	v_mul_f32_e32 v40, 0x3e9a209a, v35
	v_fmac_f32_e32 v36, 0x3e9a209a, v22
	v_fma_f32 v0, v0, v23, 1.0
	s_delay_alu instid0(VALU_DEP_3) | instskip(SKIP_1) | instid1(VALU_DEP_3)
	v_fma_f32 v40, 0x3e9a209a, v35, -v40
	s_wait_alu 0xfffd
	v_cndmask_b32_e32 v22, v22, v36, vcc_lo
	s_delay_alu instid0(VALU_DEP_3) | instskip(SKIP_2) | instid1(VALU_DEP_4)
	v_div_scale_f32 v23, null, v0, v0, 1.0
	v_cndmask_b32_e64 v36, 0, 0x411a209b, s0
	v_fmac_f32_e32 v40, 0x3284fbcf, v35
	v_sub_f32_e32 v22, v22, v41
	s_delay_alu instid0(VALU_DEP_4) | instskip(SKIP_1) | instid1(TRANS32_DEP_1)
	v_rcp_f32_e32 v41, v23
	v_cmp_gt_f32_e64 vcc_lo, 0x7f800000, |v35|
	v_fma_f32 v43, -v23, v41, 1.0
	s_delay_alu instid0(VALU_DEP_1) | instskip(SKIP_1) | instid1(VALU_DEP_1)
	v_dual_fmac_f32 v40, 0x3e9a209a, v35 :: v_dual_fmac_f32 v41, v43, v41
	s_wait_alu 0xfffd
	v_cndmask_b32_e32 v35, v35, v40, vcc_lo
	v_fmaak_f32 v40, s3, v22, 0x3ecccccd
	v_div_scale_f32 v45, vcc_lo, 1.0, v0, 1.0
	s_delay_alu instid0(VALU_DEP_3) | instskip(NEXT) | instid1(VALU_DEP_1)
	v_dual_sub_f32 v35, v35, v36 :: v_dual_fmaak_f32 v36, s4, v22, 0x3f400000
	v_sub_f32_e32 v35, v35, v40
	s_delay_alu instid0(VALU_DEP_1) | instskip(NEXT) | instid1(VALU_DEP_1)
	v_fmac_f32_e32 v36, 0xbe0f5c29, v35
	v_div_scale_f32 v40, null, v36, v36, 1.0
	v_div_scale_f32 v43, s0, 1.0, v36, 1.0
	s_delay_alu instid0(VALU_DEP_2) | instskip(NEXT) | instid1(TRANS32_DEP_1)
	v_rcp_f32_e32 v42, v40
	v_fma_f32 v44, -v40, v42, 1.0
	s_delay_alu instid0(VALU_DEP_1) | instskip(SKIP_1) | instid1(VALU_DEP_2)
	v_fmac_f32_e32 v42, v44, v42
	v_mul_f32_e32 v44, v45, v41
	v_mul_f32_e32 v46, v43, v42
	s_delay_alu instid0(VALU_DEP_2) | instskip(NEXT) | instid1(VALU_DEP_2)
	v_fma_f32 v47, -v23, v44, v45
	v_fma_f32 v48, -v40, v46, v43
	s_delay_alu instid0(VALU_DEP_2) | instskip(NEXT) | instid1(VALU_DEP_2)
	v_fmac_f32_e32 v44, v47, v41
	v_fmac_f32_e32 v46, v48, v42
	s_delay_alu instid0(VALU_DEP_2) | instskip(NEXT) | instid1(VALU_DEP_2)
	v_fma_f32 v23, -v23, v44, v45
	v_fma_f32 v40, -v40, v46, v43
	s_wait_alu 0xfffd
	s_delay_alu instid0(VALU_DEP_2)
	v_div_fmas_f32 v23, v23, v41, v44
	s_mov_b32 vcc_lo, s0
	v_mul_f32_e32 v44, 0xc5cd5000, v28
	s_wait_alu 0xfffe
	v_div_fmas_f32 v40, v40, v42, v46
	v_div_fixup_f32 v0, v23, v0, 1.0
	s_delay_alu instid0(VALU_DEP_3) | instskip(NEXT) | instid1(VALU_DEP_3)
	v_mul_f32_e32 v45, 0x3fb8aa3b, v44
	v_div_fixup_f32 v36, v40, v36, 1.0
	s_delay_alu instid0(VALU_DEP_3) | instskip(SKIP_1) | instid1(VALU_DEP_4)
	v_mul_f32_e32 v25, v25, v0
	v_lshl_add_u32 v0, s2, 1, v37
	v_rndne_f32_e32 v47, v45
	v_fma_f32 v46, 0x3fb8aa3b, v44, -v45
	v_mul_f32_e32 v35, v35, v36
	s_delay_alu instid0(VALU_DEP_2) | instskip(NEXT) | instid1(VALU_DEP_2)
	v_dual_sub_f32 v45, v45, v47 :: v_dual_fmac_f32 v46, 0x32a5705f, v44
	v_fma_f32 v35, v35, v35, 1.0
	s_delay_alu instid0(VALU_DEP_1) | instskip(SKIP_1) | instid1(VALU_DEP_2)
	v_div_scale_f32 v36, null, v35, v35, 1.0
	v_div_scale_f32 v42, vcc_lo, 1.0, v35, 1.0
	v_rcp_f32_e32 v40, v36
	s_delay_alu instid0(TRANS32_DEP_1) | instskip(NEXT) | instid1(VALU_DEP_1)
	v_fma_f32 v41, -v36, v40, 1.0
	v_fmac_f32_e32 v40, v41, v40
	s_delay_alu instid0(VALU_DEP_1) | instskip(NEXT) | instid1(VALU_DEP_1)
	v_mul_f32_e32 v41, v42, v40
	v_fma_f32 v43, -v36, v41, v42
	s_delay_alu instid0(VALU_DEP_1) | instskip(NEXT) | instid1(VALU_DEP_1)
	v_fmac_f32_e32 v41, v43, v40
	v_fma_f32 v36, -v36, v41, v42
	s_wait_alu 0xfffd
	s_delay_alu instid0(VALU_DEP_1) | instskip(NEXT) | instid1(VALU_DEP_1)
	v_div_fmas_f32 v36, v36, v40, v41
	v_div_fixup_f32 v35, v36, v35, 1.0
	s_delay_alu instid0(VALU_DEP_1) | instskip(NEXT) | instid1(VALU_DEP_1)
	v_mul_f32_e32 v22, v22, v35
	v_mul_f32_e32 v35, 0x40549a78, v22
	v_cmp_ngt_f32_e32 vcc_lo, 0xc23369f4, v22
	s_delay_alu instid0(VALU_DEP_2) | instskip(SKIP_1) | instid1(VALU_DEP_1)
	v_fma_f32 v36, 0x40549a78, v22, -v35
	v_rndne_f32_e32 v40, v35
	v_dual_fmac_f32 v36, 0x33979a37, v22 :: v_dual_sub_f32 v35, v35, v40
	s_delay_alu instid0(VALU_DEP_1) | instskip(SKIP_1) | instid1(VALU_DEP_2)
	v_add_f32_e32 v35, v35, v36
	v_cvt_i32_f32_e32 v36, v40
	v_exp_f32_e32 v35, v35
	s_delay_alu instid0(TRANS32_DEP_1) | instskip(SKIP_1) | instid1(VALU_DEP_1)
	v_ldexp_f32 v35, v35, v36
	s_wait_alu 0xfffd
	v_cndmask_b32_e32 v23, 0, v35, vcc_lo
	v_cmp_nlt_f32_e32 vcc_lo, 0x421a209b, v22
	s_wait_alu 0xfffd
	s_delay_alu instid0(VALU_DEP_2) | instskip(NEXT) | instid1(VALU_DEP_1)
	v_cndmask_b32_e32 v22, 0x7f800000, v23, vcc_lo
	v_mul_f32_e32 v35, v25, v22
	v_lshlrev_b64_e32 v[22:23], 2, v[0:1]
	s_delay_alu instid0(VALU_DEP_2) | instskip(NEXT) | instid1(VALU_DEP_2)
	v_mul_f32_e32 v36, v24, v35
	v_add_co_u32 v24, vcc_lo, s8, v22
	s_wait_alu 0xfffd
	s_delay_alu instid0(VALU_DEP_3)
	v_add_co_ci_u32_e64 v25, null, s9, v23, vcc_lo
	global_store_b32 v[38:39], v36, off
	v_add_co_u32 v20, vcc_lo, s12, v20
	global_load_b32 v41, v[24:25], off
	s_wait_alu 0xfffd
	v_add_co_ci_u32_e64 v21, null, s13, v21, vcc_lo
	v_mul_f32_e32 v36, 0xbb71d48c, v30
	global_load_b32 v20, v[20:21], off
	v_mul_f32_e32 v21, 0xb9be4dde, v30
	s_delay_alu instid0(VALU_DEP_1) | instskip(NEXT) | instid1(VALU_DEP_1)
	v_dual_mul_f32 v38, 0x3fb8aa3b, v36 :: v_dual_mul_f32 v37, 0x3fb8aa3b, v21
	v_fma_f32 v42, 0x3fb8aa3b, v36, -v38
	v_rndne_f32_e32 v43, v38
	v_cmp_ngt_f32_e64 s0, 0xc2ce8ed0, v21
	s_delay_alu instid0(VALU_DEP_4)
	v_fma_f32 v39, 0x3fb8aa3b, v21, -v37
	v_rndne_f32_e32 v40, v37
	v_fmac_f32_e32 v42, 0x32a5705f, v36
	v_sub_f32_e32 v38, v38, v43
	v_cvt_i32_f32_e32 v43, v43
	v_fmac_f32_e32 v39, 0x32a5705f, v21
	v_sub_f32_e32 v37, v37, v40
	v_cvt_i32_f32_e32 v40, v40
	s_delay_alu instid0(VALU_DEP_2) | instskip(NEXT) | instid1(VALU_DEP_1)
	v_dual_add_f32 v38, v38, v42 :: v_dual_add_f32 v37, v37, v39
	v_exp_f32_e32 v38, v38
	s_delay_alu instid0(VALU_DEP_1) | instskip(NEXT) | instid1(TRANS32_DEP_2)
	v_exp_f32_e32 v37, v37
	v_ldexp_f32 v38, v38, v43
	s_delay_alu instid0(TRANS32_DEP_1) | instskip(SKIP_1) | instid1(VALU_DEP_1)
	v_ldexp_f32 v37, v37, v40
	s_wait_alu 0xf1ff
	v_cndmask_b32_e64 v37, 0, v37, s0
	v_cmp_ngt_f32_e64 s0, 0xc2ce8ed0, v36
	s_wait_alu 0xf1ff
	s_delay_alu instid0(VALU_DEP_1) | instskip(SKIP_2) | instid1(VALU_DEP_1)
	v_cndmask_b32_e64 v38, 0, v38, s0
	v_cmp_nlt_f32_e64 s0, 0x42b17218, v21
	s_wait_alu 0xf1ff
	v_cndmask_b32_e64 v21, 0x7f800000, v37, s0
	v_cmp_nlt_f32_e64 s0, 0x42b17218, v36
	s_delay_alu instid0(VALU_DEP_2) | instskip(SKIP_1) | instid1(VALU_DEP_2)
	v_mul_f32_e32 v21, 0x3f484b5e, v21
	s_wait_alu 0xf1ff
	v_cndmask_b32_e64 v36, 0x7f800000, v38, s0
	v_cmp_ngt_f32_e64 s0, 0xc2ce8ed0, v44
	s_delay_alu instid0(VALU_DEP_2) | instskip(SKIP_3) | instid1(VALU_DEP_2)
	v_fmamk_f32 v21, v36, 0x3e5ed289, v21
	s_wait_loadcnt 0x1
	v_div_scale_f32 v39, null, v41, v41, 1.0
	v_div_scale_f32 v48, vcc_lo, 1.0, v41, 1.0
	v_rcp_f32_e32 v42, v39
	s_delay_alu instid0(TRANS32_DEP_1) | instskip(NEXT) | instid1(VALU_DEP_1)
	v_fma_f32 v40, -v39, v42, 1.0
	v_fmac_f32_e32 v42, v40, v42
	v_add_f32_e32 v40, v45, v46
	v_cvt_i32_f32_e32 v45, v47
	s_delay_alu instid0(VALU_DEP_3) | instskip(NEXT) | instid1(VALU_DEP_3)
	v_mul_f32_e32 v43, v48, v42
	v_exp_f32_e32 v40, v40
	s_delay_alu instid0(VALU_DEP_1) | instskip(NEXT) | instid1(VALU_DEP_1)
	v_fma_f32 v37, -v39, v43, v48
	v_fmac_f32_e32 v43, v37, v42
	s_delay_alu instid0(TRANS32_DEP_1) | instskip(NEXT) | instid1(VALU_DEP_2)
	v_ldexp_f32 v37, v40, v45
	v_fma_f32 v36, -v39, v43, v48
	s_wait_alu 0xf1ff
	s_delay_alu instid0(VALU_DEP_2) | instskip(SKIP_1) | instid1(VALU_DEP_2)
	v_cndmask_b32_e64 v37, 0, v37, s0
	s_wait_alu 0xfffd
	v_div_fmas_f32 v36, v36, v42, v43
	v_cmp_nlt_f32_e32 vcc_lo, 0x42b17218, v44
	s_delay_alu instid0(VALU_DEP_2) | instskip(SKIP_1) | instid1(VALU_DEP_1)
	v_div_fixup_f32 v36, v36, v41, 1.0
	s_wait_alu 0xfffd
	v_dual_cndmask_b32 v37, 0x7f800000, v37 :: v_dual_mul_f32 v36, v26, v36
	s_wait_loadcnt 0x0
	s_delay_alu instid0(VALU_DEP_1) | instskip(NEXT) | instid1(VALU_DEP_1)
	v_dual_add_f32 v21, v37, v21 :: v_dual_mul_f32 v42, v20, v36
	v_max_num_f32_e32 v21, 0x800000, v21
	v_fma_f32 v20, v20, v36, 1.0
	s_delay_alu instid0(VALU_DEP_3) | instskip(NEXT) | instid1(VALU_DEP_3)
	v_max_num_f32_e32 v38, 0x800000, v42
	v_cmp_gt_f32_e32 vcc_lo, 0x800000, v21
	s_delay_alu instid0(VALU_DEP_3) | instskip(NEXT) | instid1(VALU_DEP_3)
	v_div_scale_f32 v36, null, v20, v20, 1.0
	v_cmp_gt_f32_e64 s0, 0x800000, v38
	s_wait_alu 0xfffd
	v_cndmask_b32_e64 v37, 0, 32, vcc_lo
	v_cndmask_b32_e64 v40, 0, 0x411a209b, vcc_lo
	s_delay_alu instid0(VALU_DEP_2) | instskip(SKIP_2) | instid1(VALU_DEP_2)
	v_ldexp_f32 v21, v21, v37
	s_wait_alu 0xf1ff
	v_cndmask_b32_e64 v37, 0, 32, s0
	v_log_f32_e32 v21, v21
	s_delay_alu instid0(VALU_DEP_1) | instskip(NEXT) | instid1(VALU_DEP_1)
	v_ldexp_f32 v37, v38, v37
	v_log_f32_e32 v37, v37
	s_delay_alu instid0(TRANS32_DEP_2) | instskip(SKIP_1) | instid1(VALU_DEP_2)
	v_mul_f32_e32 v38, 0x3e9a209a, v21
	v_cmp_gt_f32_e64 vcc_lo, 0x7f800000, |v21|
	v_fma_f32 v38, 0x3e9a209a, v21, -v38
	s_delay_alu instid0(TRANS32_DEP_1) | instskip(NEXT) | instid1(VALU_DEP_2)
	v_mul_f32_e32 v39, 0x3e9a209a, v37
	v_fmac_f32_e32 v38, 0x3284fbcf, v21
	s_delay_alu instid0(VALU_DEP_2) | instskip(NEXT) | instid1(VALU_DEP_2)
	v_fma_f32 v39, 0x3e9a209a, v37, -v39
	v_fmac_f32_e32 v38, 0x3e9a209a, v21
	s_delay_alu instid0(VALU_DEP_2) | instskip(SKIP_1) | instid1(VALU_DEP_2)
	v_fmac_f32_e32 v39, 0x3284fbcf, v37
	s_wait_alu 0xfffd
	v_cndmask_b32_e32 v21, v21, v38, vcc_lo
	s_delay_alu instid0(VALU_DEP_2) | instskip(SKIP_2) | instid1(VALU_DEP_4)
	v_fmac_f32_e32 v39, 0x3e9a209a, v37
	v_cmp_gt_f32_e64 vcc_lo, 0x7f800000, |v37|
	v_cndmask_b32_e64 v38, 0, 0x411a209b, s0
	v_sub_f32_e32 v21, v21, v40
	v_rcp_f32_e32 v40, v36
	s_wait_alu 0xfffd
	v_cndmask_b32_e32 v37, v37, v39, vcc_lo
	v_div_scale_f32 v46, vcc_lo, 1.0, v20, 1.0
	v_fmaak_f32 v39, s3, v21, 0x3ecccccd
	s_delay_alu instid0(VALU_DEP_3) | instskip(NEXT) | instid1(TRANS32_DEP_1)
	v_dual_sub_f32 v37, v37, v38 :: v_dual_fmaak_f32 v38, s4, v21, 0x3f400000
	v_fma_f32 v44, -v36, v40, 1.0
	s_delay_alu instid0(VALU_DEP_1) | instskip(NEXT) | instid1(VALU_DEP_1)
	v_dual_sub_f32 v37, v37, v39 :: v_dual_fmac_f32 v40, v44, v40
	v_fmac_f32_e32 v38, 0xbe0f5c29, v37
	s_delay_alu instid0(VALU_DEP_1) | instskip(SKIP_1) | instid1(VALU_DEP_2)
	v_div_scale_f32 v39, null, v38, v38, 1.0
	v_div_scale_f32 v44, s0, 1.0, v38, 1.0
	v_rcp_f32_e32 v43, v39
	s_delay_alu instid0(TRANS32_DEP_1) | instskip(NEXT) | instid1(VALU_DEP_1)
	v_fma_f32 v45, -v39, v43, 1.0
	v_fmac_f32_e32 v43, v45, v43
	v_mul_f32_e32 v45, v46, v40
	s_delay_alu instid0(VALU_DEP_2) | instskip(NEXT) | instid1(VALU_DEP_2)
	v_mul_f32_e32 v47, v44, v43
	v_fma_f32 v48, -v36, v45, v46
	s_delay_alu instid0(VALU_DEP_2) | instskip(NEXT) | instid1(VALU_DEP_2)
	v_fma_f32 v49, -v39, v47, v44
	v_fmac_f32_e32 v45, v48, v40
	s_delay_alu instid0(VALU_DEP_2) | instskip(NEXT) | instid1(VALU_DEP_2)
	v_fmac_f32_e32 v47, v49, v43
	v_fma_f32 v36, -v36, v45, v46
	s_delay_alu instid0(VALU_DEP_2) | instskip(SKIP_1) | instid1(VALU_DEP_2)
	v_fma_f32 v39, -v39, v47, v44
	s_wait_alu 0xfffd
	v_div_fmas_f32 v36, v36, v40, v45
	s_mov_b32 vcc_lo, s0
	s_wait_alu 0xfffe
	v_div_fmas_f32 v39, v39, v43, v47
	v_mul_f32_e32 v47, 0xc5aeb000, v28
	v_div_fixup_f32 v20, v36, v20, 1.0
	s_delay_alu instid0(VALU_DEP_3) | instskip(NEXT) | instid1(VALU_DEP_3)
	v_div_fixup_f32 v38, v39, v38, 1.0
	v_mul_f32_e32 v48, 0x3fb8aa3b, v47
	s_delay_alu instid0(VALU_DEP_3) | instskip(NEXT) | instid1(VALU_DEP_2)
	v_mul_f32_e32 v20, v42, v20
	v_fma_f32 v49, 0x3fb8aa3b, v47, -v48
	v_rndne_f32_e32 v50, v48
	s_delay_alu instid0(VALU_DEP_1) | instskip(SKIP_1) | instid1(VALU_DEP_1)
	v_dual_sub_f32 v48, v48, v50 :: v_dual_fmac_f32 v49, 0x32a5705f, v47
	v_mul_f32_e32 v37, v37, v38
	v_fma_f32 v37, v37, v37, 1.0
	s_delay_alu instid0(VALU_DEP_1) | instskip(SKIP_1) | instid1(VALU_DEP_2)
	v_div_scale_f32 v38, null, v37, v37, 1.0
	v_div_scale_f32 v43, vcc_lo, 1.0, v37, 1.0
	v_rcp_f32_e32 v39, v38
	s_delay_alu instid0(TRANS32_DEP_1) | instskip(NEXT) | instid1(VALU_DEP_1)
	v_fma_f32 v40, -v38, v39, 1.0
	v_fmac_f32_e32 v39, v40, v39
	s_delay_alu instid0(VALU_DEP_1) | instskip(NEXT) | instid1(VALU_DEP_1)
	v_mul_f32_e32 v40, v43, v39
	v_fma_f32 v44, -v38, v40, v43
	s_delay_alu instid0(VALU_DEP_1) | instskip(NEXT) | instid1(VALU_DEP_1)
	v_fmac_f32_e32 v40, v44, v39
	v_fma_f32 v38, -v38, v40, v43
	s_wait_alu 0xfffd
	s_delay_alu instid0(VALU_DEP_1) | instskip(NEXT) | instid1(VALU_DEP_1)
	v_div_fmas_f32 v38, v38, v39, v40
	v_div_fixup_f32 v37, v38, v37, 1.0
	s_delay_alu instid0(VALU_DEP_1) | instskip(NEXT) | instid1(VALU_DEP_1)
	v_mul_f32_e32 v21, v21, v37
	v_mul_f32_e32 v37, 0x40549a78, v21
	v_cmp_ngt_f32_e32 vcc_lo, 0xc23369f4, v21
	s_delay_alu instid0(VALU_DEP_2) | instskip(SKIP_1) | instid1(VALU_DEP_1)
	v_fma_f32 v38, 0x40549a78, v21, -v37
	v_rndne_f32_e32 v39, v37
	v_dual_fmac_f32 v38, 0x33979a37, v21 :: v_dual_sub_f32 v37, v37, v39
	v_cvt_i32_f32_e32 v39, v39
	s_delay_alu instid0(VALU_DEP_2) | instskip(NEXT) | instid1(VALU_DEP_1)
	v_add_f32_e32 v37, v37, v38
	v_exp_f32_e32 v40, v37
	v_mad_co_u64_u32 v[37:38], null, 0xffffffdc, s2, v[0:1]
	v_mov_b32_e32 v38, v1
	s_delay_alu instid0(TRANS32_DEP_1) | instskip(NEXT) | instid1(VALU_DEP_2)
	v_ldexp_f32 v0, v40, v39
	v_mad_co_u64_u32 v[39:40], null, s2, 43, v[37:38]
	v_mov_b32_e32 v40, v1
	s_wait_alu 0xfffd
	s_delay_alu instid0(VALU_DEP_3) | instskip(SKIP_2) | instid1(VALU_DEP_2)
	v_cndmask_b32_e32 v0, 0, v0, vcc_lo
	v_cmp_nlt_f32_e32 vcc_lo, 0x421a209b, v21
	s_wait_alu 0xfffd
	v_cndmask_b32_e32 v0, 0x7f800000, v0, vcc_lo
	s_delay_alu instid0(VALU_DEP_1) | instskip(SKIP_1) | instid1(VALU_DEP_2)
	v_mul_f32_e32 v36, v20, v0
	v_lshlrev_b64_e32 v[20:21], 2, v[39:40]
	v_mul_f32_e32 v0, v41, v36
	s_delay_alu instid0(VALU_DEP_2) | instskip(SKIP_1) | instid1(VALU_DEP_3)
	v_add_co_u32 v40, vcc_lo, s8, v20
	s_wait_alu 0xfffd
	v_add_co_ci_u32_e64 v41, null, s9, v21, vcc_lo
	global_store_b32 v[24:25], v0, off
	v_lshlrev_b64_e32 v[24:25], 2, v[37:38]
	global_load_b32 v42, v[40:41], off
	v_add_co_u32 v24, vcc_lo, s12, v24
	s_wait_alu 0xfffd
	v_add_co_ci_u32_e64 v25, null, s13, v25, vcc_lo
	global_load_b32 v0, v[24:25], off
	v_mul_f32_e32 v24, 0xba036687, v30
	v_mul_f32_e32 v25, 0xbc520d21, v30
	s_delay_alu instid0(VALU_DEP_1) | instskip(SKIP_1) | instid1(VALU_DEP_2)
	v_dual_mul_f32 v37, 0x3fb8aa3b, v24 :: v_dual_mul_f32 v38, 0x3fb8aa3b, v25
	v_cmp_ngt_f32_e64 s0, 0xc2ce8ed0, v24
	v_fma_f32 v43, 0x3fb8aa3b, v24, -v37
	v_rndne_f32_e32 v44, v37
	s_delay_alu instid0(VALU_DEP_4) | instskip(SKIP_1) | instid1(VALU_DEP_4)
	v_fma_f32 v45, 0x3fb8aa3b, v25, -v38
	v_rndne_f32_e32 v46, v38
	v_fmac_f32_e32 v43, 0x32a5705f, v24
	s_delay_alu instid0(VALU_DEP_4) | instskip(NEXT) | instid1(VALU_DEP_3)
	v_sub_f32_e32 v37, v37, v44
	v_dual_fmac_f32 v45, 0x32a5705f, v25 :: v_dual_sub_f32 v38, v38, v46
	v_cvt_i32_f32_e32 v44, v44
	v_cvt_i32_f32_e32 v46, v46
	s_delay_alu instid0(VALU_DEP_3) | instskip(NEXT) | instid1(VALU_DEP_1)
	v_dual_add_f32 v37, v37, v43 :: v_dual_add_f32 v38, v38, v45
	v_exp_f32_e32 v37, v37
	s_delay_alu instid0(VALU_DEP_1) | instskip(NEXT) | instid1(TRANS32_DEP_2)
	v_exp_f32_e32 v38, v38
	v_ldexp_f32 v37, v37, v44
	s_delay_alu instid0(TRANS32_DEP_1) | instskip(SKIP_1) | instid1(VALU_DEP_2)
	v_ldexp_f32 v38, v38, v46
	s_wait_alu 0xf1ff
	v_cndmask_b32_e64 v37, 0, v37, s0
	v_cmp_ngt_f32_e64 s0, 0xc2ce8ed0, v25
	s_wait_alu 0xf1ff
	s_delay_alu instid0(VALU_DEP_1) | instskip(SKIP_2) | instid1(VALU_DEP_1)
	v_cndmask_b32_e64 v38, 0, v38, s0
	v_cmp_nlt_f32_e64 s0, 0x42b17218, v24
	s_wait_alu 0xf1ff
	v_cndmask_b32_e64 v24, 0x7f800000, v37, s0
	s_delay_alu instid0(VALU_DEP_1) | instskip(SKIP_3) | instid1(VALU_DEP_2)
	v_mul_f32_e32 v24, 0x3f2e147b, v24
	s_wait_loadcnt 0x1
	v_div_scale_f32 v43, null, v42, v42, 1.0
	v_div_scale_f32 v51, vcc_lo, 1.0, v42, 1.0
	v_rcp_f32_e32 v45, v43
	s_delay_alu instid0(TRANS32_DEP_1) | instskip(NEXT) | instid1(VALU_DEP_1)
	v_fma_f32 v44, -v43, v45, 1.0
	v_fmac_f32_e32 v45, v44, v45
	v_add_f32_e32 v44, v48, v49
	v_cvt_i32_f32_e32 v48, v50
	s_delay_alu instid0(VALU_DEP_3) | instskip(NEXT) | instid1(VALU_DEP_3)
	v_mul_f32_e32 v46, v51, v45
	v_exp_f32_e32 v44, v44
	s_delay_alu instid0(VALU_DEP_1) | instskip(NEXT) | instid1(VALU_DEP_1)
	v_fma_f32 v37, -v43, v46, v51
	v_fmac_f32_e32 v46, v37, v45
	v_cmp_nlt_f32_e64 s0, 0x42b17218, v25
	s_delay_alu instid0(TRANS32_DEP_1) | instskip(SKIP_1) | instid1(VALU_DEP_2)
	v_ldexp_f32 v37, v44, v48
	s_wait_alu 0xf1ff
	v_cndmask_b32_e64 v25, 0x7f800000, v38, s0
	v_cmp_ngt_f32_e64 s0, 0xc2ce8ed0, v47
	s_delay_alu instid0(VALU_DEP_2) | instskip(SKIP_2) | instid1(VALU_DEP_3)
	v_fmamk_f32 v24, v25, 0x3ea3d70a, v24
	v_fma_f32 v25, -v43, v46, v51
	s_wait_alu 0xf1ff
	v_cndmask_b32_e64 v37, 0, v37, s0
	s_wait_alu 0xfffd
	s_delay_alu instid0(VALU_DEP_2) | instskip(SKIP_1) | instid1(VALU_DEP_2)
	v_div_fmas_f32 v25, v25, v45, v46
	v_cmp_nlt_f32_e32 vcc_lo, 0x42b17218, v47
	v_div_fixup_f32 v25, v25, v42, 1.0
	s_wait_alu 0xfffd
	v_cndmask_b32_e32 v37, 0x7f800000, v37, vcc_lo
	s_delay_alu instid0(VALU_DEP_1) | instskip(SKIP_1) | instid1(VALU_DEP_1)
	v_dual_mul_f32 v25, v26, v25 :: v_dual_add_f32 v24, v37, v24
	s_wait_loadcnt 0x0
	v_dual_mul_f32 v37, v0, v25 :: v_dual_max_num_f32 v24, 0x800000, v24
	s_delay_alu instid0(VALU_DEP_1) | instskip(NEXT) | instid1(VALU_DEP_2)
	v_max_num_f32_e32 v43, 0x800000, v37
	v_cmp_gt_f32_e32 vcc_lo, 0x800000, v24
	s_delay_alu instid0(VALU_DEP_2) | instskip(SKIP_3) | instid1(VALU_DEP_2)
	v_cmp_gt_f32_e64 s0, 0x800000, v43
	s_wait_alu 0xfffd
	v_cndmask_b32_e64 v38, 0, 32, vcc_lo
	v_cndmask_b32_e64 v45, 0, 0x411a209b, vcc_lo
	v_ldexp_f32 v24, v24, v38
	s_wait_alu 0xf1ff
	v_cndmask_b32_e64 v38, 0, 32, s0
	s_delay_alu instid0(VALU_DEP_2) | instskip(NEXT) | instid1(VALU_DEP_1)
	v_log_f32_e32 v24, v24
	v_ldexp_f32 v38, v43, v38
	s_delay_alu instid0(VALU_DEP_1) | instskip(NEXT) | instid1(TRANS32_DEP_2)
	v_log_f32_e32 v38, v38
	v_mul_f32_e32 v43, 0x3e9a209a, v24
	v_cmp_gt_f32_e64 vcc_lo, 0x7f800000, |v24|
	s_delay_alu instid0(VALU_DEP_2) | instskip(NEXT) | instid1(TRANS32_DEP_1)
	v_fma_f32 v43, 0x3e9a209a, v24, -v43
	v_mul_f32_e32 v44, 0x3e9a209a, v38
	s_delay_alu instid0(VALU_DEP_2) | instskip(NEXT) | instid1(VALU_DEP_2)
	v_fmac_f32_e32 v43, 0x3284fbcf, v24
	v_fma_f32 v44, 0x3e9a209a, v38, -v44
	s_delay_alu instid0(VALU_DEP_2) | instskip(NEXT) | instid1(VALU_DEP_2)
	v_fmac_f32_e32 v43, 0x3e9a209a, v24
	v_fmac_f32_e32 v44, 0x3284fbcf, v38
	s_wait_alu 0xfffd
	s_delay_alu instid0(VALU_DEP_2) | instskip(NEXT) | instid1(VALU_DEP_2)
	v_cndmask_b32_e32 v24, v24, v43, vcc_lo
	v_fmac_f32_e32 v44, 0x3e9a209a, v38
	v_cmp_gt_f32_e64 vcc_lo, 0x7f800000, |v38|
	v_cndmask_b32_e64 v43, 0, 0x411a209b, s0
	v_fma_f32 v0, v0, v25, 1.0
	v_sub_f32_e32 v24, v24, v45
	s_wait_alu 0xfffd
	v_cndmask_b32_e32 v38, v38, v44, vcc_lo
	s_delay_alu instid0(VALU_DEP_3) | instskip(NEXT) | instid1(VALU_DEP_3)
	v_div_scale_f32 v25, null, v0, v0, 1.0
	v_fmaak_f32 v44, s3, v24, 0x3ecccccd
	s_delay_alu instid0(VALU_DEP_3) | instskip(NEXT) | instid1(VALU_DEP_3)
	v_dual_sub_f32 v38, v38, v43 :: v_dual_fmaak_f32 v43, s4, v24, 0x3f400000
	v_rcp_f32_e32 v45, v25
	v_div_scale_f32 v49, vcc_lo, 1.0, v0, 1.0
	s_delay_alu instid0(VALU_DEP_2) | instskip(NEXT) | instid1(VALU_DEP_1)
	v_sub_f32_e32 v38, v38, v44
	v_fmac_f32_e32 v43, 0xbe0f5c29, v38
	s_delay_alu instid0(TRANS32_DEP_1) | instskip(NEXT) | instid1(VALU_DEP_2)
	v_fma_f32 v47, -v25, v45, 1.0
	v_div_scale_f32 v44, null, v43, v43, 1.0
	s_delay_alu instid0(VALU_DEP_2) | instskip(SKIP_1) | instid1(VALU_DEP_3)
	v_fmac_f32_e32 v45, v47, v45
	v_div_scale_f32 v47, s0, 1.0, v43, 1.0
	v_rcp_f32_e32 v46, v44
	s_delay_alu instid0(TRANS32_DEP_1) | instskip(NEXT) | instid1(VALU_DEP_1)
	v_fma_f32 v48, -v44, v46, 1.0
	v_fmac_f32_e32 v46, v48, v46
	v_mul_f32_e32 v48, v49, v45
	s_delay_alu instid0(VALU_DEP_2) | instskip(NEXT) | instid1(VALU_DEP_2)
	v_mul_f32_e32 v50, v47, v46
	v_fma_f32 v51, -v25, v48, v49
	s_delay_alu instid0(VALU_DEP_2) | instskip(NEXT) | instid1(VALU_DEP_2)
	v_fma_f32 v52, -v44, v50, v47
	v_fmac_f32_e32 v48, v51, v45
	s_delay_alu instid0(VALU_DEP_2) | instskip(NEXT) | instid1(VALU_DEP_2)
	v_fmac_f32_e32 v50, v52, v46
	v_fma_f32 v25, -v25, v48, v49
	s_delay_alu instid0(VALU_DEP_2) | instskip(SKIP_1) | instid1(VALU_DEP_2)
	v_fma_f32 v44, -v44, v50, v47
	s_wait_alu 0xfffd
	v_div_fmas_f32 v25, v25, v45, v48
	s_mov_b32 vcc_lo, s0
	s_wait_alu 0xfffe
	v_div_fmas_f32 v44, v44, v46, v50
	s_delay_alu instid0(VALU_DEP_2) | instskip(NEXT) | instid1(VALU_DEP_2)
	v_div_fixup_f32 v0, v25, v0, 1.0
	v_div_fixup_f32 v43, v44, v43, 1.0
	s_delay_alu instid0(VALU_DEP_2) | instskip(SKIP_1) | instid1(VALU_DEP_3)
	v_mul_f32_e32 v37, v37, v0
	v_lshl_add_u32 v0, s2, 3, v39
	v_mul_f32_e32 v38, v38, v43
	s_delay_alu instid0(VALU_DEP_1) | instskip(NEXT) | instid1(VALU_DEP_1)
	v_fma_f32 v38, v38, v38, 1.0
	v_div_scale_f32 v43, null, v38, v38, 1.0
	v_div_scale_f32 v46, vcc_lo, 1.0, v38, 1.0
	s_delay_alu instid0(VALU_DEP_2) | instskip(NEXT) | instid1(TRANS32_DEP_1)
	v_rcp_f32_e32 v44, v43
	v_fma_f32 v45, -v43, v44, 1.0
	s_delay_alu instid0(VALU_DEP_1) | instskip(NEXT) | instid1(VALU_DEP_1)
	v_fmac_f32_e32 v44, v45, v44
	v_mul_f32_e32 v45, v46, v44
	s_delay_alu instid0(VALU_DEP_1) | instskip(NEXT) | instid1(VALU_DEP_1)
	v_fma_f32 v47, -v43, v45, v46
	v_fmac_f32_e32 v45, v47, v44
	s_delay_alu instid0(VALU_DEP_1) | instskip(SKIP_1) | instid1(VALU_DEP_1)
	v_fma_f32 v43, -v43, v45, v46
	s_wait_alu 0xfffd
	v_div_fmas_f32 v43, v43, v44, v45
	s_delay_alu instid0(VALU_DEP_1) | instskip(NEXT) | instid1(VALU_DEP_1)
	v_div_fixup_f32 v38, v43, v38, 1.0
	v_mul_f32_e32 v24, v24, v38
	s_delay_alu instid0(VALU_DEP_1) | instskip(SKIP_1) | instid1(VALU_DEP_2)
	v_mul_f32_e32 v38, 0x40549a78, v24
	v_cmp_ngt_f32_e32 vcc_lo, 0xc23369f4, v24
	v_fma_f32 v43, 0x40549a78, v24, -v38
	v_rndne_f32_e32 v44, v38
	s_delay_alu instid0(VALU_DEP_2) | instskip(NEXT) | instid1(VALU_DEP_2)
	v_fmac_f32_e32 v43, 0x33979a37, v24
	v_sub_f32_e32 v38, v38, v44
	s_delay_alu instid0(VALU_DEP_1) | instskip(SKIP_1) | instid1(VALU_DEP_2)
	v_add_f32_e32 v38, v38, v43
	v_cvt_i32_f32_e32 v43, v44
	v_exp_f32_e32 v38, v38
	s_delay_alu instid0(TRANS32_DEP_1) | instskip(SKIP_1) | instid1(VALU_DEP_1)
	v_ldexp_f32 v38, v38, v43
	s_wait_alu 0xfffd
	v_cndmask_b32_e32 v25, 0, v38, vcc_lo
	v_cmp_nlt_f32_e32 vcc_lo, 0x421a209b, v24
	s_wait_alu 0xfffd
	s_delay_alu instid0(VALU_DEP_2) | instskip(NEXT) | instid1(VALU_DEP_1)
	v_cndmask_b32_e32 v24, 0x7f800000, v25, vcc_lo
	v_mul_f32_e32 v37, v37, v24
	v_lshlrev_b64_e32 v[24:25], 2, v[0:1]
	s_delay_alu instid0(VALU_DEP_2) | instskip(NEXT) | instid1(VALU_DEP_2)
	v_mul_f32_e32 v42, v42, v37
	v_add_co_u32 v38, vcc_lo, s8, v24
	s_wait_alu 0xfffd
	s_delay_alu instid0(VALU_DEP_3)
	v_add_co_ci_u32_e64 v39, null, s9, v25, vcc_lo
	global_store_b32 v[40:41], v42, off
	v_add_co_u32 v12, vcc_lo, s12, v12
	global_load_b32 v42, v[38:39], off
	s_wait_alu 0xfffd
	v_add_co_ci_u32_e64 v13, null, s13, v13, vcc_lo
	v_mul_f32_e32 v40, 0xbb6e500f, v30
	v_add_co_u32 v14, vcc_lo, s10, v14
	global_load_b32 v12, v[12:13], off
	v_mul_f32_e32 v13, 0xba55d210, v30
	v_mul_f32_e32 v43, 0x3fb8aa3b, v40
	s_wait_alu 0xfffd
	v_add_co_ci_u32_e64 v15, null, s11, v15, vcc_lo
	s_delay_alu instid0(VALU_DEP_3) | instskip(NEXT) | instid1(VALU_DEP_3)
	v_cmp_ngt_f32_e64 s0, 0xc2ce8ed0, v13
	v_fma_f32 v46, 0x3fb8aa3b, v40, -v43
	v_rndne_f32_e32 v47, v43
	global_load_b32 v50, v[14:15], off
	v_dual_fmac_f32 v46, 0x32a5705f, v40 :: v_dual_sub_f32 v43, v43, v47
	v_cvt_i32_f32_e32 v47, v47
	s_delay_alu instid0(VALU_DEP_2) | instskip(NEXT) | instid1(VALU_DEP_1)
	v_add_f32_e32 v43, v43, v46
	v_exp_f32_e32 v43, v43
	s_delay_alu instid0(TRANS32_DEP_1) | instskip(SKIP_3) | instid1(VALU_DEP_2)
	v_ldexp_f32 v43, v43, v47
	s_wait_loadcnt 0x2
	v_div_scale_f32 v48, null, v42, v42, 1.0
	v_div_scale_f32 v53, vcc_lo, 1.0, v42, 1.0
	v_rcp_f32_e32 v46, v48
	v_mul_f32_e32 v41, 0x3fb8aa3b, v13
	s_delay_alu instid0(VALU_DEP_1) | instskip(SKIP_3) | instid1(VALU_DEP_3)
	v_fma_f32 v44, 0x3fb8aa3b, v13, -v41
	v_rndne_f32_e32 v45, v41
	s_wait_loadcnt 0x0
	v_mul_f32_e32 v33, v50, v33
	v_fmac_f32_e32 v44, 0x32a5705f, v13
	s_delay_alu instid0(VALU_DEP_3) | instskip(SKIP_4) | instid1(VALU_DEP_2)
	v_sub_f32_e32 v41, v41, v45
	v_cvt_i32_f32_e32 v45, v45
	global_store_b32 v[14:15], v33, off
	v_add_f32_e32 v41, v41, v44
	v_mul_f32_e32 v44, 0xc5a20800, v28
	v_exp_f32_e32 v41, v41
	s_delay_alu instid0(VALU_DEP_1) | instskip(NEXT) | instid1(VALU_DEP_1)
	v_mul_f32_e32 v49, 0x3fb8aa3b, v44
	v_fma_f32 v51, 0x3fb8aa3b, v44, -v49
	v_rndne_f32_e32 v52, v49
	s_delay_alu instid0(TRANS32_DEP_1) | instskip(SKIP_1) | instid1(VALU_DEP_4)
	v_ldexp_f32 v41, v41, v45
	v_fma_f32 v45, -v48, v46, 1.0
	v_fmac_f32_e32 v51, 0x32a5705f, v44
	s_delay_alu instid0(VALU_DEP_4)
	v_sub_f32_e32 v49, v49, v52
	s_wait_alu 0xf1ff
	v_cndmask_b32_e64 v41, 0, v41, s0
	v_fmac_f32_e32 v46, v45, v46
	v_cmp_ngt_f32_e64 s0, 0xc2ce8ed0, v40
	v_add_f32_e32 v45, v49, v51
	v_cvt_i32_f32_e32 v49, v52
	s_delay_alu instid0(VALU_DEP_4)
	v_mul_f32_e32 v47, v53, v46
	s_wait_alu 0xf1ff
	v_cndmask_b32_e64 v43, 0, v43, s0
	v_cmp_nlt_f32_e64 s0, 0x42b17218, v13
	v_exp_f32_e32 v45, v45
	s_wait_alu 0xf1ff
	s_delay_alu instid0(VALU_DEP_1) | instskip(SKIP_2) | instid1(VALU_DEP_3)
	v_cndmask_b32_e64 v13, 0x7f800000, v41, s0
	v_fma_f32 v41, -v48, v47, v53
	v_cmp_nlt_f32_e64 s0, 0x42b17218, v40
	v_mul_f32_e32 v13, 0x3f17381d, v13
	s_delay_alu instid0(VALU_DEP_3) | instskip(SKIP_1) | instid1(VALU_DEP_3)
	v_fmac_f32_e32 v47, v41, v46
	s_wait_alu 0xf1ff
	v_cndmask_b32_e64 v40, 0x7f800000, v43, s0
	s_delay_alu instid0(TRANS32_DEP_1) | instskip(SKIP_1) | instid1(VALU_DEP_3)
	v_ldexp_f32 v41, v45, v49
	v_cmp_ngt_f32_e64 s0, 0xc2ce8ed0, v44
	v_fmamk_f32 v13, v40, 0x3ed18fc5, v13
	v_fma_f32 v40, -v48, v47, v53
	s_wait_alu 0xf1ff
	s_delay_alu instid0(VALU_DEP_3) | instskip(SKIP_1) | instid1(VALU_DEP_2)
	v_cndmask_b32_e64 v41, 0, v41, s0
	s_wait_alu 0xfffd
	v_div_fmas_f32 v40, v40, v46, v47
	v_cmp_nlt_f32_e32 vcc_lo, 0x42b17218, v44
	s_delay_alu instid0(VALU_DEP_2) | instskip(SKIP_1) | instid1(VALU_DEP_1)
	v_div_fixup_f32 v40, v40, v42, 1.0
	s_wait_alu 0xfffd
	v_dual_cndmask_b32 v41, 0x7f800000, v41 :: v_dual_mul_f32 v40, v26, v40
	s_delay_alu instid0(VALU_DEP_1) | instskip(NEXT) | instid1(VALU_DEP_2)
	v_add_f32_e32 v13, v41, v13
	v_mul_f32_e32 v43, v12, v40
	s_delay_alu instid0(VALU_DEP_2) | instskip(SKIP_1) | instid1(VALU_DEP_3)
	v_max_num_f32_e32 v13, 0x800000, v13
	v_fma_f32 v12, v12, v40, 1.0
	v_max_num_f32_e32 v44, 0x800000, v43
	s_delay_alu instid0(VALU_DEP_3) | instskip(NEXT) | instid1(VALU_DEP_3)
	v_cmp_gt_f32_e32 vcc_lo, 0x800000, v13
	v_div_scale_f32 v40, null, v12, v12, 1.0
	s_delay_alu instid0(VALU_DEP_3) | instskip(SKIP_3) | instid1(VALU_DEP_2)
	v_cmp_gt_f32_e64 s0, 0x800000, v44
	s_wait_alu 0xfffd
	v_cndmask_b32_e64 v41, 0, 32, vcc_lo
	v_cndmask_b32_e64 v46, 0, 0x411a209b, vcc_lo
	v_ldexp_f32 v13, v13, v41
	s_wait_alu 0xf1ff
	v_cndmask_b32_e64 v41, 0, 32, s0
	s_delay_alu instid0(VALU_DEP_2) | instskip(NEXT) | instid1(VALU_DEP_1)
	v_log_f32_e32 v13, v13
	v_ldexp_f32 v41, v44, v41
	s_delay_alu instid0(VALU_DEP_1) | instskip(NEXT) | instid1(TRANS32_DEP_2)
	v_log_f32_e32 v41, v41
	v_mul_f32_e32 v44, 0x3e9a209a, v13
	v_cmp_gt_f32_e64 vcc_lo, 0x7f800000, |v13|
	s_delay_alu instid0(VALU_DEP_2) | instskip(NEXT) | instid1(TRANS32_DEP_1)
	v_fma_f32 v44, 0x3e9a209a, v13, -v44
	v_mul_f32_e32 v45, 0x3e9a209a, v41
	s_delay_alu instid0(VALU_DEP_2) | instskip(NEXT) | instid1(VALU_DEP_2)
	v_fmac_f32_e32 v44, 0x3284fbcf, v13
	v_fma_f32 v45, 0x3e9a209a, v41, -v45
	s_delay_alu instid0(VALU_DEP_2) | instskip(NEXT) | instid1(VALU_DEP_2)
	v_fmac_f32_e32 v44, 0x3e9a209a, v13
	v_fmac_f32_e32 v45, 0x3284fbcf, v41
	s_wait_alu 0xfffd
	s_delay_alu instid0(VALU_DEP_2) | instskip(NEXT) | instid1(VALU_DEP_2)
	v_cndmask_b32_e32 v13, v13, v44, vcc_lo
	v_fmac_f32_e32 v45, 0x3e9a209a, v41
	v_cmp_gt_f32_e64 vcc_lo, 0x7f800000, |v41|
	v_cndmask_b32_e64 v44, 0, 0x411a209b, s0
	s_delay_alu instid0(VALU_DEP_4)
	v_sub_f32_e32 v13, v13, v46
	v_rcp_f32_e32 v46, v40
	s_wait_alu 0xfffd
	v_cndmask_b32_e32 v41, v41, v45, vcc_lo
	v_div_scale_f32 v51, vcc_lo, 1.0, v12, 1.0
	v_fmaak_f32 v45, s3, v13, 0x3ecccccd
	s_delay_alu instid0(VALU_DEP_3) | instskip(NEXT) | instid1(TRANS32_DEP_1)
	v_dual_sub_f32 v41, v41, v44 :: v_dual_fmaak_f32 v44, s4, v13, 0x3f400000
	v_fma_f32 v48, -v40, v46, 1.0
	s_delay_alu instid0(VALU_DEP_1) | instskip(NEXT) | instid1(VALU_DEP_1)
	v_dual_sub_f32 v41, v41, v45 :: v_dual_fmac_f32 v46, v48, v46
	v_fmac_f32_e32 v44, 0xbe0f5c29, v41
	s_delay_alu instid0(VALU_DEP_1) | instskip(SKIP_1) | instid1(VALU_DEP_2)
	v_div_scale_f32 v45, null, v44, v44, 1.0
	v_div_scale_f32 v48, s0, 1.0, v44, 1.0
	v_rcp_f32_e32 v47, v45
	s_delay_alu instid0(TRANS32_DEP_1) | instskip(NEXT) | instid1(VALU_DEP_1)
	v_fma_f32 v49, -v45, v47, 1.0
	v_fmac_f32_e32 v47, v49, v47
	s_delay_alu instid0(VALU_DEP_1) | instskip(NEXT) | instid1(VALU_DEP_1)
	v_dual_mul_f32 v49, v51, v46 :: v_dual_mul_f32 v52, v48, v47
	v_fma_f32 v53, -v40, v49, v51
	s_delay_alu instid0(VALU_DEP_2) | instskip(NEXT) | instid1(VALU_DEP_1)
	v_fma_f32 v54, -v45, v52, v48
	v_dual_fmac_f32 v49, v53, v46 :: v_dual_fmac_f32 v52, v54, v47
	s_delay_alu instid0(VALU_DEP_1) | instskip(NEXT) | instid1(VALU_DEP_2)
	v_fma_f32 v40, -v40, v49, v51
	v_fma_f32 v45, -v45, v52, v48
	s_wait_alu 0xfffd
	s_delay_alu instid0(VALU_DEP_2) | instskip(SKIP_3) | instid1(VALU_DEP_2)
	v_div_fmas_f32 v40, v40, v46, v49
	s_mov_b32 vcc_lo, s0
	s_wait_alu 0xfffe
	v_div_fmas_f32 v45, v45, v47, v52
	v_div_fixup_f32 v12, v40, v12, 1.0
	s_delay_alu instid0(VALU_DEP_2) | instskip(NEXT) | instid1(VALU_DEP_1)
	v_div_fixup_f32 v44, v45, v44, 1.0
	v_mul_f32_e32 v41, v41, v44
	s_delay_alu instid0(VALU_DEP_1) | instskip(NEXT) | instid1(VALU_DEP_1)
	v_fma_f32 v41, v41, v41, 1.0
	v_div_scale_f32 v44, null, v41, v41, 1.0
	v_div_scale_f32 v47, vcc_lo, 1.0, v41, 1.0
	s_delay_alu instid0(VALU_DEP_2) | instskip(NEXT) | instid1(TRANS32_DEP_1)
	v_rcp_f32_e32 v45, v44
	v_fma_f32 v46, -v44, v45, 1.0
	s_delay_alu instid0(VALU_DEP_1) | instskip(NEXT) | instid1(VALU_DEP_1)
	v_fmac_f32_e32 v45, v46, v45
	v_mul_f32_e32 v46, v47, v45
	s_delay_alu instid0(VALU_DEP_1) | instskip(NEXT) | instid1(VALU_DEP_1)
	v_fma_f32 v48, -v44, v46, v47
	v_fmac_f32_e32 v46, v48, v45
	s_delay_alu instid0(VALU_DEP_1) | instskip(SKIP_1) | instid1(VALU_DEP_1)
	v_fma_f32 v44, -v44, v46, v47
	s_wait_alu 0xfffd
	v_div_fmas_f32 v44, v44, v45, v46
	s_delay_alu instid0(VALU_DEP_1) | instskip(NEXT) | instid1(VALU_DEP_1)
	v_div_fixup_f32 v41, v44, v41, 1.0
	v_mul_f32_e32 v13, v13, v41
	s_delay_alu instid0(VALU_DEP_1) | instskip(SKIP_1) | instid1(VALU_DEP_2)
	v_mul_f32_e32 v41, 0x40549a78, v13
	v_cmp_ngt_f32_e32 vcc_lo, 0xc23369f4, v13
	v_fma_f32 v44, 0x40549a78, v13, -v41
	v_rndne_f32_e32 v45, v41
	s_delay_alu instid0(VALU_DEP_2) | instskip(NEXT) | instid1(VALU_DEP_2)
	v_fmac_f32_e32 v44, 0x33979a37, v13
	v_sub_f32_e32 v41, v41, v45
	s_delay_alu instid0(VALU_DEP_1) | instskip(SKIP_1) | instid1(VALU_DEP_2)
	v_add_f32_e32 v41, v41, v44
	v_cvt_i32_f32_e32 v44, v45
	v_exp_f32_e32 v41, v41
	s_delay_alu instid0(TRANS32_DEP_1) | instskip(SKIP_1) | instid1(VALU_DEP_1)
	v_ldexp_f32 v41, v41, v44
	s_wait_alu 0xfffd
	v_cndmask_b32_e32 v44, 0, v41, vcc_lo
	v_cmp_nlt_f32_e32 vcc_lo, 0x421a209b, v13
	v_mad_co_u64_u32 v[40:41], null, s2, 15, v[0:1]
	v_dual_mul_f32 v0, v43, v12 :: v_dual_mov_b32 v41, v1
	s_wait_alu 0xfffd
	v_cndmask_b32_e32 v12, 0x7f800000, v44, vcc_lo
	s_delay_alu instid0(VALU_DEP_1) | instskip(NEXT) | instid1(VALU_DEP_3)
	v_mul_f32_e32 v0, v0, v12
	v_lshlrev_b64_e32 v[12:13], 2, v[40:41]
	s_delay_alu instid0(VALU_DEP_2) | instskip(NEXT) | instid1(VALU_DEP_2)
	v_mul_f32_e32 v43, v42, v0
	v_add_co_u32 v41, vcc_lo, s8, v12
	s_wait_alu 0xfffd
	s_delay_alu instid0(VALU_DEP_3)
	v_add_co_ci_u32_e64 v42, null, s9, v13, vcc_lo
	global_store_b32 v[38:39], v43, off
	v_add_co_u32 v16, vcc_lo, s10, v16
	global_load_b32 v38, v[41:42], off
	s_wait_alu 0xfffd
	v_add_co_ci_u32_e64 v17, null, s11, v17, vcc_lo
	v_add_co_u32 v10, vcc_lo, s12, v10
	s_wait_alu 0xfffd
	v_add_co_ci_u32_e64 v11, null, s13, v11, vcc_lo
	global_load_b32 v14, v[16:17], off
	v_mul_f32_e32 v43, 0xc5834000, v28
	v_add_co_u32 v12, s1, s10, v12
	global_load_b32 v10, v[10:11], off
	v_mul_f32_e32 v11, 0xba2894d3, v30
	v_mul_f32_e32 v44, 0x3fb8aa3b, v43
	s_wait_alu 0xf1ff
	v_add_co_ci_u32_e64 v13, null, s11, v13, s1
	s_delay_alu instid0(VALU_DEP_3) | instskip(NEXT) | instid1(VALU_DEP_3)
	v_mul_f32_e32 v15, 0x3fb8aa3b, v11
	v_fma_f32 v46, 0x3fb8aa3b, v43, -v44
	v_rndne_f32_e32 v47, v44
	v_cmp_ngt_f32_e64 s0, 0xc2ce8ed0, v11
	s_delay_alu instid0(VALU_DEP_4) | instskip(SKIP_3) | instid1(VALU_DEP_4)
	v_fma_f32 v33, 0x3fb8aa3b, v11, -v15
	v_rndne_f32_e32 v39, v15
	v_fmac_f32_e32 v46, 0x32a5705f, v43
	v_sub_f32_e32 v44, v44, v47
	v_fmac_f32_e32 v33, 0x32a5705f, v11
	s_delay_alu instid0(VALU_DEP_4) | instskip(SKIP_1) | instid1(VALU_DEP_2)
	v_sub_f32_e32 v15, v15, v39
	v_cvt_i32_f32_e32 v39, v39
	v_add_f32_e32 v15, v15, v33
	s_delay_alu instid0(VALU_DEP_1) | instskip(NEXT) | instid1(TRANS32_DEP_1)
	v_exp_f32_e32 v15, v15
	v_ldexp_f32 v15, v15, v39
	v_add_f32_e32 v39, v44, v46
	s_wait_alu 0xf1ff
	s_delay_alu instid0(VALU_DEP_2) | instskip(SKIP_1) | instid1(VALU_DEP_3)
	v_cndmask_b32_e64 v15, 0, v15, s0
	v_cmp_nlt_f32_e64 s0, 0x42b17218, v11
	v_exp_f32_e32 v39, v39
	s_wait_alu 0xf1ff
	s_delay_alu instid0(VALU_DEP_1)
	v_cndmask_b32_e64 v11, 0x7f800000, v15, s0
	v_cvt_i32_f32_e32 v15, v47
	v_add_co_u32 v18, s0, s10, v18
	s_wait_alu 0xf1ff
	v_add_co_ci_u32_e64 v19, null, s11, v19, s0
	v_mul_f32_e32 v11, 0x3f420c4a, v11
	s_delay_alu instid0(TRANS32_DEP_1) | instskip(SKIP_1) | instid1(VALU_DEP_3)
	v_ldexp_f32 v15, v39, v15
	v_cmp_ngt_f32_e64 s0, 0xc2ce8ed0, v43
	v_fmamk_f32 v11, v32, 0x3e77ced9, v11
	s_wait_alu 0xf1ff
	s_delay_alu instid0(VALU_DEP_2) | instskip(SKIP_3) | instid1(VALU_DEP_2)
	v_cndmask_b32_e64 v15, 0, v15, s0
	s_wait_loadcnt 0x2
	v_div_scale_f32 v33, null, v38, v38, 1.0
	v_div_scale_f32 v44, vcc_lo, 1.0, v38, 1.0
	v_rcp_f32_e32 v45, v33
	s_wait_loadcnt 0x1
	v_mul_f32_e32 v14, v14, v34
	global_store_b32 v[16:17], v14, off
	v_fma_f32 v48, -v33, v45, 1.0
	s_delay_alu instid0(VALU_DEP_1) | instskip(NEXT) | instid1(VALU_DEP_1)
	v_fmac_f32_e32 v45, v48, v45
	v_mul_f32_e32 v46, v44, v45
	s_delay_alu instid0(VALU_DEP_1) | instskip(NEXT) | instid1(VALU_DEP_1)
	v_fma_f32 v47, -v33, v46, v44
	v_fmac_f32_e32 v46, v47, v45
	s_delay_alu instid0(VALU_DEP_1) | instskip(SKIP_4) | instid1(VALU_DEP_2)
	v_fma_f32 v32, -v33, v46, v44
	global_load_b32 v33, v[18:19], off
	s_wait_alu 0xfffd
	v_div_fmas_f32 v32, v32, v45, v46
	v_cmp_nlt_f32_e32 vcc_lo, 0x42b17218, v43
	v_div_fixup_f32 v14, v32, v38, 1.0
	s_wait_alu 0xfffd
	s_delay_alu instid0(VALU_DEP_1) | instskip(NEXT) | instid1(VALU_DEP_1)
	v_dual_cndmask_b32 v15, 0x7f800000, v15 :: v_dual_mul_f32 v14, v26, v14
	v_add_f32_e32 v11, v15, v11
	s_delay_alu instid0(VALU_DEP_1) | instskip(NEXT) | instid1(VALU_DEP_1)
	v_max_num_f32_e32 v11, 0x800000, v11
	v_cmp_gt_f32_e32 vcc_lo, 0x800000, v11
	s_wait_alu 0xfffd
	v_cndmask_b32_e64 v15, 0, 32, vcc_lo
	v_cndmask_b32_e64 v34, 0, 0x411a209b, vcc_lo
	s_delay_alu instid0(VALU_DEP_2) | instskip(NEXT) | instid1(VALU_DEP_1)
	v_ldexp_f32 v11, v11, v15
	v_log_f32_e32 v11, v11
	s_delay_alu instid0(TRANS32_DEP_1)
	v_cmp_gt_f32_e64 vcc_lo, 0x7f800000, |v11|
	s_wait_loadcnt 0x0
	v_mul_f32_e32 v33, v33, v35
	global_store_b32 v[18:19], v33, off
	v_mul_f32_e32 v19, 0xb9b244c4, v30
	v_mul_f32_e32 v17, v10, v14
	v_fma_f32 v10, v10, v14, 1.0
	s_delay_alu instid0(VALU_DEP_2) | instskip(NEXT) | instid1(VALU_DEP_2)
	v_max_num_f32_e32 v16, 0x800000, v17
	v_div_scale_f32 v14, null, v10, v10, 1.0
	s_delay_alu instid0(VALU_DEP_2) | instskip(SKIP_1) | instid1(VALU_DEP_1)
	v_cmp_gt_f32_e64 s0, 0x800000, v16
	s_wait_alu 0xf1ff
	v_cndmask_b32_e64 v15, 0, 32, s0
	s_delay_alu instid0(VALU_DEP_1) | instskip(SKIP_1) | instid1(VALU_DEP_2)
	v_ldexp_f32 v15, v16, v15
	v_mul_f32_e32 v16, 0x3e9a209a, v11
	v_log_f32_e32 v15, v15
	s_delay_alu instid0(VALU_DEP_1) | instskip(NEXT) | instid1(VALU_DEP_1)
	v_fma_f32 v16, 0x3e9a209a, v11, -v16
	v_fmac_f32_e32 v16, 0x3284fbcf, v11
	s_delay_alu instid0(TRANS32_DEP_1) | instskip(NEXT) | instid1(VALU_DEP_2)
	v_mul_f32_e32 v32, 0x3e9a209a, v15
	v_fmac_f32_e32 v16, 0x3e9a209a, v11
	s_delay_alu instid0(VALU_DEP_2) | instskip(SKIP_1) | instid1(VALU_DEP_2)
	v_fma_f32 v32, 0x3e9a209a, v15, -v32
	s_wait_alu 0xfffd
	v_cndmask_b32_e32 v11, v11, v16, vcc_lo
	v_cmp_gt_f32_e64 vcc_lo, 0x7f800000, |v15|
	v_cndmask_b32_e64 v16, 0, 0x411a209b, s0
	s_delay_alu instid0(VALU_DEP_3) | instskip(SKIP_1) | instid1(VALU_DEP_1)
	v_dual_fmac_f32 v32, 0x3284fbcf, v15 :: v_dual_sub_f32 v11, v11, v34
	v_rcp_f32_e32 v34, v14
	v_fmac_f32_e32 v32, 0x3e9a209a, v15
	s_wait_alu 0xfffd
	s_delay_alu instid0(VALU_DEP_1) | instskip(SKIP_1) | instid1(TRANS32_DEP_1)
	v_cndmask_b32_e32 v15, v15, v32, vcc_lo
	v_fmaak_f32 v32, s3, v11, 0x3ecccccd
	v_fma_f32 v43, -v14, v34, 1.0
	v_div_scale_f32 v45, vcc_lo, 1.0, v10, 1.0
	s_delay_alu instid0(VALU_DEP_4) | instskip(NEXT) | instid1(VALU_DEP_3)
	v_dual_sub_f32 v15, v15, v16 :: v_dual_fmaak_f32 v16, s4, v11, 0x3f400000
	v_fmac_f32_e32 v34, v43, v34
	s_delay_alu instid0(VALU_DEP_2) | instskip(NEXT) | instid1(VALU_DEP_1)
	v_sub_f32_e32 v15, v15, v32
	v_fmac_f32_e32 v16, 0xbe0f5c29, v15
	s_delay_alu instid0(VALU_DEP_1) | instskip(SKIP_1) | instid1(VALU_DEP_2)
	v_div_scale_f32 v32, null, v16, v16, 1.0
	v_div_scale_f32 v43, s0, 1.0, v16, 1.0
	v_rcp_f32_e32 v39, v32
	s_delay_alu instid0(TRANS32_DEP_1) | instskip(NEXT) | instid1(VALU_DEP_1)
	v_fma_f32 v44, -v32, v39, 1.0
	v_dual_fmac_f32 v39, v44, v39 :: v_dual_mul_f32 v44, v45, v34
	s_delay_alu instid0(VALU_DEP_1) | instskip(NEXT) | instid1(VALU_DEP_2)
	v_mul_f32_e32 v46, v43, v39
	v_fma_f32 v47, -v14, v44, v45
	s_delay_alu instid0(VALU_DEP_2) | instskip(NEXT) | instid1(VALU_DEP_2)
	v_fma_f32 v48, -v32, v46, v43
	v_fmac_f32_e32 v44, v47, v34
	s_delay_alu instid0(VALU_DEP_2) | instskip(NEXT) | instid1(VALU_DEP_2)
	v_fmac_f32_e32 v46, v48, v39
	v_fma_f32 v14, -v14, v44, v45
	s_delay_alu instid0(VALU_DEP_2) | instskip(SKIP_1) | instid1(VALU_DEP_2)
	v_fma_f32 v32, -v32, v46, v43
	s_wait_alu 0xfffd
	v_div_fmas_f32 v14, v14, v34, v44
	s_mov_b32 vcc_lo, s0
	v_cmp_ngt_f32_e64 s0, 0xc2ce8ed0, v19
	s_wait_alu 0xfffe
	v_div_fmas_f32 v32, v32, v39, v46
	v_div_fixup_f32 v10, v14, v10, 1.0
	s_delay_alu instid0(VALU_DEP_2) | instskip(NEXT) | instid1(VALU_DEP_1)
	v_div_fixup_f32 v16, v32, v16, 1.0
	v_mul_f32_e32 v15, v15, v16
	s_delay_alu instid0(VALU_DEP_1) | instskip(NEXT) | instid1(VALU_DEP_1)
	v_fma_f32 v15, v15, v15, 1.0
	v_div_scale_f32 v16, null, v15, v15, 1.0
	v_div_scale_f32 v39, vcc_lo, 1.0, v15, 1.0
	s_delay_alu instid0(VALU_DEP_2) | instskip(NEXT) | instid1(TRANS32_DEP_1)
	v_rcp_f32_e32 v32, v16
	v_fma_f32 v34, -v16, v32, 1.0
	s_delay_alu instid0(VALU_DEP_1) | instskip(NEXT) | instid1(VALU_DEP_1)
	v_fmac_f32_e32 v32, v34, v32
	v_mul_f32_e32 v34, v39, v32
	s_delay_alu instid0(VALU_DEP_1) | instskip(NEXT) | instid1(VALU_DEP_1)
	v_fma_f32 v43, -v16, v34, v39
	v_fmac_f32_e32 v34, v43, v32
	s_delay_alu instid0(VALU_DEP_1) | instskip(SKIP_1) | instid1(VALU_DEP_1)
	v_fma_f32 v16, -v16, v34, v39
	s_wait_alu 0xfffd
	v_div_fmas_f32 v16, v16, v32, v34
	v_mul_f32_e32 v34, 0x3fb8aa3b, v19
	v_mul_f32_e32 v10, v17, v10
	s_delay_alu instid0(VALU_DEP_3) | instskip(NEXT) | instid1(VALU_DEP_3)
	v_div_fixup_f32 v15, v16, v15, 1.0
	v_fma_f32 v39, 0x3fb8aa3b, v19, -v34
	s_delay_alu instid0(VALU_DEP_2) | instskip(NEXT) | instid1(VALU_DEP_2)
	v_mul_f32_e32 v11, v11, v15
	v_fmac_f32_e32 v39, 0x32a5705f, v19
	s_delay_alu instid0(VALU_DEP_2) | instskip(SKIP_1) | instid1(VALU_DEP_2)
	v_mul_f32_e32 v15, 0x40549a78, v11
	v_cmp_ngt_f32_e32 vcc_lo, 0xc23369f4, v11
	v_fma_f32 v16, 0x40549a78, v11, -v15
	v_rndne_f32_e32 v32, v15
	s_delay_alu instid0(VALU_DEP_1) | instskip(NEXT) | instid1(VALU_DEP_1)
	v_dual_fmac_f32 v16, 0x33979a37, v11 :: v_dual_sub_f32 v15, v15, v32
	v_add_f32_e32 v15, v15, v16
	v_cvt_i32_f32_e32 v16, v32
	s_delay_alu instid0(VALU_DEP_2) | instskip(NEXT) | instid1(TRANS32_DEP_1)
	v_exp_f32_e32 v15, v15
	v_ldexp_f32 v15, v15, v16
	s_wait_alu 0xfffd
	s_delay_alu instid0(VALU_DEP_1)
	v_cndmask_b32_e32 v14, 0, v15, vcc_lo
	v_cmp_nlt_f32_e32 vcc_lo, 0x421a209b, v11
	v_mad_co_u64_u32 v[15:16], null, s2, 7, v[40:41]
	v_mov_b32_e32 v16, v1
	v_rndne_f32_e32 v40, v34
	s_wait_alu 0xfffd
	s_delay_alu instid0(VALU_DEP_1) | instskip(NEXT) | instid1(VALU_DEP_1)
	v_dual_cndmask_b32 v11, 0x7f800000, v14 :: v_dual_sub_f32 v34, v34, v40
	v_mul_f32_e32 v14, v10, v11
	v_lshlrev_b64_e32 v[10:11], 2, v[15:16]
	v_cvt_i32_f32_e32 v40, v40
	s_delay_alu instid0(VALU_DEP_4) | instskip(NEXT) | instid1(VALU_DEP_4)
	v_add_f32_e32 v34, v34, v39
	v_mul_f32_e32 v32, v38, v14
	s_delay_alu instid0(VALU_DEP_4)
	v_add_co_u32 v16, vcc_lo, s8, v10
	s_wait_alu 0xfffd
	v_add_co_ci_u32_e64 v17, null, s9, v11, vcc_lo
	global_store_b32 v[41:42], v32, off
	v_add_co_u32 v22, vcc_lo, s10, v22
	global_load_b32 v32, v[16:17], off
	s_wait_alu 0xfffd
	v_add_co_ci_u32_e64 v23, null, s11, v23, vcc_lo
	v_add_co_u32 v8, vcc_lo, s12, v8
	s_wait_alu 0xfffd
	v_add_co_ci_u32_e64 v9, null, s13, v9, vcc_lo
	global_load_b32 v18, v[22:23], off
	global_load_b32 v8, v[8:9], off
	v_mul_f32_e32 v9, 0xbc5d67c9, v30
	v_mul_f32_e32 v41, 0xc5d9a000, v28
	v_exp_f32_e32 v34, v34
	s_delay_alu instid0(VALU_DEP_2) | instskip(NEXT) | instid1(VALU_DEP_1)
	v_mul_f32_e32 v33, 0x3fb8aa3b, v9
	v_fma_f32 v35, 0x3fb8aa3b, v9, -v33
	v_rndne_f32_e32 v38, v33
	s_delay_alu instid0(TRANS32_DEP_1) | instskip(NEXT) | instid1(VALU_DEP_3)
	v_ldexp_f32 v34, v34, v40
	v_fmac_f32_e32 v35, 0x32a5705f, v9
	s_delay_alu instid0(VALU_DEP_3)
	v_sub_f32_e32 v33, v33, v38
	v_cvt_i32_f32_e32 v38, v38
	s_wait_alu 0xf1ff
	v_cndmask_b32_e64 v34, 0, v34, s0
	v_cmp_ngt_f32_e64 s0, 0xc2ce8ed0, v9
	v_add_f32_e32 v33, v33, v35
	v_mul_f32_e32 v35, 0x3fb8aa3b, v41
	s_delay_alu instid0(VALU_DEP_2) | instskip(NEXT) | instid1(VALU_DEP_1)
	v_exp_f32_e32 v33, v33
	v_fma_f32 v39, 0x3fb8aa3b, v41, -v35
	v_rndne_f32_e32 v44, v35
	s_delay_alu instid0(VALU_DEP_2) | instskip(NEXT) | instid1(VALU_DEP_2)
	v_fmac_f32_e32 v39, 0x32a5705f, v41
	v_sub_f32_e32 v35, v35, v44
	s_delay_alu instid0(TRANS32_DEP_1) | instskip(NEXT) | instid1(VALU_DEP_2)
	v_ldexp_f32 v33, v33, v38
	v_add_f32_e32 v35, v35, v39
	s_wait_alu 0xf1ff
	s_delay_alu instid0(VALU_DEP_2) | instskip(SKIP_1) | instid1(VALU_DEP_3)
	v_cndmask_b32_e64 v33, 0, v33, s0
	v_cmp_nlt_f32_e64 s0, 0x42b17218, v19
	v_exp_f32_e32 v35, v35
	s_wait_alu 0xf1ff
	s_delay_alu instid0(VALU_DEP_1) | instskip(SKIP_1) | instid1(VALU_DEP_2)
	v_cndmask_b32_e64 v19, 0x7f800000, v34, s0
	v_cmp_nlt_f32_e64 s0, 0x42b17218, v9
	v_mul_f32_e32 v19, 0x3f4872b0, v19
	s_wait_alu 0xf1ff
	s_delay_alu instid0(VALU_DEP_2) | instskip(SKIP_1) | instid1(VALU_DEP_2)
	v_cndmask_b32_e64 v9, 0x7f800000, v33, s0
	v_cmp_ngt_f32_e64 s0, 0xc2ce8ed0, v41
	v_fmamk_f32 v9, v9, 0x3e5e353f, v19
	s_wait_loadcnt 0x2
	v_div_scale_f32 v42, null, v32, v32, 1.0
	v_div_scale_f32 v39, vcc_lo, 1.0, v32, 1.0
	s_delay_alu instid0(VALU_DEP_2) | instskip(NEXT) | instid1(TRANS32_DEP_1)
	v_rcp_f32_e32 v43, v42
	v_fma_f32 v38, -v42, v43, 1.0
	s_delay_alu instid0(VALU_DEP_1) | instskip(SKIP_1) | instid1(VALU_DEP_2)
	v_fmac_f32_e32 v43, v38, v43
	v_cvt_i32_f32_e32 v38, v44
	v_mul_f32_e32 v40, v39, v43
	s_delay_alu instid0(VALU_DEP_2) | instskip(NEXT) | instid1(VALU_DEP_2)
	v_ldexp_f32 v35, v35, v38
	v_fma_f32 v34, -v42, v40, v39
	s_wait_alu 0xf1ff
	s_delay_alu instid0(VALU_DEP_2)
	v_cndmask_b32_e64 v33, 0, v35, s0
	v_cmp_nlt_f32_e64 s0, 0x42b17218, v41
	s_wait_loadcnt 0x1
	v_mul_f32_e32 v35, v18, v36
	v_fmac_f32_e32 v40, v34, v43
	s_wait_alu 0xf1ff
	v_cndmask_b32_e64 v33, 0x7f800000, v33, s0
	v_add_co_u32 v18, s0, s10, v20
	s_delay_alu instid0(VALU_DEP_3) | instskip(SKIP_4) | instid1(VALU_DEP_2)
	v_fma_f32 v19, -v42, v40, v39
	global_store_b32 v[22:23], v35, off
	v_add_f32_e32 v9, v33, v9
	s_wait_alu 0xfffd
	v_div_fmas_f32 v19, v19, v43, v40
	v_max_num_f32_e32 v9, 0x800000, v9
	s_delay_alu instid0(VALU_DEP_2) | instskip(NEXT) | instid1(VALU_DEP_2)
	v_div_fixup_f32 v19, v19, v32, 1.0
	v_cmp_gt_f32_e32 vcc_lo, 0x800000, v9
	s_delay_alu instid0(VALU_DEP_2)
	v_mul_f32_e32 v33, v26, v19
	s_wait_alu 0xf1ff
	v_add_co_ci_u32_e64 v19, null, s11, v21, s0
	s_wait_alu 0xfffd
	v_cndmask_b32_e64 v34, 0, 32, vcc_lo
	v_cndmask_b32_e64 v23, 0, 0x411a209b, vcc_lo
	s_wait_loadcnt 0x0
	v_mul_f32_e32 v36, v8, v33
	v_fma_f32 v8, v8, v33, 1.0
	v_ldexp_f32 v9, v9, v34
	global_load_b32 v34, v[18:19], off
	v_max_num_f32_e32 v20, 0x800000, v36
	v_log_f32_e32 v9, v9
	s_delay_alu instid0(VALU_DEP_1) | instskip(SKIP_1) | instid1(VALU_DEP_1)
	v_cmp_gt_f32_e64 s0, 0x800000, v20
	s_wait_alu 0xf1ff
	v_cndmask_b32_e64 v21, 0, 32, s0
	s_delay_alu instid0(TRANS32_DEP_1) | instskip(NEXT) | instid1(VALU_DEP_2)
	v_cmp_gt_f32_e64 vcc_lo, 0x7f800000, |v9|
	v_ldexp_f32 v20, v20, v21
	v_mul_f32_e32 v21, 0x3e9a209a, v9
	s_delay_alu instid0(VALU_DEP_2) | instskip(NEXT) | instid1(VALU_DEP_1)
	v_log_f32_e32 v20, v20
	v_fma_f32 v21, 0x3e9a209a, v9, -v21
	s_delay_alu instid0(VALU_DEP_1)
	v_fmac_f32_e32 v21, 0x3284fbcf, v9
	s_delay_alu instid0(TRANS32_DEP_1) | instid1(VALU_DEP_1)
	v_dual_mul_f32 v22, 0x3e9a209a, v20 :: v_dual_fmac_f32 v21, 0x3e9a209a, v9
	s_delay_alu instid0(VALU_DEP_1) | instskip(SKIP_1) | instid1(VALU_DEP_2)
	v_fma_f32 v22, 0x3e9a209a, v20, -v22
	s_wait_alu 0xfffd
	v_cndmask_b32_e32 v9, v9, v21, vcc_lo
	v_cmp_gt_f32_e64 vcc_lo, 0x7f800000, |v20|
	v_cndmask_b32_e64 v21, 0, 0x411a209b, s0
	s_delay_alu instid0(VALU_DEP_3) | instskip(NEXT) | instid1(VALU_DEP_1)
	v_dual_fmac_f32 v22, 0x3284fbcf, v20 :: v_dual_sub_f32 v9, v9, v23
	v_fmac_f32_e32 v22, 0x3e9a209a, v20
	s_wait_alu 0xfffd
	s_delay_alu instid0(VALU_DEP_1) | instskip(NEXT) | instid1(VALU_DEP_3)
	v_cndmask_b32_e32 v20, v20, v22, vcc_lo
	v_fmaak_f32 v22, s3, v9, 0x3ecccccd
	v_div_scale_f32 v40, vcc_lo, 1.0, v8, 1.0
	s_delay_alu instid0(VALU_DEP_3) | instskip(NEXT) | instid1(VALU_DEP_1)
	v_sub_f32_e32 v20, v20, v21
	v_dual_fmaak_f32 v21, s4, v9, 0x3f400000 :: v_dual_sub_f32 v20, v20, v22
	v_div_scale_f32 v22, null, v8, v8, 1.0
	s_delay_alu instid0(VALU_DEP_2) | instskip(NEXT) | instid1(VALU_DEP_2)
	v_fmac_f32_e32 v21, 0xbe0f5c29, v20
	v_rcp_f32_e32 v33, v22
	s_delay_alu instid0(VALU_DEP_1) | instskip(NEXT) | instid1(VALU_DEP_1)
	v_div_scale_f32 v23, null, v21, v21, 1.0
	v_rcp_f32_e32 v35, v23
	s_delay_alu instid0(TRANS32_DEP_2) | instskip(NEXT) | instid1(VALU_DEP_1)
	v_fma_f32 v38, -v22, v33, 1.0
	v_fmac_f32_e32 v33, v38, v33
	v_div_scale_f32 v38, s0, 1.0, v21, 1.0
	s_delay_alu instid0(TRANS32_DEP_1) | instskip(NEXT) | instid1(VALU_DEP_1)
	v_fma_f32 v39, -v23, v35, 1.0
	v_fmac_f32_e32 v35, v39, v35
	s_delay_alu instid0(VALU_DEP_4) | instskip(NEXT) | instid1(VALU_DEP_2)
	v_mul_f32_e32 v39, v40, v33
	v_mul_f32_e32 v41, v38, v35
	s_delay_alu instid0(VALU_DEP_2) | instskip(NEXT) | instid1(VALU_DEP_2)
	v_fma_f32 v42, -v22, v39, v40
	v_fma_f32 v43, -v23, v41, v38
	s_delay_alu instid0(VALU_DEP_2) | instskip(NEXT) | instid1(VALU_DEP_2)
	v_fmac_f32_e32 v39, v42, v33
	v_fmac_f32_e32 v41, v43, v35
	s_delay_alu instid0(VALU_DEP_2) | instskip(NEXT) | instid1(VALU_DEP_2)
	v_fma_f32 v22, -v22, v39, v40
	v_fma_f32 v23, -v23, v41, v38
	s_wait_alu 0xfffd
	s_delay_alu instid0(VALU_DEP_2) | instskip(SKIP_3) | instid1(VALU_DEP_2)
	v_div_fmas_f32 v22, v22, v33, v39
	s_mov_b32 vcc_lo, s0
	s_wait_alu 0xfffe
	v_div_fmas_f32 v23, v23, v35, v41
	v_div_fixup_f32 v8, v22, v8, 1.0
	s_delay_alu instid0(VALU_DEP_2) | instskip(NEXT) | instid1(VALU_DEP_2)
	v_div_fixup_f32 v21, v23, v21, 1.0
	v_mul_f32_e32 v8, v36, v8
	s_delay_alu instid0(VALU_DEP_2) | instskip(NEXT) | instid1(VALU_DEP_1)
	v_mul_f32_e32 v20, v20, v21
	v_fma_f32 v20, v20, v20, 1.0
	s_delay_alu instid0(VALU_DEP_1) | instskip(SKIP_1) | instid1(VALU_DEP_2)
	v_div_scale_f32 v21, null, v20, v20, 1.0
	v_div_scale_f32 v35, vcc_lo, 1.0, v20, 1.0
	v_rcp_f32_e32 v23, v21
	s_delay_alu instid0(TRANS32_DEP_1) | instskip(NEXT) | instid1(VALU_DEP_1)
	v_fma_f32 v33, -v21, v23, 1.0
	v_fmac_f32_e32 v23, v33, v23
	s_delay_alu instid0(VALU_DEP_1) | instskip(NEXT) | instid1(VALU_DEP_1)
	v_mul_f32_e32 v33, v35, v23
	v_fma_f32 v38, -v21, v33, v35
	s_delay_alu instid0(VALU_DEP_1) | instskip(NEXT) | instid1(VALU_DEP_1)
	v_dual_fmac_f32 v33, v38, v23 :: v_dual_mul_f32 v38, 0xc59f2800, v28
	v_fma_f32 v21, -v21, v33, v35
	s_wait_alu 0xfffd
	s_delay_alu instid0(VALU_DEP_1) | instskip(NEXT) | instid1(VALU_DEP_1)
	v_div_fmas_f32 v21, v21, v23, v33
	v_div_fixup_f32 v20, v21, v20, 1.0
	s_delay_alu instid0(VALU_DEP_1) | instskip(NEXT) | instid1(VALU_DEP_1)
	v_mul_f32_e32 v9, v9, v20
	v_mul_f32_e32 v20, 0x40549a78, v9
	v_cmp_ngt_f32_e32 vcc_lo, 0xc23369f4, v9
	s_delay_alu instid0(VALU_DEP_2) | instskip(SKIP_1) | instid1(VALU_DEP_1)
	v_fma_f32 v21, 0x40549a78, v9, -v20
	v_rndne_f32_e32 v23, v20
	v_dual_fmac_f32 v21, 0x33979a37, v9 :: v_dual_sub_f32 v20, v20, v23
	v_cvt_i32_f32_e32 v23, v23
	s_delay_alu instid0(VALU_DEP_2) | instskip(NEXT) | instid1(VALU_DEP_1)
	v_add_f32_e32 v20, v20, v21
	v_exp_f32_e32 v33, v20
	v_mad_co_u64_u32 v[20:21], null, 0xffffffbb, s2, v[15:16]
	v_mov_b32_e32 v21, v1
	s_delay_alu instid0(TRANS32_DEP_1) | instskip(NEXT) | instid1(VALU_DEP_2)
	v_ldexp_f32 v15, v33, v23
	v_mad_co_u64_u32 v[22:23], null, 0x50, s2, v[20:21]
	v_mov_b32_e32 v23, v1
	s_wait_alu 0xfffd
	s_delay_alu instid0(VALU_DEP_3) | instskip(SKIP_2) | instid1(VALU_DEP_2)
	v_cndmask_b32_e32 v15, 0, v15, vcc_lo
	v_cmp_nlt_f32_e32 vcc_lo, 0x421a209b, v9
	s_wait_alu 0xfffd
	v_cndmask_b32_e32 v9, 0x7f800000, v15, vcc_lo
	s_delay_alu instid0(VALU_DEP_1) | instskip(SKIP_1) | instid1(VALU_DEP_2)
	v_mul_f32_e32 v15, v8, v9
	v_lshlrev_b64_e32 v[8:9], 2, v[22:23]
	v_mul_f32_e32 v23, v32, v15
	s_delay_alu instid0(VALU_DEP_2) | instskip(SKIP_1) | instid1(VALU_DEP_3)
	v_add_co_u32 v32, vcc_lo, s8, v8
	s_wait_alu 0xfffd
	v_add_co_ci_u32_e64 v33, null, s9, v9, vcc_lo
	global_store_b32 v[16:17], v23, off
	v_lshlrev_b64_e32 v[16:17], 2, v[20:21]
	v_add_co_u32 v8, s1, s10, v8
	global_load_b32 v23, v[32:33], off
	s_wait_alu 0xf1ff
	v_add_co_ci_u32_e64 v9, null, s11, v9, s1
	v_add_co_u32 v16, vcc_lo, s12, v16
	s_wait_alu 0xfffd
	v_add_co_ci_u32_e64 v17, null, s13, v17, vcc_lo
	global_load_b32 v20, v[16:17], off
	v_add_co_u32 v16, vcc_lo, s10, v24
	s_wait_alu 0xfffd
	v_add_co_ci_u32_e64 v17, null, s11, v25, vcc_lo
	s_wait_loadcnt 0x2
	v_mul_f32_e32 v21, v34, v37
	global_store_b32 v[18:19], v21, off
	global_load_b32 v18, v[16:17], off
	v_mul_f32_e32 v21, 0xb9fc4ddc, v30
	v_mul_f32_e32 v19, 0xbd9c9f71, v30
	s_delay_alu instid0(VALU_DEP_1) | instskip(SKIP_1) | instid1(VALU_DEP_2)
	v_dual_mul_f32 v25, 0x3fb8aa3b, v21 :: v_dual_mul_f32 v24, 0x3fb8aa3b, v19
	v_cmp_ngt_f32_e64 s0, 0xc2ce8ed0, v21
	v_fma_f32 v36, 0x3fb8aa3b, v21, -v25
	v_rndne_f32_e32 v37, v25
	s_delay_alu instid0(VALU_DEP_4) | instskip(SKIP_1) | instid1(VALU_DEP_4)
	v_fma_f32 v34, 0x3fb8aa3b, v19, -v24
	v_rndne_f32_e32 v35, v24
	v_fmac_f32_e32 v36, 0x32a5705f, v21
	s_delay_alu instid0(VALU_DEP_3) | instskip(NEXT) | instid1(VALU_DEP_3)
	v_dual_sub_f32 v25, v25, v37 :: v_dual_fmac_f32 v34, 0x32a5705f, v19
	v_sub_f32_e32 v24, v24, v35
	v_cvt_i32_f32_e32 v37, v37
	v_cvt_i32_f32_e32 v35, v35
	s_delay_alu instid0(VALU_DEP_3) | instskip(SKIP_1) | instid1(VALU_DEP_2)
	v_dual_add_f32 v25, v25, v36 :: v_dual_add_f32 v24, v24, v34
	v_mul_f32_e32 v34, 0x3fb8aa3b, v38
	v_exp_f32_e32 v25, v25
	s_delay_alu instid0(VALU_DEP_2) | instskip(NEXT) | instid1(VALU_DEP_1)
	v_exp_f32_e32 v24, v24
	v_fma_f32 v36, 0x3fb8aa3b, v38, -v34
	v_rndne_f32_e32 v41, v34
	s_delay_alu instid0(VALU_DEP_2) | instskip(NEXT) | instid1(VALU_DEP_2)
	v_fmac_f32_e32 v36, 0x32a5705f, v38
	v_sub_f32_e32 v34, v34, v41
	s_delay_alu instid0(TRANS32_DEP_2) | instskip(NEXT) | instid1(TRANS32_DEP_1)
	v_ldexp_f32 v25, v25, v37
	v_ldexp_f32 v24, v24, v35
	s_delay_alu instid0(VALU_DEP_3) | instskip(SKIP_1) | instid1(VALU_DEP_3)
	v_add_f32_e32 v34, v34, v36
	s_wait_alu 0xf1ff
	v_cndmask_b32_e64 v25, 0, v25, s0
	v_cmp_ngt_f32_e64 s0, 0xc2ce8ed0, v19
	s_delay_alu instid0(VALU_DEP_3) | instskip(SKIP_1) | instid1(VALU_DEP_1)
	v_exp_f32_e32 v34, v34
	s_wait_alu 0xf1ff
	v_cndmask_b32_e64 v24, 0, v24, s0
	v_cmp_nlt_f32_e64 s0, 0x42b17218, v21
	s_wait_alu 0xf1ff
	s_delay_alu instid0(VALU_DEP_1) | instskip(SKIP_1) | instid1(VALU_DEP_2)
	v_cndmask_b32_e64 v21, 0x7f800000, v25, s0
	v_cmp_nlt_f32_e64 s0, 0x42b17218, v19
	v_mul_f32_e32 v21, 0x3f1e075f, v21
	s_wait_alu 0xf1ff
	s_delay_alu instid0(VALU_DEP_2) | instskip(SKIP_1) | instid1(VALU_DEP_2)
	v_cndmask_b32_e64 v19, 0x7f800000, v24, s0
	v_cmp_ngt_f32_e64 s0, 0xc2ce8ed0, v38
	v_fmamk_f32 v19, v19, 0x3ec3f141, v21
	s_wait_loadcnt 0x2
	v_div_scale_f32 v39, null, v23, v23, 1.0
	v_div_scale_f32 v36, vcc_lo, 1.0, v23, 1.0
	s_delay_alu instid0(VALU_DEP_2) | instskip(NEXT) | instid1(TRANS32_DEP_1)
	v_rcp_f32_e32 v40, v39
	v_fma_f32 v35, -v39, v40, 1.0
	s_delay_alu instid0(VALU_DEP_1) | instskip(SKIP_1) | instid1(VALU_DEP_2)
	v_fmac_f32_e32 v40, v35, v40
	v_cvt_i32_f32_e32 v35, v41
	v_mul_f32_e32 v37, v36, v40
	s_delay_alu instid0(VALU_DEP_2) | instskip(NEXT) | instid1(VALU_DEP_2)
	v_ldexp_f32 v34, v34, v35
	v_fma_f32 v25, -v39, v37, v36
	s_wait_alu 0xf1ff
	s_delay_alu instid0(VALU_DEP_2) | instskip(SKIP_1) | instid1(VALU_DEP_3)
	v_cndmask_b32_e64 v24, 0, v34, s0
	v_cmp_nlt_f32_e64 s0, 0x42b17218, v38
	v_fmac_f32_e32 v37, v25, v40
	s_wait_alu 0xf1ff
	s_delay_alu instid0(VALU_DEP_2) | instskip(NEXT) | instid1(VALU_DEP_2)
	v_cndmask_b32_e64 v24, 0x7f800000, v24, s0
	v_fma_f32 v21, -v39, v37, v36
	s_delay_alu instid0(VALU_DEP_2) | instskip(SKIP_1) | instid1(VALU_DEP_2)
	v_add_f32_e32 v19, v24, v19
	s_wait_alu 0xfffd
	v_div_fmas_f32 v21, v21, v40, v37
	s_delay_alu instid0(VALU_DEP_2) | instskip(NEXT) | instid1(VALU_DEP_2)
	v_max_num_f32_e32 v19, 0x800000, v19
	v_div_fixup_f32 v21, v21, v23, 1.0
	s_delay_alu instid0(VALU_DEP_2) | instskip(NEXT) | instid1(VALU_DEP_2)
	v_cmp_gt_f32_e32 vcc_lo, 0x800000, v19
	v_mul_f32_e32 v21, v26, v21
	s_wait_alu 0xfffd
	v_cndmask_b32_e64 v24, 0, 32, vcc_lo
	s_wait_loadcnt 0x1
	s_delay_alu instid0(VALU_DEP_2) | instskip(NEXT) | instid1(VALU_DEP_2)
	v_mul_f32_e32 v25, v20, v21
	v_ldexp_f32 v19, v19, v24
	s_delay_alu instid0(VALU_DEP_2) | instskip(NEXT) | instid1(VALU_DEP_2)
	v_max_num_f32_e32 v24, 0x800000, v25
	v_log_f32_e32 v19, v19
	s_wait_loadcnt 0x0
	v_mul_f32_e32 v0, v18, v0
	s_delay_alu instid0(VALU_DEP_2)
	v_cmp_gt_f32_e64 s0, 0x800000, v24
	global_store_b32 v[16:17], v0, off
	v_cndmask_b32_e64 v16, 0, 0x411a209b, vcc_lo
	s_wait_alu 0xf1ff
	v_cndmask_b32_e64 v34, 0, 32, s0
	v_cmp_gt_f32_e64 vcc_lo, 0x7f800000, |v19|
	s_delay_alu instid0(VALU_DEP_2) | instskip(SKIP_1) | instid1(VALU_DEP_2)
	v_ldexp_f32 v24, v24, v34
	v_mul_f32_e32 v34, 0x3e9a209a, v19
	v_log_f32_e32 v18, v24
	s_delay_alu instid0(VALU_DEP_1) | instskip(SKIP_3) | instid1(VALU_DEP_2)
	v_fma_f32 v24, 0x3e9a209a, v19, -v34
	global_load_b32 v34, v[12:13], off
	v_fmac_f32_e32 v24, 0x3284fbcf, v19
	v_mul_f32_e32 v0, 0x3e9a209a, v18
	v_fmac_f32_e32 v24, 0x3e9a209a, v19
	s_delay_alu instid0(VALU_DEP_2) | instskip(SKIP_1) | instid1(VALU_DEP_2)
	v_fma_f32 v0, 0x3e9a209a, v18, -v0
	s_wait_alu 0xfffd
	v_cndmask_b32_e32 v17, v19, v24, vcc_lo
	v_cmp_gt_f32_e64 vcc_lo, 0x7f800000, |v18|
	s_delay_alu instid0(VALU_DEP_3) | instskip(NEXT) | instid1(VALU_DEP_3)
	v_fmac_f32_e32 v0, 0x3284fbcf, v18
	v_sub_f32_e32 v16, v17, v16
	v_cndmask_b32_e64 v17, 0, 0x411a209b, s0
	s_delay_alu instid0(VALU_DEP_3) | instskip(SKIP_1) | instid1(VALU_DEP_1)
	v_fmac_f32_e32 v0, 0x3e9a209a, v18
	s_wait_alu 0xfffd
	v_cndmask_b32_e32 v0, v18, v0, vcc_lo
	v_fmaak_f32 v18, s3, v16, 0x3ecccccd
	s_delay_alu instid0(VALU_DEP_2) | instskip(NEXT) | instid1(VALU_DEP_1)
	v_dual_sub_f32 v0, v0, v17 :: v_dual_fmaak_f32 v17, s4, v16, 0x3f400000
	v_sub_f32_e32 v0, v0, v18
	v_fma_f32 v18, v20, v21, 1.0
	s_delay_alu instid0(VALU_DEP_2) | instskip(NEXT) | instid1(VALU_DEP_2)
	v_fmac_f32_e32 v17, 0xbe0f5c29, v0
	v_div_scale_f32 v19, null, v18, v18, 1.0
	v_div_scale_f32 v37, vcc_lo, 1.0, v18, 1.0
	s_delay_alu instid0(VALU_DEP_3) | instskip(NEXT) | instid1(VALU_DEP_3)
	v_div_scale_f32 v20, null, v17, v17, 1.0
	v_rcp_f32_e32 v21, v19
	s_delay_alu instid0(VALU_DEP_1) | instskip(NEXT) | instid1(TRANS32_DEP_2)
	v_rcp_f32_e32 v24, v20
	v_fma_f32 v35, -v19, v21, 1.0
	s_delay_alu instid0(TRANS32_DEP_1) | instskip(NEXT) | instid1(VALU_DEP_2)
	v_fma_f32 v36, -v20, v24, 1.0
	v_fmac_f32_e32 v21, v35, v21
	v_div_scale_f32 v35, s0, 1.0, v17, 1.0
	s_delay_alu instid0(VALU_DEP_3) | instskip(NEXT) | instid1(VALU_DEP_3)
	v_fmac_f32_e32 v24, v36, v24
	v_mul_f32_e32 v36, v37, v21
	s_delay_alu instid0(VALU_DEP_2) | instskip(NEXT) | instid1(VALU_DEP_2)
	v_mul_f32_e32 v38, v35, v24
	v_fma_f32 v39, -v19, v36, v37
	s_delay_alu instid0(VALU_DEP_2) | instskip(NEXT) | instid1(VALU_DEP_2)
	v_fma_f32 v40, -v20, v38, v35
	v_fmac_f32_e32 v36, v39, v21
	s_delay_alu instid0(VALU_DEP_2) | instskip(NEXT) | instid1(VALU_DEP_2)
	v_fmac_f32_e32 v38, v40, v24
	v_fma_f32 v19, -v19, v36, v37
	s_delay_alu instid0(VALU_DEP_2) | instskip(SKIP_1) | instid1(VALU_DEP_2)
	v_fma_f32 v20, -v20, v38, v35
	s_wait_alu 0xfffd
	v_div_fmas_f32 v19, v19, v21, v36
	s_mov_b32 vcc_lo, s0
	s_wait_alu 0xfffe
	v_div_fmas_f32 v20, v20, v24, v38
	s_delay_alu instid0(VALU_DEP_1) | instskip(NEXT) | instid1(VALU_DEP_1)
	v_div_fixup_f32 v17, v20, v17, 1.0
	v_mul_f32_e32 v0, v0, v17
	s_delay_alu instid0(VALU_DEP_1) | instskip(NEXT) | instid1(VALU_DEP_1)
	v_fma_f32 v0, v0, v0, 1.0
	v_div_scale_f32 v17, null, v0, v0, 1.0
	v_div_scale_f32 v24, vcc_lo, 1.0, v0, 1.0
	s_delay_alu instid0(VALU_DEP_2) | instskip(NEXT) | instid1(TRANS32_DEP_1)
	v_rcp_f32_e32 v20, v17
	v_fma_f32 v21, -v17, v20, 1.0
	s_delay_alu instid0(VALU_DEP_1) | instskip(NEXT) | instid1(VALU_DEP_1)
	v_fmac_f32_e32 v20, v21, v20
	v_mul_f32_e32 v21, v24, v20
	s_delay_alu instid0(VALU_DEP_1) | instskip(NEXT) | instid1(VALU_DEP_1)
	v_fma_f32 v35, -v17, v21, v24
	v_fmac_f32_e32 v21, v35, v20
	s_delay_alu instid0(VALU_DEP_1) | instskip(SKIP_1) | instid1(VALU_DEP_1)
	v_fma_f32 v17, -v17, v21, v24
	s_wait_alu 0xfffd
	v_div_fmas_f32 v17, v17, v20, v21
	s_delay_alu instid0(VALU_DEP_1) | instskip(NEXT) | instid1(VALU_DEP_1)
	v_div_fixup_f32 v0, v17, v0, 1.0
	v_mul_f32_e32 v0, v16, v0
	s_delay_alu instid0(VALU_DEP_1) | instskip(SKIP_1) | instid1(VALU_DEP_2)
	v_mul_f32_e32 v16, 0x40549a78, v0
	v_cmp_ngt_f32_e32 vcc_lo, 0xc23369f4, v0
	v_fma_f32 v17, 0x40549a78, v0, -v16
	v_rndne_f32_e32 v20, v16
	s_delay_alu instid0(VALU_DEP_2) | instskip(NEXT) | instid1(VALU_DEP_2)
	v_fmac_f32_e32 v17, 0x33979a37, v0
	v_sub_f32_e32 v16, v16, v20
	s_delay_alu instid0(VALU_DEP_1) | instskip(SKIP_1) | instid1(VALU_DEP_2)
	v_add_f32_e32 v16, v16, v17
	v_cvt_i32_f32_e32 v17, v20
	v_exp_f32_e32 v16, v16
	s_delay_alu instid0(TRANS32_DEP_1) | instskip(SKIP_2) | instid1(VALU_DEP_2)
	v_ldexp_f32 v16, v16, v17
	v_div_fixup_f32 v17, v19, v18, 1.0
	s_wait_alu 0xfffd
	v_cndmask_b32_e32 v16, 0, v16, vcc_lo
	v_cmp_nlt_f32_e32 vcc_lo, 0x421a209b, v0
	s_delay_alu instid0(VALU_DEP_3) | instskip(SKIP_3) | instid1(VALU_DEP_1)
	v_mul_f32_e32 v17, v25, v17
	v_lshl_add_u32 v0, s2, 2, v22
	s_wait_alu 0xfffd
	v_cndmask_b32_e32 v16, 0x7f800000, v16, vcc_lo
	v_mul_f32_e32 v20, v17, v16
	s_delay_alu instid0(VALU_DEP_3) | instskip(NEXT) | instid1(VALU_DEP_2)
	v_lshlrev_b64_e32 v[16:17], 2, v[0:1]
	v_mul_f32_e32 v21, v23, v20
	s_delay_alu instid0(VALU_DEP_2) | instskip(SKIP_1) | instid1(VALU_DEP_3)
	v_add_co_u32 v18, vcc_lo, s8, v16
	s_wait_alu 0xfffd
	v_add_co_ci_u32_e64 v19, null, s9, v17, vcc_lo
	global_store_b32 v[32:33], v21, off
	v_add_co_u32 v6, vcc_lo, s12, v6
	global_load_b32 v21, v[18:19], off
	s_wait_alu 0xfffd
	v_add_co_ci_u32_e64 v7, null, s13, v7, vcc_lo
	v_mul_f32_e32 v33, 0xc59b5000, v28
	global_load_b32 v22, v[6:7], off
	v_add_co_u32 v6, vcc_lo, s10, v10
	s_wait_alu 0xfffd
	v_add_co_ci_u32_e64 v7, null, s11, v11, vcc_lo
	v_mul_f32_e32 v11, 0xbbd901b2, v30
	s_wait_loadcnt 0x2
	v_dual_mul_f32 v35, 0x3fb8aa3b, v33 :: v_dual_mul_f32 v14, v34, v14
	global_store_b32 v[12:13], v14, off
	global_load_b32 v10, v[6:7], off
	v_mul_f32_e32 v12, 0xba7c8c16, v30
	s_delay_alu instid0(VALU_DEP_1) | instskip(NEXT) | instid1(VALU_DEP_1)
	v_dual_mul_f32 v13, 0x3fb8aa3b, v11 :: v_dual_mul_f32 v14, 0x3fb8aa3b, v12
	v_fma_f32 v23, 0x3fb8aa3b, v11, -v13
	v_rndne_f32_e32 v24, v13
	v_cmp_ngt_f32_e64 s0, 0xc2ce8ed0, v12
	s_delay_alu instid0(VALU_DEP_4)
	v_fma_f32 v25, 0x3fb8aa3b, v12, -v14
	v_rndne_f32_e32 v32, v14
	v_fmac_f32_e32 v23, 0x32a5705f, v11
	v_sub_f32_e32 v13, v13, v24
	v_cvt_i32_f32_e32 v24, v24
	v_fmac_f32_e32 v25, 0x32a5705f, v12
	v_sub_f32_e32 v14, v14, v32
	v_cvt_i32_f32_e32 v32, v32
	v_add_f32_e32 v13, v13, v23
	v_fma_f32 v23, 0x3fb8aa3b, v33, -v35
	s_delay_alu instid0(VALU_DEP_4) | instskip(SKIP_1) | instid1(VALU_DEP_4)
	v_add_f32_e32 v14, v14, v25
	v_rndne_f32_e32 v25, v35
	v_exp_f32_e32 v13, v13
	s_delay_alu instid0(VALU_DEP_3) | instskip(NEXT) | instid1(VALU_DEP_3)
	v_fmac_f32_e32 v23, 0x32a5705f, v33
	v_exp_f32_e32 v14, v14
	s_delay_alu instid0(VALU_DEP_2) | instskip(SKIP_1) | instid1(VALU_DEP_2)
	v_sub_f32_e32 v35, v35, v25
	v_cvt_i32_f32_e32 v25, v25
	v_add_f32_e32 v23, v35, v23
	s_delay_alu instid0(TRANS32_DEP_2) | instskip(NEXT) | instid1(TRANS32_DEP_1)
	v_ldexp_f32 v13, v13, v24
	v_ldexp_f32 v14, v14, v32
	s_delay_alu instid0(VALU_DEP_3) | instskip(SKIP_1) | instid1(VALU_DEP_1)
	v_exp_f32_e32 v23, v23
	s_wait_alu 0xf1ff
	v_cndmask_b32_e64 v14, 0, v14, s0
	v_cmp_ngt_f32_e64 s0, 0xc2ce8ed0, v11
	s_wait_alu 0xf1ff
	s_delay_alu instid0(VALU_DEP_1) | instskip(SKIP_2) | instid1(VALU_DEP_1)
	v_cndmask_b32_e64 v13, 0, v13, s0
	v_cmp_nlt_f32_e64 s0, 0x42b17218, v12
	s_wait_alu 0xf1ff
	v_cndmask_b32_e64 v12, 0x7f800000, v14, s0
	v_cmp_nlt_f32_e64 s0, 0x42b17218, v11
	v_ldexp_f32 v14, v23, v25
	s_delay_alu instid0(VALU_DEP_3) | instskip(SKIP_1) | instid1(VALU_DEP_3)
	v_mul_f32_e32 v12, 0x3f0851ec, v12
	s_wait_alu 0xf1ff
	v_cndmask_b32_e64 v11, 0x7f800000, v13, s0
	v_cmp_ngt_f32_e64 s0, 0xc2ce8ed0, v33
	s_delay_alu instid0(VALU_DEP_2) | instskip(SKIP_1) | instid1(VALU_DEP_2)
	v_fmamk_f32 v11, v11, 0x3eef5c29, v12
	s_wait_alu 0xf1ff
	v_cndmask_b32_e64 v14, 0, v14, s0
	s_wait_loadcnt 0x2
	v_div_scale_f32 v34, null, v21, v21, 1.0
	v_div_scale_f32 v38, vcc_lo, 1.0, v21, 1.0
	s_delay_alu instid0(VALU_DEP_2) | instskip(NEXT) | instid1(TRANS32_DEP_1)
	v_rcp_f32_e32 v36, v34
	v_fma_f32 v37, -v34, v36, 1.0
	s_delay_alu instid0(VALU_DEP_1) | instskip(NEXT) | instid1(VALU_DEP_1)
	v_fmac_f32_e32 v36, v37, v36
	v_mul_f32_e32 v24, v38, v36
	s_delay_alu instid0(VALU_DEP_1) | instskip(NEXT) | instid1(VALU_DEP_1)
	v_fma_f32 v32, -v34, v24, v38
	v_fmac_f32_e32 v24, v32, v36
	s_delay_alu instid0(VALU_DEP_1) | instskip(SKIP_1) | instid1(VALU_DEP_1)
	v_fma_f32 v13, -v34, v24, v38
	s_wait_alu 0xfffd
	v_div_fmas_f32 v13, v13, v36, v24
	v_cmp_nlt_f32_e32 vcc_lo, 0x42b17218, v33
	s_delay_alu instid0(VALU_DEP_2) | instskip(SKIP_2) | instid1(VALU_DEP_1)
	v_div_fixup_f32 v13, v13, v21, 1.0
	s_wait_alu 0xfffd
	v_cndmask_b32_e32 v12, 0x7f800000, v14, vcc_lo
	v_dual_add_f32 v11, v12, v11 :: v_dual_mul_f32 v12, v26, v13
	s_delay_alu instid0(VALU_DEP_1) | instskip(SKIP_1) | instid1(VALU_DEP_2)
	v_max_num_f32_e32 v11, 0x800000, v11
	s_wait_loadcnt 0x1
	v_mul_f32_e32 v13, v22, v12
	s_delay_alu instid0(VALU_DEP_2) | instskip(NEXT) | instid1(VALU_DEP_2)
	v_cmp_gt_f32_e32 vcc_lo, 0x800000, v11
	v_max_num_f32_e32 v23, 0x800000, v13
	s_wait_alu 0xfffd
	v_cndmask_b32_e64 v14, 0, 32, vcc_lo
	s_delay_alu instid0(VALU_DEP_2) | instskip(NEXT) | instid1(VALU_DEP_2)
	v_cmp_gt_f32_e64 s0, 0x800000, v23
	v_ldexp_f32 v11, v11, v14
	s_wait_alu 0xf1ff
	s_delay_alu instid0(VALU_DEP_2) | instskip(NEXT) | instid1(VALU_DEP_2)
	v_cndmask_b32_e64 v14, 0, 32, s0
	v_log_f32_e32 v11, v11
	s_delay_alu instid0(VALU_DEP_1) | instskip(NEXT) | instid1(VALU_DEP_1)
	v_ldexp_f32 v14, v23, v14
	v_log_f32_e32 v14, v14
	s_delay_alu instid0(TRANS32_DEP_2)
	v_mul_f32_e32 v23, 0x3e9a209a, v11
	s_wait_loadcnt 0x0
	v_mul_f32_e32 v10, v10, v15
	v_cndmask_b32_e64 v15, 0, 0x411a209b, vcc_lo
	v_cmp_gt_f32_e64 vcc_lo, 0x7f800000, |v11|
	v_fma_f32 v23, 0x3e9a209a, v11, -v23
	s_delay_alu instid0(TRANS32_DEP_1) | instskip(SKIP_4) | instid1(VALU_DEP_2)
	v_mul_f32_e32 v24, 0x3e9a209a, v14
	global_store_b32 v[6:7], v10, off
	v_cndmask_b32_e64 v7, 0, 0x411a209b, s0
	v_fmac_f32_e32 v23, 0x3284fbcf, v11
	v_fma_f32 v24, 0x3e9a209a, v14, -v24
	v_fmac_f32_e32 v23, 0x3e9a209a, v11
	s_wait_alu 0xfffd
	s_delay_alu instid0(VALU_DEP_1)
	v_dual_fmac_f32 v24, 0x3284fbcf, v14 :: v_dual_cndmask_b32 v11, v11, v23
	global_load_b32 v23, v[8:9], off
	v_fmac_f32_e32 v24, 0x3e9a209a, v14
	v_cmp_gt_f32_e64 vcc_lo, 0x7f800000, |v14|
	v_sub_f32_e32 v6, v11, v15
	s_wait_alu 0xfffd
	s_delay_alu instid0(VALU_DEP_3) | instskip(NEXT) | instid1(VALU_DEP_2)
	v_cndmask_b32_e32 v10, v14, v24, vcc_lo
	v_fmaak_f32 v11, s3, v6, 0x3ecccccd
	s_delay_alu instid0(VALU_DEP_2) | instskip(NEXT) | instid1(VALU_DEP_1)
	v_dual_sub_f32 v7, v10, v7 :: v_dual_fmaak_f32 v10, s4, v6, 0x3f400000
	v_sub_f32_e32 v7, v7, v11
	v_fma_f32 v11, v22, v12, 1.0
	s_delay_alu instid0(VALU_DEP_2) | instskip(NEXT) | instid1(VALU_DEP_2)
	v_fmac_f32_e32 v10, 0xbe0f5c29, v7
	v_div_scale_f32 v12, null, v11, v11, 1.0
	v_div_scale_f32 v32, vcc_lo, 1.0, v11, 1.0
	s_delay_alu instid0(VALU_DEP_3) | instskip(NEXT) | instid1(VALU_DEP_3)
	v_div_scale_f32 v14, null, v10, v10, 1.0
	v_rcp_f32_e32 v15, v12
	s_delay_alu instid0(VALU_DEP_1) | instskip(NEXT) | instid1(TRANS32_DEP_2)
	v_rcp_f32_e32 v22, v14
	v_fma_f32 v24, -v12, v15, 1.0
	s_delay_alu instid0(TRANS32_DEP_1) | instskip(NEXT) | instid1(VALU_DEP_2)
	v_fma_f32 v25, -v14, v22, 1.0
	v_fmac_f32_e32 v15, v24, v15
	v_div_scale_f32 v24, s0, 1.0, v10, 1.0
	s_delay_alu instid0(VALU_DEP_2) | instskip(NEXT) | instid1(VALU_DEP_1)
	v_dual_fmac_f32 v22, v25, v22 :: v_dual_mul_f32 v25, v32, v15
	v_mul_f32_e32 v33, v24, v22
	s_delay_alu instid0(VALU_DEP_2) | instskip(NEXT) | instid1(VALU_DEP_2)
	v_fma_f32 v34, -v12, v25, v32
	v_fma_f32 v35, -v14, v33, v24
	s_delay_alu instid0(VALU_DEP_2) | instskip(NEXT) | instid1(VALU_DEP_2)
	v_fmac_f32_e32 v25, v34, v15
	v_fmac_f32_e32 v33, v35, v22
	s_delay_alu instid0(VALU_DEP_2) | instskip(NEXT) | instid1(VALU_DEP_2)
	v_fma_f32 v12, -v12, v25, v32
	v_fma_f32 v14, -v14, v33, v24
	s_wait_alu 0xfffd
	s_delay_alu instid0(VALU_DEP_2) | instskip(SKIP_3) | instid1(VALU_DEP_2)
	v_div_fmas_f32 v12, v12, v15, v25
	s_mov_b32 vcc_lo, s0
	s_wait_alu 0xfffe
	v_div_fmas_f32 v14, v14, v22, v33
	v_div_fixup_f32 v11, v12, v11, 1.0
	s_delay_alu instid0(VALU_DEP_2) | instskip(NEXT) | instid1(VALU_DEP_1)
	v_div_fixup_f32 v10, v14, v10, 1.0
	v_mul_f32_e32 v7, v7, v10
	s_delay_alu instid0(VALU_DEP_1) | instskip(NEXT) | instid1(VALU_DEP_1)
	v_fma_f32 v7, v7, v7, 1.0
	v_div_scale_f32 v10, null, v7, v7, 1.0
	v_div_scale_f32 v22, vcc_lo, 1.0, v7, 1.0
	s_delay_alu instid0(VALU_DEP_2) | instskip(NEXT) | instid1(TRANS32_DEP_1)
	v_rcp_f32_e32 v14, v10
	v_fma_f32 v15, -v10, v14, 1.0
	s_delay_alu instid0(VALU_DEP_1) | instskip(NEXT) | instid1(VALU_DEP_1)
	v_fmac_f32_e32 v14, v15, v14
	v_mul_f32_e32 v15, v22, v14
	s_delay_alu instid0(VALU_DEP_1) | instskip(NEXT) | instid1(VALU_DEP_1)
	v_fma_f32 v24, -v10, v15, v22
	v_fmac_f32_e32 v15, v24, v14
	s_delay_alu instid0(VALU_DEP_1) | instskip(SKIP_1) | instid1(VALU_DEP_1)
	v_fma_f32 v10, -v10, v15, v22
	s_wait_alu 0xfffd
	v_div_fmas_f32 v10, v10, v14, v15
	s_delay_alu instid0(VALU_DEP_1) | instskip(NEXT) | instid1(VALU_DEP_1)
	v_div_fixup_f32 v7, v10, v7, 1.0
	v_mul_f32_e32 v10, v6, v7
	s_delay_alu instid0(VALU_DEP_1) | instskip(SKIP_1) | instid1(VALU_DEP_2)
	v_mul_f32_e32 v6, 0x40549a78, v10
	v_cmp_ngt_f32_e32 vcc_lo, 0xc23369f4, v10
	v_fma_f32 v7, 0x40549a78, v10, -v6
	v_rndne_f32_e32 v14, v6
	s_delay_alu instid0(VALU_DEP_2) | instskip(NEXT) | instid1(VALU_DEP_2)
	v_fmac_f32_e32 v7, 0x33979a37, v10
	v_sub_f32_e32 v6, v6, v14
	s_delay_alu instid0(VALU_DEP_1) | instskip(SKIP_1) | instid1(VALU_DEP_2)
	v_add_f32_e32 v6, v6, v7
	v_cvt_i32_f32_e32 v7, v14
	v_exp_f32_e32 v6, v6
	s_delay_alu instid0(TRANS32_DEP_1) | instskip(SKIP_1) | instid1(VALU_DEP_1)
	v_ldexp_f32 v6, v6, v7
	s_wait_alu 0xfffd
	v_cndmask_b32_e32 v12, 0, v6, vcc_lo
	v_cmp_nlt_f32_e32 vcc_lo, 0x421a209b, v10
	v_mad_co_u64_u32 v[6:7], null, s2, 21, v[0:1]
	v_mul_f32_e32 v0, v13, v11
	s_wait_alu 0xfffd
	v_dual_mov_b32 v7, v1 :: v_dual_cndmask_b32 v10, 0x7f800000, v12
	s_delay_alu instid0(VALU_DEP_1) | instskip(NEXT) | instid1(VALU_DEP_2)
	v_mul_f32_e32 v0, v0, v10
	v_lshlrev_b64_e32 v[10:11], 2, v[6:7]
	s_delay_alu instid0(VALU_DEP_2) | instskip(NEXT) | instid1(VALU_DEP_2)
	v_mul_f32_e32 v7, v21, v0
	v_add_co_u32 v12, vcc_lo, s8, v10
	s_wait_alu 0xfffd
	s_delay_alu instid0(VALU_DEP_3)
	v_add_co_ci_u32_e64 v13, null, s9, v11, vcc_lo
	global_store_b32 v[18:19], v7, off
	v_add_co_u32 v4, vcc_lo, s12, v4
	global_load_b32 v14, v[12:13], off
	s_wait_alu 0xfffd
	v_add_co_ci_u32_e64 v5, null, s13, v5, vcc_lo
	global_load_b32 v15, v[4:5], off
	v_add_co_u32 v4, vcc_lo, s10, v16
	s_wait_alu 0xfffd
	v_add_co_ci_u32_e64 v5, null, s11, v17, vcc_lo
	s_wait_loadcnt 0x2
	v_mul_f32_e32 v7, v23, v20
	global_store_b32 v[8:9], v7, off
	global_load_b32 v9, v[4:5], off
	s_wait_loadcnt 0x2
	v_div_scale_f32 v7, null, v14, v14, 1.0
	v_div_scale_f32 v17, vcc_lo, 1.0, v14, 1.0
	s_delay_alu instid0(VALU_DEP_2) | instskip(NEXT) | instid1(TRANS32_DEP_1)
	v_rcp_f32_e32 v8, v7
	v_fma_f32 v16, -v7, v8, 1.0
	s_delay_alu instid0(VALU_DEP_1) | instskip(NEXT) | instid1(VALU_DEP_1)
	v_fmac_f32_e32 v8, v16, v8
	v_mul_f32_e32 v16, v17, v8
	s_delay_alu instid0(VALU_DEP_1) | instskip(NEXT) | instid1(VALU_DEP_1)
	v_fma_f32 v18, -v7, v16, v17
	v_fmac_f32_e32 v16, v18, v8
	s_delay_alu instid0(VALU_DEP_1) | instskip(SKIP_1) | instid1(VALU_DEP_1)
	v_fma_f32 v7, -v7, v16, v17
	s_wait_alu 0xfffd
	v_div_fmas_f32 v7, v7, v8, v16
	s_delay_alu instid0(VALU_DEP_1) | instskip(NEXT) | instid1(VALU_DEP_1)
	v_div_fixup_f32 v7, v7, v14, 1.0
	v_mul_f32_e32 v16, v31, v7
	s_wait_loadcnt 0x1
	s_delay_alu instid0(VALU_DEP_1) | instskip(NEXT) | instid1(VALU_DEP_1)
	v_fma_f32 v17, v15, v16, 1.0
	v_div_scale_f32 v7, null, v17, v17, 1.0
	v_div_scale_f32 v19, vcc_lo, 1.0, v17, 1.0
	s_delay_alu instid0(VALU_DEP_2) | instskip(NEXT) | instid1(TRANS32_DEP_1)
	v_rcp_f32_e32 v8, v7
	v_fma_f32 v18, -v7, v8, 1.0
	s_delay_alu instid0(VALU_DEP_1) | instskip(NEXT) | instid1(VALU_DEP_1)
	v_fmac_f32_e32 v8, v18, v8
	v_mul_f32_e32 v18, v19, v8
	s_delay_alu instid0(VALU_DEP_1) | instskip(NEXT) | instid1(VALU_DEP_1)
	v_fma_f32 v20, -v7, v18, v19
	v_fmac_f32_e32 v18, v20, v8
	s_delay_alu instid0(VALU_DEP_1) | instskip(SKIP_1) | instid1(VALU_DEP_1)
	v_fma_f32 v7, -v7, v18, v19
	s_wait_alu 0xfffd
	v_div_fmas_f32 v18, v7, v8, v18
	v_add_co_u32 v7, vcc_lo, s10, v10
	s_wait_loadcnt 0x0
	v_mul_f32_e32 v9, v9, v0
	s_wait_alu 0xfffd
	v_add_co_ci_u32_e64 v8, null, s11, v11, vcc_lo
	v_add_nc_u32_e32 v0, s2, v6
	v_mul_f32_e32 v10, v15, v16
	v_div_fixup_f32 v11, v18, v17, 1.0
	global_store_b32 v[4:5], v9, off
	global_load_b32 v6, v[7:8], off
	v_lshlrev_b64_e32 v[0:1], 2, v[0:1]
	v_mul_f32_e32 v9, v10, v11
	v_mul_f32_e32 v11, 0xbe6e8448, v30
	s_delay_alu instid0(VALU_DEP_3) | instskip(NEXT) | instid1(VALU_DEP_3)
	v_add_co_u32 v4, vcc_lo, s8, v0
	v_mul_f32_e32 v10, v14, v9
	s_wait_alu 0xfffd
	v_add_co_ci_u32_e64 v5, null, s9, v1, vcc_lo
	v_add_co_u32 v2, vcc_lo, s12, v2
	global_store_b32 v[12:13], v10, off
	global_load_b32 v10, v[4:5], off
	s_wait_alu 0xfffd
	v_add_co_ci_u32_e64 v3, null, s13, v3, vcc_lo
	v_add_co_u32 v0, vcc_lo, s10, v0
	s_wait_alu 0xfffd
	v_add_co_ci_u32_e64 v1, null, s11, v1, vcc_lo
	global_load_b32 v2, v[2:3], off
	v_mul_f32_e32 v3, 0xb942c4c6, v30
	v_mul_f32_e32 v13, 0x3fb8aa3b, v11
	s_delay_alu instid0(VALU_DEP_2) | instskip(NEXT) | instid1(VALU_DEP_2)
	v_mul_f32_e32 v12, 0x3fb8aa3b, v3
	v_fma_f32 v15, 0x3fb8aa3b, v11, -v13
	v_rndne_f32_e32 v16, v13
	v_cmp_ngt_f32_e64 s0, 0xc2ce8ed0, v3
	s_delay_alu instid0(VALU_DEP_4)
	v_rndne_f32_e32 v14, v12
	s_wait_loadcnt 0x2
	v_dual_fmac_f32 v15, 0x32a5705f, v11 :: v_dual_mul_f32 v6, v6, v9
	v_fma_f32 v9, 0x3fb8aa3b, v3, -v12
	global_store_b32 v[7:8], v6, off
	global_load_b32 v6, v[0:1], off
	v_fmac_f32_e32 v9, 0x32a5705f, v3
	v_dual_sub_f32 v7, v12, v14 :: v_dual_sub_f32 v8, v13, v16
	v_mul_f32_e32 v12, 0x3da2d0e5, v28
	v_cvt_i32_f32_e32 v14, v14
	v_cvt_i32_f32_e32 v16, v16
	s_delay_alu instid0(VALU_DEP_4) | instskip(SKIP_3) | instid1(VALU_DEP_3)
	v_dual_add_f32 v7, v7, v9 :: v_dual_add_f32 v8, v8, v15
	s_wait_loadcnt 0x2
	v_div_scale_f32 v9, null, v10, v10, 1.0
	v_mul_f32_e32 v15, 0x3fb8aa3b, v12
	v_exp_f32_e32 v7, v7
	v_exp_f32_e32 v8, v8
	s_delay_alu instid0(VALU_DEP_2) | instskip(SKIP_3) | instid1(TRANS32_DEP_3)
	v_rcp_f32_e32 v13, v9
	v_div_scale_f32 v19, vcc_lo, 1.0, v10, 1.0
	v_fma_f32 v17, 0x3fb8aa3b, v12, -v15
	v_rndne_f32_e32 v18, v15
	v_ldexp_f32 v7, v7, v14
	s_delay_alu instid0(VALU_DEP_3) | instskip(NEXT) | instid1(TRANS32_DEP_1)
	v_fmac_f32_e32 v17, 0x32a5705f, v12
	v_fma_f32 v14, -v9, v13, 1.0
	s_delay_alu instid0(VALU_DEP_4) | instskip(NEXT) | instid1(TRANS32_DEP_2)
	v_sub_f32_e32 v15, v15, v18
	v_ldexp_f32 v8, v8, v16
	s_wait_alu 0xf1ff
	v_cndmask_b32_e64 v7, 0, v7, s0
	v_cmp_ngt_f32_e64 s0, 0xc2ce8ed0, v11
	v_fmac_f32_e32 v13, v14, v13
	v_add_f32_e32 v14, v15, v17
	v_cvt_i32_f32_e32 v16, v18
	s_wait_alu 0xf1ff
	v_cndmask_b32_e64 v8, 0, v8, s0
	v_mul_f32_e32 v15, v19, v13
	v_cmp_nlt_f32_e64 s0, 0x42b17218, v3
	v_exp_f32_e32 v14, v14
	s_wait_alu 0xf1ff
	s_delay_alu instid0(VALU_DEP_1) | instskip(SKIP_2) | instid1(VALU_DEP_3)
	v_cndmask_b32_e64 v3, 0x7f800000, v7, s0
	v_fma_f32 v7, -v9, v15, v19
	v_cmp_nlt_f32_e64 s0, 0x42b17218, v11
	v_mul_f32_e32 v3, 0xbf7b4a23, v3
	s_delay_alu instid0(VALU_DEP_3) | instskip(SKIP_1) | instid1(VALU_DEP_3)
	v_fmac_f32_e32 v15, v7, v13
	s_wait_alu 0xf1ff
	v_cndmask_b32_e64 v8, 0x7f800000, v8, s0
	s_delay_alu instid0(TRANS32_DEP_1) | instskip(SKIP_1) | instid1(VALU_DEP_3)
	v_ldexp_f32 v7, v14, v16
	v_cmp_ngt_f32_e64 s0, 0xc2ce8ed0, v12
	v_fmamk_f32 v3, v8, 0x3ffda512, v3
	v_fma_f32 v8, -v9, v15, v19
	s_wait_alu 0xf1ff
	s_delay_alu instid0(VALU_DEP_3) | instskip(SKIP_1) | instid1(VALU_DEP_2)
	v_cndmask_b32_e64 v7, 0, v7, s0
	s_wait_alu 0xfffd
	v_div_fmas_f32 v8, v8, v13, v15
	v_cmp_nlt_f32_e32 vcc_lo, 0x42b17218, v12
	s_delay_alu instid0(VALU_DEP_2) | instskip(SKIP_2) | instid1(VALU_DEP_1)
	v_div_fixup_f32 v8, v8, v10, 1.0
	s_wait_alu 0xfffd
	v_cndmask_b32_e32 v7, 0x7f800000, v7, vcc_lo
	v_add_f32_e32 v3, v7, v3
	s_delay_alu instid0(VALU_DEP_3) | instskip(NEXT) | instid1(VALU_DEP_2)
	v_mul_f32_e32 v7, v26, v8
	v_max_num_f32_e32 v3, 0x800000, v3
	s_wait_loadcnt 0x1
	s_delay_alu instid0(VALU_DEP_2) | instskip(SKIP_1) | instid1(VALU_DEP_3)
	v_mul_f32_e32 v8, v2, v7
	v_fma_f32 v2, v2, v7, 1.0
	v_cmp_gt_f32_e32 vcc_lo, 0x800000, v3
	s_delay_alu instid0(VALU_DEP_3) | instskip(NEXT) | instid1(VALU_DEP_3)
	v_max_num_f32_e32 v11, 0x800000, v8
	v_div_scale_f32 v7, null, v2, v2, 1.0
	s_wait_alu 0xfffd
	v_cndmask_b32_e64 v9, 0, 32, vcc_lo
	s_delay_alu instid0(VALU_DEP_3) | instskip(SKIP_1) | instid1(VALU_DEP_3)
	v_cmp_gt_f32_e64 s0, 0x800000, v11
	v_cndmask_b32_e64 v13, 0, 0x411a209b, vcc_lo
	v_ldexp_f32 v3, v3, v9
	s_wait_alu 0xf1ff
	s_delay_alu instid0(VALU_DEP_3) | instskip(NEXT) | instid1(VALU_DEP_2)
	v_cndmask_b32_e64 v9, 0, 32, s0
	v_log_f32_e32 v3, v3
	s_delay_alu instid0(VALU_DEP_1) | instskip(NEXT) | instid1(VALU_DEP_1)
	v_ldexp_f32 v9, v11, v9
	v_log_f32_e32 v9, v9
	s_delay_alu instid0(TRANS32_DEP_2) | instskip(SKIP_1) | instid1(VALU_DEP_2)
	v_mul_f32_e32 v11, 0x3e9a209a, v3
	v_cmp_gt_f32_e64 vcc_lo, 0x7f800000, |v3|
	v_fma_f32 v11, 0x3e9a209a, v3, -v11
	s_delay_alu instid0(TRANS32_DEP_1) | instskip(NEXT) | instid1(VALU_DEP_2)
	v_mul_f32_e32 v12, 0x3e9a209a, v9
	v_fmac_f32_e32 v11, 0x3284fbcf, v3
	s_delay_alu instid0(VALU_DEP_2) | instskip(NEXT) | instid1(VALU_DEP_2)
	v_fma_f32 v12, 0x3e9a209a, v9, -v12
	v_fmac_f32_e32 v11, 0x3e9a209a, v3
	s_wait_alu 0xfffd
	s_delay_alu instid0(VALU_DEP_1) | instskip(NEXT) | instid1(VALU_DEP_1)
	v_dual_fmac_f32 v12, 0x3284fbcf, v9 :: v_dual_cndmask_b32 v3, v3, v11
	v_fmac_f32_e32 v12, 0x3e9a209a, v9
	v_cmp_gt_f32_e64 vcc_lo, 0x7f800000, |v9|
	v_cndmask_b32_e64 v11, 0, 0x411a209b, s0
	s_delay_alu instid0(VALU_DEP_4)
	v_sub_f32_e32 v3, v3, v13
	v_rcp_f32_e32 v13, v7
	s_wait_alu 0xfffd
	v_cndmask_b32_e32 v9, v9, v12, vcc_lo
	v_div_scale_f32 v17, vcc_lo, 1.0, v2, 1.0
	v_fmaak_f32 v12, s3, v3, 0x3ecccccd
	s_delay_alu instid0(VALU_DEP_3) | instskip(SKIP_1) | instid1(TRANS32_DEP_1)
	v_sub_f32_e32 v9, v9, v11
	v_fmaak_f32 v11, s4, v3, 0x3f400000
	v_fma_f32 v15, -v7, v13, 1.0
	s_delay_alu instid0(VALU_DEP_3) | instskip(NEXT) | instid1(VALU_DEP_2)
	v_sub_f32_e32 v9, v9, v12
	v_fmac_f32_e32 v13, v15, v13
	s_delay_alu instid0(VALU_DEP_2) | instskip(NEXT) | instid1(VALU_DEP_1)
	v_fmac_f32_e32 v11, 0xbe0f5c29, v9
	v_div_scale_f32 v12, null, v11, v11, 1.0
	v_div_scale_f32 v15, s0, 1.0, v11, 1.0
	s_delay_alu instid0(VALU_DEP_2) | instskip(NEXT) | instid1(TRANS32_DEP_1)
	v_rcp_f32_e32 v14, v12
	v_fma_f32 v16, -v12, v14, 1.0
	s_delay_alu instid0(VALU_DEP_1) | instskip(SKIP_1) | instid1(VALU_DEP_2)
	v_fmac_f32_e32 v14, v16, v14
	v_mul_f32_e32 v16, v17, v13
	v_mul_f32_e32 v18, v15, v14
	s_delay_alu instid0(VALU_DEP_2) | instskip(NEXT) | instid1(VALU_DEP_2)
	v_fma_f32 v19, -v7, v16, v17
	v_fma_f32 v20, -v12, v18, v15
	s_delay_alu instid0(VALU_DEP_2) | instskip(NEXT) | instid1(VALU_DEP_2)
	v_fmac_f32_e32 v16, v19, v13
	v_fmac_f32_e32 v18, v20, v14
	s_delay_alu instid0(VALU_DEP_2) | instskip(NEXT) | instid1(VALU_DEP_2)
	v_fma_f32 v7, -v7, v16, v17
	v_fma_f32 v12, -v12, v18, v15
	s_wait_alu 0xfffd
	s_delay_alu instid0(VALU_DEP_2) | instskip(SKIP_3) | instid1(VALU_DEP_2)
	v_div_fmas_f32 v7, v7, v13, v16
	s_mov_b32 vcc_lo, s0
	s_wait_alu 0xfffe
	v_div_fmas_f32 v12, v12, v14, v18
	v_div_fixup_f32 v2, v7, v2, 1.0
	s_delay_alu instid0(VALU_DEP_2) | instskip(NEXT) | instid1(VALU_DEP_1)
	v_div_fixup_f32 v11, v12, v11, 1.0
	v_dual_mul_f32 v2, v8, v2 :: v_dual_mul_f32 v9, v9, v11
	s_delay_alu instid0(VALU_DEP_1) | instskip(NEXT) | instid1(VALU_DEP_1)
	v_fma_f32 v9, v9, v9, 1.0
	v_div_scale_f32 v11, null, v9, v9, 1.0
	v_div_scale_f32 v14, vcc_lo, 1.0, v9, 1.0
	s_delay_alu instid0(VALU_DEP_2) | instskip(NEXT) | instid1(TRANS32_DEP_1)
	v_rcp_f32_e32 v12, v11
	v_fma_f32 v13, -v11, v12, 1.0
	s_delay_alu instid0(VALU_DEP_1) | instskip(NEXT) | instid1(VALU_DEP_1)
	v_fmac_f32_e32 v12, v13, v12
	v_mul_f32_e32 v13, v14, v12
	s_delay_alu instid0(VALU_DEP_1) | instskip(NEXT) | instid1(VALU_DEP_1)
	v_fma_f32 v15, -v11, v13, v14
	v_fmac_f32_e32 v13, v15, v12
	s_delay_alu instid0(VALU_DEP_1) | instskip(SKIP_1) | instid1(VALU_DEP_1)
	v_fma_f32 v11, -v11, v13, v14
	s_wait_alu 0xfffd
	v_div_fmas_f32 v11, v11, v12, v13
	s_delay_alu instid0(VALU_DEP_1) | instskip(NEXT) | instid1(VALU_DEP_1)
	v_div_fixup_f32 v9, v11, v9, 1.0
	v_mul_f32_e32 v3, v3, v9
	s_delay_alu instid0(VALU_DEP_1) | instskip(SKIP_1) | instid1(VALU_DEP_2)
	v_mul_f32_e32 v9, 0x40549a78, v3
	v_cmp_ngt_f32_e32 vcc_lo, 0xc23369f4, v3
	v_fma_f32 v11, 0x40549a78, v3, -v9
	v_rndne_f32_e32 v12, v9
	s_delay_alu instid0(VALU_DEP_2) | instskip(NEXT) | instid1(VALU_DEP_2)
	v_fmac_f32_e32 v11, 0x33979a37, v3
	v_sub_f32_e32 v9, v9, v12
	s_delay_alu instid0(VALU_DEP_1) | instskip(SKIP_1) | instid1(VALU_DEP_2)
	v_add_f32_e32 v9, v9, v11
	v_cvt_i32_f32_e32 v11, v12
	v_exp_f32_e32 v9, v9
	s_delay_alu instid0(TRANS32_DEP_1) | instskip(SKIP_1) | instid1(VALU_DEP_1)
	v_ldexp_f32 v9, v9, v11
	s_wait_alu 0xfffd
	v_cndmask_b32_e32 v7, 0, v9, vcc_lo
	v_cmp_nlt_f32_e32 vcc_lo, 0x421a209b, v3
	s_wait_alu 0xfffd
	s_delay_alu instid0(VALU_DEP_2) | instskip(NEXT) | instid1(VALU_DEP_1)
	v_cndmask_b32_e32 v3, 0x7f800000, v7, vcc_lo
	v_mul_f32_e32 v2, v2, v3
	s_delay_alu instid0(VALU_DEP_1)
	v_mul_f32_e32 v3, v10, v2
	s_wait_loadcnt 0x0
	v_mul_f32_e32 v2, v6, v2
	global_store_b32 v[4:5], v3, off
	global_store_b32 v[0:1], v2, off
	s_endpgm
	.section	.rodata,"a",@progbits
	.p2align	6, 0x0
	.amdhsa_kernel _Z11ratx_kernelIfEvPKT_S2_PS0_S3_S2_S0_
		.amdhsa_group_segment_fixed_size 0
		.amdhsa_private_segment_fixed_size 0
		.amdhsa_kernarg_size 304
		.amdhsa_user_sgpr_count 2
		.amdhsa_user_sgpr_dispatch_ptr 0
		.amdhsa_user_sgpr_queue_ptr 0
		.amdhsa_user_sgpr_kernarg_segment_ptr 1
		.amdhsa_user_sgpr_dispatch_id 0
		.amdhsa_user_sgpr_private_segment_size 0
		.amdhsa_wavefront_size32 1
		.amdhsa_uses_dynamic_stack 0
		.amdhsa_enable_private_segment 0
		.amdhsa_system_sgpr_workgroup_id_x 1
		.amdhsa_system_sgpr_workgroup_id_y 0
		.amdhsa_system_sgpr_workgroup_id_z 0
		.amdhsa_system_sgpr_workgroup_info 0
		.amdhsa_system_vgpr_workitem_id 0
		.amdhsa_next_free_vgpr 55
		.amdhsa_next_free_sgpr 15
		.amdhsa_reserve_vcc 1
		.amdhsa_float_round_mode_32 0
		.amdhsa_float_round_mode_16_64 0
		.amdhsa_float_denorm_mode_32 3
		.amdhsa_float_denorm_mode_16_64 3
		.amdhsa_fp16_overflow 0
		.amdhsa_workgroup_processor_mode 1
		.amdhsa_memory_ordered 1
		.amdhsa_forward_progress 1
		.amdhsa_inst_pref_size 134
		.amdhsa_round_robin_scheduling 0
		.amdhsa_exception_fp_ieee_invalid_op 0
		.amdhsa_exception_fp_denorm_src 0
		.amdhsa_exception_fp_ieee_div_zero 0
		.amdhsa_exception_fp_ieee_overflow 0
		.amdhsa_exception_fp_ieee_underflow 0
		.amdhsa_exception_fp_ieee_inexact 0
		.amdhsa_exception_int_div_zero 0
	.end_amdhsa_kernel
	.section	.text._Z11ratx_kernelIfEvPKT_S2_PS0_S3_S2_S0_,"axG",@progbits,_Z11ratx_kernelIfEvPKT_S2_PS0_S3_S2_S0_,comdat
.Lfunc_end12:
	.size	_Z11ratx_kernelIfEvPKT_S2_PS0_S3_S2_S0_, .Lfunc_end12-_Z11ratx_kernelIfEvPKT_S2_PS0_S3_S2_S0_
                                        ; -- End function
	.set _Z11ratx_kernelIfEvPKT_S2_PS0_S3_S2_S0_.num_vgpr, 55
	.set _Z11ratx_kernelIfEvPKT_S2_PS0_S3_S2_S0_.num_agpr, 0
	.set _Z11ratx_kernelIfEvPKT_S2_PS0_S3_S2_S0_.numbered_sgpr, 15
	.set _Z11ratx_kernelIfEvPKT_S2_PS0_S3_S2_S0_.num_named_barrier, 0
	.set _Z11ratx_kernelIfEvPKT_S2_PS0_S3_S2_S0_.private_seg_size, 0
	.set _Z11ratx_kernelIfEvPKT_S2_PS0_S3_S2_S0_.uses_vcc, 1
	.set _Z11ratx_kernelIfEvPKT_S2_PS0_S3_S2_S0_.uses_flat_scratch, 0
	.set _Z11ratx_kernelIfEvPKT_S2_PS0_S3_S2_S0_.has_dyn_sized_stack, 0
	.set _Z11ratx_kernelIfEvPKT_S2_PS0_S3_S2_S0_.has_recursion, 0
	.set _Z11ratx_kernelIfEvPKT_S2_PS0_S3_S2_S0_.has_indirect_call, 0
	.section	.AMDGPU.csdata,"",@progbits
; Kernel info:
; codeLenInByte = 17132
; TotalNumSgprs: 17
; NumVgprs: 55
; ScratchSize: 0
; MemoryBound: 0
; FloatMode: 240
; IeeeMode: 1
; LDSByteSize: 0 bytes/workgroup (compile time only)
; SGPRBlocks: 0
; VGPRBlocks: 6
; NumSGPRsForWavesPerEU: 17
; NumVGPRsForWavesPerEU: 55
; Occupancy: 16
; WaveLimiterHint : 0
; COMPUTE_PGM_RSRC2:SCRATCH_EN: 0
; COMPUTE_PGM_RSRC2:USER_SGPR: 2
; COMPUTE_PGM_RSRC2:TRAP_HANDLER: 0
; COMPUTE_PGM_RSRC2:TGID_X_EN: 1
; COMPUTE_PGM_RSRC2:TGID_Y_EN: 0
; COMPUTE_PGM_RSRC2:TGID_Z_EN: 0
; COMPUTE_PGM_RSRC2:TIDIG_COMP_CNT: 0
	.section	.text._Z12ratxb_kernelIfEvPKT_S2_PS0_S3_S2_S0_,"axG",@progbits,_Z12ratxb_kernelIfEvPKT_S2_PS0_S3_S2_S0_,comdat
	.protected	_Z12ratxb_kernelIfEvPKT_S2_PS0_S3_S2_S0_ ; -- Begin function _Z12ratxb_kernelIfEvPKT_S2_PS0_S3_S2_S0_
	.globl	_Z12ratxb_kernelIfEvPKT_S2_PS0_S3_S2_S0_
	.p2align	8
	.type	_Z12ratxb_kernelIfEvPKT_S2_PS0_S3_S2_S0_,@function
_Z12ratxb_kernelIfEvPKT_S2_PS0_S3_S2_S0_: ; @_Z12ratxb_kernelIfEvPKT_S2_PS0_S3_S2_S0_
; %bb.0:
	s_clause 0x3
	s_load_b32 s2, s[0:1], 0x3c
	s_load_b32 s3, s[0:1], 0x30
	s_load_b256 s[4:11], s[0:1], 0x0
	s_load_b96 s[12:14], s[0:1], 0x20
	s_wait_kmcnt 0x0
	s_and_b32 s2, s2, 0xffff
	s_delay_alu instid0(SALU_CYCLE_1) | instskip(SKIP_3) | instid1(VALU_DEP_1)
	v_mad_co_u64_u32 v[0:1], null, ttmp9, s2, v[0:1]
	s_mul_i32 s2, s3, s2
	v_mov_b32_e32 v1, 0
	s_mov_b32 s3, 0x3f2b851f
	v_lshlrev_b64_e32 v[20:21], 2, v[0:1]
	s_wait_alu 0xfffe
	v_add_nc_u32_e32 v0, s2, v0
	s_delay_alu instid0(VALU_DEP_1) | instskip(SKIP_1) | instid1(VALU_DEP_4)
	v_lshlrev_b64_e32 v[2:3], 2, v[0:1]
	v_add_nc_u32_e32 v0, s2, v0
	v_add_co_u32 v4, vcc_lo, s6, v20
	s_delay_alu instid0(VALU_DEP_1) | instskip(NEXT) | instid1(VALU_DEP_3)
	v_add_co_ci_u32_e64 v5, null, s7, v21, vcc_lo
	v_lshlrev_b64_e32 v[6:7], 2, v[0:1]
	v_add_nc_u32_e32 v0, s2, v0
	v_add_co_u32 v2, vcc_lo, s6, v2
	s_wait_alu 0xfffd
	v_add_co_ci_u32_e64 v3, null, s7, v3, vcc_lo
	s_delay_alu instid0(VALU_DEP_3) | instskip(SKIP_4) | instid1(VALU_DEP_3)
	v_lshlrev_b64_e32 v[8:9], 2, v[0:1]
	v_add_nc_u32_e32 v0, s2, v0
	v_add_co_u32 v6, vcc_lo, s6, v6
	s_wait_alu 0xfffd
	v_add_co_ci_u32_e64 v7, null, s7, v7, vcc_lo
	v_lshlrev_b64_e32 v[10:11], 2, v[0:1]
	v_add_nc_u32_e32 v0, s2, v0
	v_add_co_u32 v8, vcc_lo, s6, v8
	s_wait_alu 0xfffd
	v_add_co_ci_u32_e64 v9, null, s7, v9, vcc_lo
	s_delay_alu instid0(VALU_DEP_3) | instskip(SKIP_4) | instid1(VALU_DEP_3)
	v_lshlrev_b64_e32 v[12:13], 2, v[0:1]
	v_add_nc_u32_e32 v0, s2, v0
	v_add_co_u32 v10, vcc_lo, s6, v10
	s_wait_alu 0xfffd
	v_add_co_ci_u32_e64 v11, null, s7, v11, vcc_lo
	v_lshlrev_b64_e32 v[14:15], 2, v[0:1]
	v_add_nc_u32_e32 v0, s2, v0
	v_add_co_u32 v12, vcc_lo, s6, v12
	s_wait_alu 0xfffd
	v_add_co_ci_u32_e64 v13, null, s7, v13, vcc_lo
	s_delay_alu instid0(VALU_DEP_4)
	v_add_co_u32 v28, vcc_lo, s6, v14
	v_lshlrev_b64_e32 v[16:17], 2, v[0:1]
	v_add_nc_u32_e32 v0, s2, v0
	s_wait_alu 0xfffd
	v_add_co_ci_u32_e64 v29, null, s7, v15, vcc_lo
	s_clause 0x6
	global_load_b32 v46, v[4:5], off
	global_load_b32 v36, v[2:3], off
	;; [unrolled: 1-line block ×7, first 2 shown]
	v_lshlrev_b64_e32 v[14:15], 2, v[0:1]
	v_add_nc_u32_e32 v0, s2, v0
	v_add_co_u32 v16, vcc_lo, s6, v16
	s_wait_alu 0xfffd
	v_add_co_ci_u32_e64 v17, null, s7, v17, vcc_lo
	s_delay_alu instid0(VALU_DEP_3) | instskip(SKIP_4) | instid1(VALU_DEP_3)
	v_lshlrev_b64_e32 v[26:27], 2, v[0:1]
	v_add_nc_u32_e32 v0, s2, v0
	v_add_co_u32 v2, vcc_lo, s6, v14
	s_wait_alu 0xfffd
	v_add_co_ci_u32_e64 v3, null, s7, v15, vcc_lo
	v_lshlrev_b64_e32 v[22:23], 2, v[0:1]
	v_add_nc_u32_e32 v0, s2, v0
	v_add_co_u32 v4, vcc_lo, s6, v26
	global_load_b32 v25, v[16:17], off
	s_wait_alu 0xfffd
	v_add_co_ci_u32_e64 v5, null, s7, v27, vcc_lo
	v_lshlrev_b64_e32 v[14:15], 2, v[0:1]
	v_add_nc_u32_e32 v0, s2, v0
	v_add_co_u32 v34, vcc_lo, s6, v22
	s_wait_alu 0xfffd
	v_add_co_ci_u32_e64 v35, null, s7, v23, vcc_lo
	s_delay_alu instid0(VALU_DEP_3) | instskip(SKIP_4) | instid1(VALU_DEP_3)
	v_lshlrev_b64_e32 v[32:33], 2, v[0:1]
	v_add_nc_u32_e32 v0, s2, v0
	v_add_co_u32 v6, vcc_lo, s6, v14
	s_wait_alu 0xfffd
	v_add_co_ci_u32_e64 v7, null, s7, v15, vcc_lo
	v_lshlrev_b64_e32 v[30:31], 2, v[0:1]
	v_add_co_u32 v8, vcc_lo, s6, v32
	s_wait_alu 0xfffd
	v_add_co_ci_u32_e64 v9, null, s7, v33, vcc_lo
	s_delay_alu instid0(VALU_DEP_3)
	v_add_co_u32 v47, vcc_lo, s6, v30
	s_wait_alu 0xfffd
	v_add_co_ci_u32_e64 v48, null, s7, v31, vcc_lo
	s_clause 0x5
	global_load_b32 v57, v[2:3], off
	global_load_b32 v13, v[4:5], off
	;; [unrolled: 1-line block ×6, first 2 shown]
	v_add_nc_u32_e32 v0, s2, v0
	s_delay_alu instid0(VALU_DEP_1) | instskip(SKIP_1) | instid1(VALU_DEP_1)
	v_lshlrev_b64_e32 v[18:19], 2, v[0:1]
	v_add_nc_u32_e32 v0, s2, v0
	v_lshlrev_b64_e32 v[10:11], 2, v[0:1]
	v_add_nc_u32_e32 v0, s2, v0
	s_delay_alu instid0(VALU_DEP_4) | instskip(SKIP_2) | instid1(VALU_DEP_3)
	v_add_co_u32 v2, vcc_lo, s6, v18
	s_wait_alu 0xfffd
	v_add_co_ci_u32_e64 v3, null, s7, v19, vcc_lo
	v_lshlrev_b64_e32 v[4:5], 2, v[0:1]
	v_add_nc_u32_e32 v0, s2, v0
	v_add_co_u32 v38, vcc_lo, s6, v10
	s_wait_alu 0xfffd
	v_add_co_ci_u32_e64 v39, null, s7, v11, vcc_lo
	s_delay_alu instid0(VALU_DEP_3) | instskip(SKIP_4) | instid1(VALU_DEP_4)
	v_lshlrev_b64_e32 v[8:9], 2, v[0:1]
	v_add_co_u32 v4, vcc_lo, s6, v4
	v_add_nc_u32_e32 v0, s2, v0
	s_wait_alu 0xfffd
	v_add_co_ci_u32_e64 v5, null, s7, v5, vcc_lo
	v_add_co_u32 v42, vcc_lo, s6, v8
	s_wait_alu 0xfffd
	v_add_co_ci_u32_e64 v43, null, s7, v9, vcc_lo
	v_lshlrev_b64_e32 v[6:7], 2, v[0:1]
	v_add_nc_u32_e32 v0, s2, v0
	s_clause 0x3
	global_load_b32 v17, v[2:3], off
	global_load_b32 v24, v[38:39], off
	;; [unrolled: 1-line block ×4, first 2 shown]
	v_lshlrev_b64_e32 v[4:5], 2, v[0:1]
	v_add_nc_u32_e32 v0, s2, v0
	v_add_co_u32 v38, vcc_lo, s6, v6
	s_wait_alu 0xfffd
	v_add_co_ci_u32_e64 v39, null, s7, v7, vcc_lo
	s_delay_alu instid0(VALU_DEP_4)
	v_add_co_u32 v49, vcc_lo, s6, v4
	v_lshlrev_b64_e32 v[2:3], 2, v[0:1]
	v_add_nc_u32_e32 v0, s2, v0
	s_wait_alu 0xfffd
	v_add_co_ci_u32_e64 v50, null, s7, v5, vcc_lo
	s_clause 0x1
	global_load_b32 v61, v[38:39], off
	global_load_b32 v62, v[49:50], off
	v_lshlrev_b64_e32 v[38:39], 2, v[0:1]
	v_add_co_u32 v42, vcc_lo, s6, v2
	s_wait_alu 0xfffd
	v_add_co_ci_u32_e64 v43, null, s7, v3, vcc_lo
	v_mad_co_u64_u32 v[51:52], null, 0xffffffef, s2, v[0:1]
	s_delay_alu instid0(VALU_DEP_4)
	v_add_co_u32 v38, vcc_lo, s6, v38
	s_wait_alu 0xfffd
	v_add_co_ci_u32_e64 v39, null, s7, v39, vcc_lo
	s_clause 0x1
	global_load_b32 v43, v[42:43], off
	global_load_b32 v63, v[38:39], off
	v_mov_b32_e32 v52, v1
	s_delay_alu instid0(VALU_DEP_1) | instskip(NEXT) | instid1(VALU_DEP_1)
	v_lshlrev_b64_e32 v[52:53], 2, v[51:52]
	v_add_co_u32 v54, vcc_lo, s8, v52
	s_wait_alu 0xfffd
	s_delay_alu instid0(VALU_DEP_2)
	v_add_co_ci_u32_e64 v55, null, s9, v53, vcc_lo
	global_load_b32 v0, v[54:55], off
	global_load_b32 v42, v[28:29], off
	s_wait_loadcnt 0x17
	v_add_f32_e32 v28, 0, v46
	s_wait_loadcnt 0x16
	s_delay_alu instid0(VALU_DEP_1) | instskip(SKIP_1) | instid1(VALU_DEP_1)
	v_add_f32_e32 v28, v28, v36
	s_wait_loadcnt 0x15
	v_add_f32_e32 v28, v28, v40
	s_clause 0x2
	global_load_b32 v40, v[34:35], off
	global_load_b32 v38, v[49:50], off
	;; [unrolled: 1-line block ×3, first 2 shown]
	s_wait_loadcnt 0x17
	v_add_f32_e32 v28, v28, v41
	s_wait_loadcnt 0x16
	s_delay_alu instid0(VALU_DEP_1) | instskip(SKIP_1) | instid1(VALU_DEP_1)
	v_add_f32_e32 v28, v28, v45
	s_wait_loadcnt 0x15
	v_add_f32_e32 v28, v28, v44
	s_wait_loadcnt 0x14
	s_delay_alu instid0(VALU_DEP_1) | instskip(SKIP_1) | instid1(VALU_DEP_1)
	v_add_f32_e32 v28, v28, v56
	;; [unrolled: 5-line block ×9, first 2 shown]
	s_wait_loadcnt 0x5
	v_add_f32_e32 v39, v25, v63
	s_delay_alu instid0(VALU_DEP_1) | instskip(SKIP_1) | instid1(VALU_DEP_2)
	v_sub_f32_e32 v25, v39, v46
	v_fmamk_f32 v43, v46, 0x3fb33333, v39
	v_sub_f32_e32 v25, v25, v44
	s_delay_alu instid0(VALU_DEP_2) | instskip(NEXT) | instid1(VALU_DEP_2)
	v_fmamk_f32 v43, v44, 0x41666666, v43
	v_add_f32_e32 v25, v25, v13
	s_delay_alu instid0(VALU_DEP_2) | instskip(NEXT) | instid1(VALU_DEP_1)
	v_add_f32_e32 v43, v13, v43
	v_dual_sub_f32 v60, v25, v37 :: v_dual_fmac_f32 v43, 0x3f400000, v12
	s_delay_alu instid0(VALU_DEP_1) | instskip(NEXT) | instid1(VALU_DEP_1)
	v_dual_fmac_f32 v60, 2.0, v24 :: v_dual_fmamk_f32 v47, v37, 0x40266666, v43
	v_fmac_f32_e32 v60, 2.0, v16
	s_delay_alu instid0(VALU_DEP_1) | instskip(NEXT) | instid1(VALU_DEP_1)
	v_dual_fmac_f32 v47, 2.0, v24 :: v_dual_fmac_f32 v60, 2.0, v17
	v_fmac_f32_e32 v47, 2.0, v16
	s_wait_loadcnt 0x4
	s_delay_alu instid0(VALU_DEP_2) | instskip(SKIP_1) | instid1(VALU_DEP_3)
	v_mul_f32_e32 v25, v60, v0
	v_lshl_add_u32 v0, s2, 2, v51
	v_fmac_f32_e32 v47, 2.0, v17
	s_delay_alu instid0(VALU_DEP_2) | instskip(NEXT) | instid1(VALU_DEP_1)
	v_lshlrev_b64_e32 v[50:51], 2, v[0:1]
	v_add_co_u32 v28, vcc_lo, s8, v50
	s_wait_alu 0xfffd
	s_delay_alu instid0(VALU_DEP_2)
	v_add_co_ci_u32_e64 v29, null, s9, v51, vcc_lo
	v_add_co_u32 v34, vcc_lo, s6, v52
	s_wait_alu 0xfffd
	v_add_co_ci_u32_e64 v35, null, s7, v53, vcc_lo
	global_load_b32 v48, v[34:35], off
	v_dual_fmamk_f32 v34, v46, 0xbe8a3d71, v39 :: v_dual_mul_f32 v25, v25, v36
	s_delay_alu instid0(VALU_DEP_1) | instskip(NEXT) | instid1(VALU_DEP_2)
	v_fmamk_f32 v34, v44, 0x4029999a, v34
	v_mul_f32_e32 v25, v36, v25
	s_delay_alu instid0(VALU_DEP_2)
	v_add_f32_e32 v49, v13, v34
	global_store_b32 v[54:55], v25, off
	global_load_b32 v25, v[28:29], off
	v_mad_co_u64_u32 v[54:55], null, s2, -6, v[0:1]
	v_fmac_f32_e32 v49, 2.0, v24
	v_mov_b32_e32 v55, v1
	s_delay_alu instid0(VALU_DEP_2) | instskip(NEXT) | instid1(VALU_DEP_2)
	v_fmac_f32_e32 v49, 2.0, v16
	v_lshlrev_b64_e32 v[34:35], 2, v[54:55]
	v_add_co_u32 v55, vcc_lo, s8, v26
	s_wait_alu 0xfffd
	v_add_co_ci_u32_e64 v56, null, s9, v27, vcc_lo
	v_fmac_f32_e32 v49, 2.0, v17
	s_delay_alu instid0(VALU_DEP_4) | instskip(SKIP_4) | instid1(VALU_DEP_1)
	v_add_co_u32 v34, vcc_lo, s6, v34
	s_wait_alu 0xfffd
	v_add_co_ci_u32_e64 v35, null, s7, v35, vcc_lo
	s_wait_loadcnt 0x0
	v_dual_mul_f32 v0, v49, v25 :: v_dual_add_f32 v25, v39, v46
	v_mul_f32_e32 v0, v36, v0
	s_delay_alu instid0(VALU_DEP_1) | instskip(SKIP_4) | instid1(VALU_DEP_1)
	v_mul_f32_e32 v0, v48, v0
	global_store_b32 v[28:29], v0, off
	global_load_b32 v0, v[55:56], off
	global_load_b32 v61, v[34:35], off
	v_fmamk_f32 v28, v44, 0x40a00000, v25
	v_dual_fmac_f32 v25, 0x40a00000, v41 :: v_dual_add_f32 v28, v13, v28
	s_delay_alu instid0(VALU_DEP_1) | instskip(NEXT) | instid1(VALU_DEP_1)
	v_fmac_f32_e32 v25, 0x40a00000, v44
	v_add_f32_e32 v13, v13, v25
	s_delay_alu instid0(VALU_DEP_1) | instskip(NEXT) | instid1(VALU_DEP_1)
	v_fmac_f32_e32 v13, 0.5, v12
	v_fmamk_f32 v43, v37, 0x40200000, v13
	s_delay_alu instid0(VALU_DEP_1) | instskip(NEXT) | instid1(VALU_DEP_1)
	v_fmac_f32_e32 v43, 2.0, v24
	v_fmac_f32_e32 v43, 2.0, v16
	s_delay_alu instid0(VALU_DEP_1) | instskip(NEXT) | instid1(VALU_DEP_1)
	v_dual_fmac_f32 v43, 2.0, v17 :: v_dual_fmac_f32 v28, 0.5, v12
	v_add_f32_e32 v34, v37, v28
	v_add_co_u32 v28, vcc_lo, s8, v22
	s_wait_alu 0xfffd
	v_add_co_ci_u32_e64 v29, null, s9, v23, vcc_lo
	s_delay_alu instid0(VALU_DEP_3) | instskip(NEXT) | instid1(VALU_DEP_1)
	v_fmac_f32_e32 v34, 2.0, v24
	v_fma_f32 v35, 2.0, v16, v34
	s_delay_alu instid0(VALU_DEP_1) | instskip(SKIP_1) | instid1(VALU_DEP_1)
	v_fmac_f32_e32 v35, 2.0, v17
	s_wait_loadcnt 0x1
	v_mul_f32_e32 v0, v35, v0
	s_wait_loadcnt 0x0
	s_delay_alu instid0(VALU_DEP_1) | instskip(NEXT) | instid1(VALU_DEP_1)
	v_mul_f32_e32 v0, v0, v61
	v_mul_f32_e32 v0, v36, v0
	global_store_b32 v[55:56], v0, off
	global_load_b32 v0, v[28:29], off
	v_add_co_u32 v55, vcc_lo, s8, v14
	s_wait_alu 0xfffd
	v_add_co_ci_u32_e64 v56, null, s9, v15, vcc_lo
	s_delay_alu instid0(VALU_DEP_2) | instskip(SKIP_3) | instid1(VALU_DEP_1)
	v_mad_co_u64_u32 v[57:58], null, s2, 26, v[54:55]
	v_mov_b32_e32 v58, v1
	s_wait_loadcnt 0x0
	v_mul_f32_e32 v0, v47, v0
	v_mul_f32_e32 v0, v61, v0
	s_delay_alu instid0(VALU_DEP_1) | instskip(SKIP_3) | instid1(VALU_DEP_1)
	v_mul_f32_e32 v0, v61, v0
	global_store_b32 v[28:29], v0, off
	global_load_b32 v0, v[55:56], off
	v_sub_f32_e32 v28, v39, v41
	v_sub_f32_e32 v28, v28, v44
	s_delay_alu instid0(VALU_DEP_1) | instskip(NEXT) | instid1(VALU_DEP_1)
	v_fmamk_f32 v28, v12, 0xbe800000, v28
	v_fmac_f32_e32 v28, 0.5, v37
	s_delay_alu instid0(VALU_DEP_1) | instskip(NEXT) | instid1(VALU_DEP_1)
	v_fmac_f32_e32 v28, 0.5, v24
	v_sub_f32_e32 v45, v28, v63
	v_lshlrev_b64_e32 v[28:29], 2, v[57:58]
	s_delay_alu instid0(VALU_DEP_2) | instskip(NEXT) | instid1(VALU_DEP_2)
	v_fmac_f32_e32 v45, 2.0, v16
	v_add_co_u32 v58, vcc_lo, s8, v28
	s_wait_alu 0xfffd
	s_delay_alu instid0(VALU_DEP_3) | instskip(NEXT) | instid1(VALU_DEP_3)
	v_add_co_ci_u32_e64 v59, null, s9, v29, vcc_lo
	v_fmac_f32_e32 v45, 2.0, v17
	s_delay_alu instid0(VALU_DEP_3) | instskip(SKIP_1) | instid1(VALU_DEP_1)
	v_mad_co_u64_u32 v[16:17], null, s2, 17, v[57:58]
	v_mov_b32_e32 v17, v1
	v_lshlrev_b64_e32 v[24:25], 2, v[16:17]
	s_wait_loadcnt 0x0
	v_mul_f32_e32 v0, v45, v0
	s_delay_alu instid0(VALU_DEP_1) | instskip(NEXT) | instid1(VALU_DEP_1)
	v_mul_f32_e32 v0, v36, v0
	v_mul_f32_e32 v0, v41, v0
	global_store_b32 v[55:56], v0, off
	global_load_b32 v0, v[58:59], off
	v_mad_co_u64_u32 v[54:55], null, 0x4b, s2, v[16:17]
	v_mov_b32_e32 v55, v1
	s_delay_alu instid0(VALU_DEP_1) | instskip(SKIP_2) | instid1(VALU_DEP_1)
	v_lshlrev_b64_e32 v[16:17], 2, v[54:55]
	s_wait_loadcnt 0x0
	v_mul_f32_e32 v0, v43, v0
	v_mul_f32_e32 v0, v12, v0
	v_add_co_u32 v12, vcc_lo, s8, v24
	s_wait_alu 0xfffd
	v_add_co_ci_u32_e64 v13, null, s9, v25, vcc_lo
	s_delay_alu instid0(VALU_DEP_3)
	v_mul_f32_e32 v0, v61, v0
	v_add_co_u32 v55, vcc_lo, s8, v16
	s_wait_alu 0xfffd
	v_add_co_ci_u32_e64 v56, null, s9, v17, vcc_lo
	global_store_b32 v[58:59], v0, off
	global_load_b32 v0, v[12:13], off
	s_wait_loadcnt 0x0
	v_mul_f32_e32 v0, v35, v0
	global_store_b32 v[12:13], v0, off
	global_load_b32 v0, v[55:56], off
	v_add_co_u32 v12, vcc_lo, s6, v50
	s_wait_alu 0xfffd
	v_add_co_ci_u32_e64 v13, null, s7, v51, vcc_lo
	s_mul_i32 s6, s2, 5
	v_add_co_u32 v50, s1, s10, v50
	global_load_b32 v57, v[12:13], off
	s_wait_alu 0xf1ff
	v_add_co_ci_u32_e64 v51, null, s11, v51, s1
	s_wait_loadcnt 0x1
	v_mul_f32_e32 v12, v39, v0
	s_wait_alu 0xfffe
	v_add_nc_u32_e32 v0, s6, v54
	s_delay_alu instid0(VALU_DEP_2) | instskip(NEXT) | instid1(VALU_DEP_2)
	v_mul_f32_e32 v54, v12, v64
	v_lshlrev_b64_e32 v[12:13], 2, v[0:1]
	s_wait_loadcnt 0x0
	s_delay_alu instid0(VALU_DEP_2) | instskip(NEXT) | instid1(VALU_DEP_2)
	v_mul_f32_e32 v54, v54, v57
	v_add_co_u32 v57, vcc_lo, s8, v12
	s_wait_alu 0xfffd
	s_delay_alu instid0(VALU_DEP_3)
	v_add_co_ci_u32_e64 v58, null, s9, v13, vcc_lo
	global_store_b32 v[55:56], v54, off
	v_add_co_u32 v32, vcc_lo, s12, v32
	global_load_b32 v54, v[57:58], off
	s_wait_alu 0xfffd
	v_add_co_ci_u32_e64 v33, null, s13, v33, vcc_lo
	v_add_co_u32 v20, vcc_lo, s4, v20
	s_wait_alu 0xfffd
	v_add_co_ci_u32_e64 v21, null, s5, v21, vcc_lo
	global_load_b32 v55, v[32:33], off
	global_load_b32 v32, v[20:21], off
	v_add_co_u32 v20, vcc_lo, s10, v52
	s_wait_alu 0xfffd
	v_add_co_ci_u32_e64 v21, null, s11, v53, vcc_lo
	s_mov_b32 s4, 0xbfa28f5c
	global_load_b32 v52, v[20:21], off
	s_wait_loadcnt 0x3
	v_div_scale_f32 v33, null, v54, v54, 1.0
	v_div_scale_f32 v59, vcc_lo, 1.0, v54, 1.0
	s_delay_alu instid0(VALU_DEP_2) | instskip(NEXT) | instid1(TRANS32_DEP_1)
	v_rcp_f32_e32 v53, v33
	v_fma_f32 v56, -v33, v53, 1.0
	s_wait_loadcnt 0x0
	v_mul_f32_e32 v52, v60, v52
	s_delay_alu instid0(VALU_DEP_1) | instskip(NEXT) | instid1(VALU_DEP_1)
	v_dual_fmac_f32 v53, v56, v53 :: v_dual_mul_f32 v46, v46, v52
	v_mul_f32_e32 v56, v59, v53
	global_store_b32 v[20:21], v46, off
	global_load_b32 v46, v[50:51], off
	v_fma_f32 v61, -v33, v56, v59
	s_delay_alu instid0(VALU_DEP_1) | instskip(NEXT) | instid1(VALU_DEP_1)
	v_fmac_f32_e32 v56, v61, v53
	v_fma_f32 v33, -v33, v56, v59
	s_wait_alu 0xfffd
	s_delay_alu instid0(VALU_DEP_1) | instskip(NEXT) | instid1(VALU_DEP_1)
	v_div_fmas_f32 v33, v33, v53, v56
	v_div_fixup_f32 v33, v33, v54, 1.0
	s_delay_alu instid0(VALU_DEP_1) | instskip(SKIP_1) | instid1(VALU_DEP_2)
	v_mul_f32_e32 v53, v35, v33
	v_mul_f32_e32 v33, s14, v32
	v_fma_f32 v56, v55, v53, 1.0
	s_delay_alu instid0(VALU_DEP_2) | instskip(SKIP_1) | instid1(VALU_DEP_3)
	v_div_scale_f32 v59, null, v33, v33, 1.0
	v_mul_f32_e32 v55, v55, v53
	v_div_scale_f32 v32, null, v56, v56, 1.0
	s_delay_alu instid0(VALU_DEP_3) | instskip(SKIP_1) | instid1(VALU_DEP_2)
	v_rcp_f32_e32 v62, v59
	v_div_scale_f32 v65, vcc_lo, 1.0, v56, 1.0
	v_rcp_f32_e32 v61, v32
	s_delay_alu instid0(TRANS32_DEP_2) | instskip(NEXT) | instid1(TRANS32_DEP_1)
	v_fma_f32 v64, -v59, v62, 1.0
	v_fma_f32 v63, -v32, v61, 1.0
	s_delay_alu instid0(VALU_DEP_1) | instskip(SKIP_1) | instid1(VALU_DEP_2)
	v_dual_fmac_f32 v62, v64, v62 :: v_dual_fmac_f32 v61, v63, v61
	v_div_scale_f32 v63, s0, 1.0, v33, 1.0
	v_mul_f32_e32 v64, v65, v61
	s_delay_alu instid0(VALU_DEP_2) | instskip(NEXT) | instid1(VALU_DEP_2)
	v_mul_f32_e32 v66, v63, v62
	v_fma_f32 v67, -v32, v64, v65
	s_delay_alu instid0(VALU_DEP_2) | instskip(NEXT) | instid1(VALU_DEP_2)
	v_fma_f32 v68, -v59, v66, v63
	v_fmac_f32_e32 v64, v67, v61
	s_delay_alu instid0(VALU_DEP_2) | instskip(NEXT) | instid1(VALU_DEP_2)
	v_fmac_f32_e32 v66, v68, v62
	v_fma_f32 v32, -v32, v64, v65
	v_mul_f32_e32 v65, 0xb9a3d70a, v33
	s_delay_alu instid0(VALU_DEP_3) | instskip(SKIP_1) | instid1(VALU_DEP_3)
	v_fma_f32 v59, -v59, v66, v63
	s_wait_alu 0xfffd
	v_div_fmas_f32 v61, v32, v61, v64
	s_mov_b32 vcc_lo, s0
	s_wait_alu 0xfffe
	v_div_fmas_f32 v32, v59, v62, v66
	v_mul_f32_e32 v59, 0xba1991ec, v33
	v_mul_f32_e32 v62, 0x3fb8aa3b, v65
	v_cmp_ngt_f32_e32 vcc_lo, 0xc2ce8ed0, v65
	v_div_fixup_f32 v56, v61, v56, 1.0
	v_div_fixup_f32 v32, v32, v33, 1.0
	v_mul_f32_e32 v63, 0x3fb8aa3b, v59
	v_fma_f32 v64, 0x3fb8aa3b, v65, -v62
	v_rndne_f32_e32 v66, v62
	s_delay_alu instid0(VALU_DEP_4) | instskip(NEXT) | instid1(VALU_DEP_4)
	v_mul_f32_e32 v67, 0xc5811800, v32
	v_fma_f32 v68, 0x3fb8aa3b, v59, -v63
	v_rndne_f32_e32 v69, v63
	v_fmac_f32_e32 v64, 0x32a5705f, v65
	v_sub_f32_e32 v62, v62, v66
	v_mul_f32_e32 v70, 0x3fb8aa3b, v67
	s_delay_alu instid0(VALU_DEP_4) | instskip(SKIP_1) | instid1(VALU_DEP_4)
	v_dual_fmac_f32 v68, 0x32a5705f, v59 :: v_dual_sub_f32 v63, v63, v69
	v_cvt_i32_f32_e32 v66, v66
	v_add_f32_e32 v62, v62, v64
	s_delay_alu instid0(VALU_DEP_4) | instskip(SKIP_2) | instid1(VALU_DEP_4)
	v_fma_f32 v64, 0x3fb8aa3b, v67, -v70
	v_rndne_f32_e32 v71, v70
	v_add_f32_e32 v63, v63, v68
	v_exp_f32_e32 v62, v62
	s_delay_alu instid0(VALU_DEP_3) | instskip(NEXT) | instid1(VALU_DEP_3)
	v_fmac_f32_e32 v64, 0x32a5705f, v67
	v_sub_f32_e32 v68, v70, v71
	s_delay_alu instid0(VALU_DEP_3) | instskip(NEXT) | instid1(VALU_DEP_1)
	v_exp_f32_e32 v63, v63
	v_add_f32_e32 v64, v68, v64
	v_cvt_i32_f32_e32 v68, v69
	s_delay_alu instid0(TRANS32_DEP_2) | instskip(SKIP_1) | instid1(VALU_DEP_4)
	v_ldexp_f32 v62, v62, v66
	v_cvt_i32_f32_e32 v66, v71
	v_exp_f32_e32 v64, v64
	s_delay_alu instid0(TRANS32_DEP_2) | instid1(VALU_DEP_3)
	v_ldexp_f32 v63, v63, v68
	s_wait_alu 0xfffd
	v_cndmask_b32_e32 v62, 0, v62, vcc_lo
	v_cmp_ngt_f32_e32 vcc_lo, 0xc2ce8ed0, v59
	s_wait_alu 0xfffd
	v_cndmask_b32_e32 v63, 0, v63, vcc_lo
	v_cmp_nlt_f32_e32 vcc_lo, 0x42b17218, v65
	s_delay_alu instid0(TRANS32_DEP_1) | instskip(SKIP_3) | instid1(VALU_DEP_2)
	v_ldexp_f32 v64, v64, v66
	s_wait_alu 0xfffd
	v_cndmask_b32_e32 v62, 0x7f800000, v62, vcc_lo
	v_cmp_nlt_f32_e32 vcc_lo, 0x42b17218, v59
	v_mul_f32_e32 v62, 0x3eac8b44, v62
	s_wait_alu 0xfffd
	v_cndmask_b32_e32 v59, 0x7f800000, v63, vcc_lo
	v_cmp_ngt_f32_e32 vcc_lo, 0xc2ce8ed0, v67
	s_delay_alu instid0(VALU_DEP_2) | instskip(SKIP_4) | instid1(VALU_DEP_2)
	v_fmamk_f32 v59, v59, 0x3f29ba5e, v62
	s_wait_alu 0xfffd
	v_cndmask_b32_e32 v63, 0, v64, vcc_lo
	v_cmp_nlt_f32_e32 vcc_lo, 0x42b17218, v67
	s_wait_alu 0xfffd
	v_cndmask_b32_e32 v62, 0x7f800000, v63, vcc_lo
	s_delay_alu instid0(VALU_DEP_1) | instskip(SKIP_1) | instid1(VALU_DEP_2)
	v_add_f32_e32 v53, v62, v59
	v_max_num_f32_e32 v59, 0x800000, v55
	v_max_num_f32_e32 v53, 0x800000, v53
	s_delay_alu instid0(VALU_DEP_2) | instskip(NEXT) | instid1(VALU_DEP_2)
	v_cmp_gt_f32_e32 vcc_lo, 0x800000, v59
	v_cmp_gt_f32_e64 s0, 0x800000, v53
	s_wait_alu 0xfffd
	v_cndmask_b32_e64 v62, 0, 32, vcc_lo
	v_cndmask_b32_e64 v52, 0, 0x411a209b, vcc_lo
	s_wait_alu 0xf1ff
	v_cndmask_b32_e64 v63, 0, 32, s0
	s_delay_alu instid0(VALU_DEP_3) | instskip(SKIP_1) | instid1(VALU_DEP_3)
	v_ldexp_f32 v59, v59, v62
	v_cndmask_b32_e64 v20, 0, 0x411a209b, s0
	v_ldexp_f32 v53, v53, v63
	s_delay_alu instid0(VALU_DEP_3) | instskip(NEXT) | instid1(VALU_DEP_1)
	v_log_f32_e32 v59, v59
	v_log_f32_e32 v53, v53
	s_delay_alu instid0(TRANS32_DEP_2) | instskip(SKIP_1) | instid1(TRANS32_DEP_1)
	v_mul_f32_e32 v62, 0x3e9a209a, v59
	v_cmp_gt_f32_e64 vcc_lo, 0x7f800000, |v59|
	v_mul_f32_e32 v63, 0x3e9a209a, v53
	s_delay_alu instid0(VALU_DEP_3) | instskip(SKIP_1) | instid1(VALU_DEP_3)
	v_fma_f32 v60, 0x3e9a209a, v59, -v62
	v_cmp_gt_f32_e64 s0, 0x7f800000, |v53|
	v_fma_f32 v62, 0x3e9a209a, v53, -v63
	s_delay_alu instid0(VALU_DEP_3) | instskip(NEXT) | instid1(VALU_DEP_2)
	v_fmac_f32_e32 v60, 0x3284fbcf, v59
	v_fmac_f32_e32 v62, 0x3284fbcf, v53
	s_delay_alu instid0(VALU_DEP_2) | instskip(NEXT) | instid1(VALU_DEP_2)
	v_fmac_f32_e32 v60, 0x3e9a209a, v59
	v_fmac_f32_e32 v62, 0x3e9a209a, v53
	s_wait_alu 0xf1ff
	s_delay_alu instid0(VALU_DEP_1) | instskip(SKIP_2) | instid1(VALU_DEP_2)
	v_cndmask_b32_e64 v21, v53, v62, s0
	s_wait_alu 0xfffd
	v_cndmask_b32_e32 v53, v59, v60, vcc_lo
	v_sub_f32_e32 v20, v21, v20
	s_delay_alu instid0(VALU_DEP_2) | instskip(NEXT) | instid1(VALU_DEP_2)
	v_sub_f32_e32 v21, v53, v52
	v_fmaak_f32 v52, s3, v20, 0x3ecccccd
	v_fmaak_f32 v53, s4, v20, 0x3f400000
	s_delay_alu instid0(VALU_DEP_2) | instskip(NEXT) | instid1(VALU_DEP_1)
	v_sub_f32_e32 v21, v21, v52
	v_fmac_f32_e32 v53, 0xbe0f5c29, v21
	s_delay_alu instid0(VALU_DEP_1) | instskip(SKIP_1) | instid1(VALU_DEP_2)
	v_div_scale_f32 v52, null, v53, v53, 1.0
	v_div_scale_f32 v62, vcc_lo, 1.0, v53, 1.0
	v_rcp_f32_e32 v59, v52
	s_delay_alu instid0(TRANS32_DEP_1) | instskip(NEXT) | instid1(VALU_DEP_1)
	v_fma_f32 v60, -v52, v59, 1.0
	v_fmac_f32_e32 v59, v60, v59
	s_delay_alu instid0(VALU_DEP_1) | instskip(NEXT) | instid1(VALU_DEP_1)
	v_mul_f32_e32 v60, v62, v59
	v_fma_f32 v63, -v52, v60, v62
	s_delay_alu instid0(VALU_DEP_1) | instskip(NEXT) | instid1(VALU_DEP_1)
	v_fmac_f32_e32 v60, v63, v59
	v_fma_f32 v52, -v52, v60, v62
	s_wait_alu 0xfffd
	s_delay_alu instid0(VALU_DEP_1) | instskip(NEXT) | instid1(VALU_DEP_1)
	v_div_fmas_f32 v52, v52, v59, v60
	v_div_fixup_f32 v52, v52, v53, 1.0
	s_delay_alu instid0(VALU_DEP_1) | instskip(NEXT) | instid1(VALU_DEP_1)
	v_mul_f32_e32 v21, v21, v52
	v_fma_f32 v21, v21, v21, 1.0
	s_delay_alu instid0(VALU_DEP_1) | instskip(SKIP_1) | instid1(VALU_DEP_2)
	v_div_scale_f32 v52, null, v21, v21, 1.0
	v_div_scale_f32 v60, vcc_lo, 1.0, v21, 1.0
	v_rcp_f32_e32 v53, v52
	s_delay_alu instid0(TRANS32_DEP_1) | instskip(NEXT) | instid1(VALU_DEP_1)
	v_fma_f32 v59, -v52, v53, 1.0
	v_fmac_f32_e32 v53, v59, v53
	s_delay_alu instid0(VALU_DEP_1) | instskip(NEXT) | instid1(VALU_DEP_1)
	v_mul_f32_e32 v59, v60, v53
	v_fma_f32 v62, -v52, v59, v60
	s_delay_alu instid0(VALU_DEP_1) | instskip(NEXT) | instid1(VALU_DEP_1)
	v_fmac_f32_e32 v59, v62, v53
	v_fma_f32 v52, -v52, v59, v60
	s_wait_alu 0xfffd
	s_delay_alu instid0(VALU_DEP_1) | instskip(SKIP_1) | instid1(VALU_DEP_2)
	v_div_fmas_f32 v52, v52, v53, v59
	v_mul_f32_e32 v59, 0xc5be7800, v32
	v_div_fixup_f32 v21, v52, v21, 1.0
	s_delay_alu instid0(VALU_DEP_2) | instskip(NEXT) | instid1(VALU_DEP_1)
	v_mul_f32_e32 v60, 0x3fb8aa3b, v59
	v_fma_f32 v61, 0x3fb8aa3b, v59, -v60
	v_rndne_f32_e32 v62, v60
	s_delay_alu instid0(VALU_DEP_2) | instskip(NEXT) | instid1(VALU_DEP_1)
	v_dual_fmac_f32 v61, 0x32a5705f, v59 :: v_dual_mul_f32 v20, v20, v21
	v_dual_sub_f32 v60, v60, v62 :: v_dual_mul_f32 v21, 0x40549a78, v20
	v_cmp_ngt_f32_e32 vcc_lo, 0xc23369f4, v20
	s_delay_alu instid0(VALU_DEP_2) | instskip(SKIP_1) | instid1(VALU_DEP_1)
	v_fma_f32 v52, 0x40549a78, v20, -v21
	v_rndne_f32_e32 v53, v21
	v_dual_fmac_f32 v52, 0x33979a37, v20 :: v_dual_sub_f32 v21, v21, v53
	s_delay_alu instid0(VALU_DEP_1) | instskip(SKIP_1) | instid1(VALU_DEP_2)
	v_add_f32_e32 v21, v21, v52
	v_cvt_i32_f32_e32 v52, v53
	v_exp_f32_e32 v21, v21
	s_delay_alu instid0(TRANS32_DEP_1) | instskip(SKIP_3) | instid1(VALU_DEP_3)
	v_ldexp_f32 v21, v21, v52
	v_mad_co_u64_u32 v[52:53], null, s2, 6, v[0:1]
	v_dual_mul_f32 v0, v55, v56 :: v_dual_mov_b32 v53, v1
	s_wait_alu 0xfffd
	v_cndmask_b32_e32 v21, 0, v21, vcc_lo
	v_cmp_nlt_f32_e32 vcc_lo, 0x421a209b, v20
	s_wait_alu 0xfffd
	s_delay_alu instid0(VALU_DEP_2) | instskip(NEXT) | instid1(VALU_DEP_1)
	v_cndmask_b32_e32 v20, 0x7f800000, v21, vcc_lo
	v_mul_f32_e32 v0, v0, v20
	v_lshlrev_b64_e32 v[20:21], 2, v[52:53]
	s_delay_alu instid0(VALU_DEP_2) | instskip(NEXT) | instid1(VALU_DEP_2)
	v_mul_f32_e32 v55, v54, v0
	v_add_co_u32 v53, vcc_lo, s8, v20
	s_wait_alu 0xfffd
	s_delay_alu instid0(VALU_DEP_3)
	v_add_co_ci_u32_e64 v54, null, s9, v21, vcc_lo
	global_store_b32 v[57:58], v55, off
	v_add_co_u32 v30, vcc_lo, s12, v30
	global_load_b32 v55, v[53:54], off
	s_wait_alu 0xfffd
	v_add_co_ci_u32_e64 v31, null, s13, v31, vcc_lo
	v_add_co_u32 v26, vcc_lo, s10, v26
	s_wait_alu 0xfffd
	v_add_co_ci_u32_e64 v27, null, s11, v27, vcc_lo
	global_load_b32 v30, v[30:31], off
	s_wait_loadcnt 0x2
	v_dual_mul_f32 v31, v49, v46 :: v_dual_mul_f32 v46, 0xbb9deb07, v33
	s_delay_alu instid0(VALU_DEP_1) | instskip(SKIP_4) | instid1(VALU_DEP_2)
	v_dual_mul_f32 v31, v44, v31 :: v_dual_mul_f32 v44, 0xb9c4e0f3, v33
	global_store_b32 v[50:51], v31, off
	global_load_b32 v31, v[26:27], off
	v_dual_mul_f32 v49, 0x3fb8aa3b, v44 :: v_dual_mul_f32 v50, 0x3fb8aa3b, v46
	v_cmp_ngt_f32_e64 s0, 0xc2ce8ed0, v44
	v_fma_f32 v51, 0x3fb8aa3b, v44, -v49
	v_rndne_f32_e32 v56, v49
	s_delay_alu instid0(VALU_DEP_4) | instskip(SKIP_1) | instid1(VALU_DEP_4)
	v_fma_f32 v57, 0x3fb8aa3b, v46, -v50
	v_rndne_f32_e32 v58, v50
	v_fmac_f32_e32 v51, 0x32a5705f, v44
	s_delay_alu instid0(VALU_DEP_4) | instskip(NEXT) | instid1(VALU_DEP_4)
	v_sub_f32_e32 v49, v49, v56
	v_fmac_f32_e32 v57, 0x32a5705f, v46
	s_delay_alu instid0(VALU_DEP_4) | instskip(SKIP_2) | instid1(VALU_DEP_3)
	v_sub_f32_e32 v50, v50, v58
	v_cvt_i32_f32_e32 v56, v56
	v_cvt_i32_f32_e32 v58, v58
	v_dual_add_f32 v49, v49, v51 :: v_dual_add_f32 v50, v50, v57
	s_delay_alu instid0(VALU_DEP_1) | instskip(NEXT) | instid1(VALU_DEP_1)
	v_exp_f32_e32 v49, v49
	v_exp_f32_e32 v50, v50
	s_delay_alu instid0(TRANS32_DEP_2) | instskip(NEXT) | instid1(TRANS32_DEP_1)
	v_ldexp_f32 v49, v49, v56
	v_ldexp_f32 v50, v50, v58
	s_wait_alu 0xf1ff
	s_delay_alu instid0(VALU_DEP_2) | instskip(SKIP_2) | instid1(VALU_DEP_1)
	v_cndmask_b32_e64 v49, 0, v49, s0
	v_cmp_ngt_f32_e64 s0, 0xc2ce8ed0, v46
	s_wait_alu 0xf1ff
	v_cndmask_b32_e64 v50, 0, v50, s0
	v_cmp_nlt_f32_e64 s0, 0x42b17218, v44
	s_wait_alu 0xf1ff
	s_delay_alu instid0(VALU_DEP_1) | instskip(SKIP_1) | instid1(VALU_DEP_2)
	v_cndmask_b32_e64 v44, 0x7f800000, v49, s0
	v_cmp_nlt_f32_e64 s0, 0x42b17218, v46
	v_mul_f32_e32 v44, 0x3f483127, v44
	s_wait_alu 0xf1ff
	s_delay_alu instid0(VALU_DEP_2) | instskip(SKIP_1) | instid1(VALU_DEP_2)
	v_cndmask_b32_e64 v46, 0x7f800000, v50, s0
	v_cmp_ngt_f32_e64 s0, 0xc2ce8ed0, v59
	v_fmamk_f32 v44, v46, 0x3e5f3b64, v44
	s_wait_loadcnt 0x2
	v_div_scale_f32 v51, null, v55, v55, 1.0
	v_div_scale_f32 v63, vcc_lo, 1.0, v55, 1.0
	s_delay_alu instid0(VALU_DEP_2) | instskip(NEXT) | instid1(TRANS32_DEP_1)
	v_rcp_f32_e32 v57, v51
	v_fma_f32 v56, -v51, v57, 1.0
	s_delay_alu instid0(VALU_DEP_1) | instskip(NEXT) | instid1(VALU_DEP_1)
	v_fmac_f32_e32 v57, v56, v57
	v_mul_f32_e32 v58, v63, v57
	s_delay_alu instid0(VALU_DEP_1) | instskip(NEXT) | instid1(VALU_DEP_1)
	v_fma_f32 v49, -v51, v58, v63
	v_fmac_f32_e32 v58, v49, v57
	s_delay_alu instid0(VALU_DEP_1) | instskip(SKIP_1) | instid1(VALU_DEP_1)
	v_fma_f32 v46, -v51, v58, v63
	s_wait_alu 0xfffd
	v_div_fmas_f32 v46, v46, v57, v58
	v_cmp_nlt_f32_e32 vcc_lo, 0x42b17218, v59
	s_delay_alu instid0(VALU_DEP_2) | instskip(NEXT) | instid1(VALU_DEP_1)
	v_div_fixup_f32 v46, v46, v55, 1.0
	v_mul_f32_e32 v46, v35, v46
	s_wait_loadcnt 0x1
	s_delay_alu instid0(VALU_DEP_1)
	v_mul_f32_e32 v50, v30, v46
	v_add_f32_e32 v56, v60, v61
	v_cvt_i32_f32_e32 v60, v62
	v_fma_f32 v46, v30, v46, 1.0
	s_wait_loadcnt 0x0
	v_dual_mul_f32 v30, v35, v31 :: v_dual_max_num_f32 v51, 0x800000, v50
	v_exp_f32_e32 v56, v56
	s_delay_alu instid0(VALU_DEP_1) | instskip(SKIP_3) | instid1(VALU_DEP_1)
	v_mul_f32_e32 v48, v48, v30
	global_store_b32 v[26:27], v48, off
	v_ldexp_f32 v49, v56, v60
	s_wait_alu 0xf1ff
	v_cndmask_b32_e64 v49, 0, v49, s0
	v_cmp_gt_f32_e64 s0, 0x800000, v51
	s_wait_alu 0xfffd
	s_delay_alu instid0(VALU_DEP_2) | instskip(NEXT) | instid1(VALU_DEP_1)
	v_cndmask_b32_e32 v49, 0x7f800000, v49, vcc_lo
	v_add_f32_e32 v44, v49, v44
	s_delay_alu instid0(VALU_DEP_1) | instskip(NEXT) | instid1(VALU_DEP_1)
	v_max_num_f32_e32 v44, 0x800000, v44
	v_cmp_gt_f32_e32 vcc_lo, 0x800000, v44
	s_wait_alu 0xfffd
	v_cndmask_b32_e64 v49, 0, 32, vcc_lo
	v_cndmask_b32_e64 v57, 0, 0x411a209b, vcc_lo
	s_delay_alu instid0(VALU_DEP_2) | instskip(SKIP_2) | instid1(VALU_DEP_2)
	v_ldexp_f32 v44, v44, v49
	s_wait_alu 0xf1ff
	v_cndmask_b32_e64 v49, 0, 32, s0
	v_log_f32_e32 v44, v44
	s_delay_alu instid0(VALU_DEP_1) | instskip(NEXT) | instid1(VALU_DEP_1)
	v_ldexp_f32 v49, v51, v49
	v_log_f32_e32 v49, v49
	s_delay_alu instid0(TRANS32_DEP_2) | instskip(SKIP_1) | instid1(VALU_DEP_2)
	v_mul_f32_e32 v51, 0x3e9a209a, v44
	v_cmp_gt_f32_e64 vcc_lo, 0x7f800000, |v44|
	v_fma_f32 v51, 0x3e9a209a, v44, -v51
	s_delay_alu instid0(TRANS32_DEP_1) | instskip(NEXT) | instid1(VALU_DEP_2)
	v_mul_f32_e32 v56, 0x3e9a209a, v49
	v_fmac_f32_e32 v51, 0x3284fbcf, v44
	s_delay_alu instid0(VALU_DEP_2) | instskip(NEXT) | instid1(VALU_DEP_2)
	v_fma_f32 v56, 0x3e9a209a, v49, -v56
	v_fmac_f32_e32 v51, 0x3e9a209a, v44
	s_delay_alu instid0(VALU_DEP_2) | instskip(SKIP_1) | instid1(VALU_DEP_2)
	v_fmac_f32_e32 v56, 0x3284fbcf, v49
	s_wait_alu 0xfffd
	v_cndmask_b32_e32 v44, v44, v51, vcc_lo
	s_delay_alu instid0(VALU_DEP_2) | instskip(SKIP_3) | instid1(VALU_DEP_3)
	v_fmac_f32_e32 v56, 0x3e9a209a, v49
	v_cmp_gt_f32_e64 vcc_lo, 0x7f800000, |v49|
	v_cndmask_b32_e64 v51, 0, 0x411a209b, s0
	s_wait_alu 0xfffd
	v_dual_sub_f32 v44, v44, v57 :: v_dual_cndmask_b32 v49, v49, v56
	v_add_co_u32 v30, vcc_lo, s10, v22
	s_wait_alu 0xfffd
	v_add_co_ci_u32_e64 v31, null, s11, v23, vcc_lo
	s_delay_alu instid0(VALU_DEP_3)
	v_dual_fmaak_f32 v56, s3, v44, 0x3ecccccd :: v_dual_sub_f32 v49, v49, v51
	v_fmaak_f32 v51, s4, v44, 0x3f400000
	global_load_b32 v27, v[30:31], off
	v_div_scale_f32 v26, vcc_lo, 1.0, v46, 1.0
	v_sub_f32_e32 v49, v49, v56
	v_div_scale_f32 v56, null, v46, v46, 1.0
	s_delay_alu instid0(VALU_DEP_2) | instskip(NEXT) | instid1(VALU_DEP_2)
	v_fmac_f32_e32 v51, 0xbe0f5c29, v49
	v_rcp_f32_e32 v58, v56
	s_delay_alu instid0(VALU_DEP_1) | instskip(NEXT) | instid1(VALU_DEP_1)
	v_div_scale_f32 v57, null, v51, v51, 1.0
	v_rcp_f32_e32 v59, v57
	s_delay_alu instid0(TRANS32_DEP_2) | instskip(NEXT) | instid1(VALU_DEP_1)
	v_fma_f32 v22, -v56, v58, 1.0
	v_fmac_f32_e32 v58, v22, v58
	v_div_scale_f32 v22, s0, 1.0, v51, 1.0
	s_delay_alu instid0(TRANS32_DEP_1) | instskip(NEXT) | instid1(VALU_DEP_1)
	v_fma_f32 v23, -v57, v59, 1.0
	v_fmac_f32_e32 v59, v23, v59
	s_delay_alu instid0(VALU_DEP_4) | instskip(NEXT) | instid1(VALU_DEP_2)
	v_mul_f32_e32 v23, v26, v58
	v_mul_f32_e32 v48, v22, v59
	s_delay_alu instid0(VALU_DEP_2) | instskip(NEXT) | instid1(VALU_DEP_2)
	v_fma_f32 v60, -v56, v23, v26
	v_fma_f32 v61, -v57, v48, v22
	s_delay_alu instid0(VALU_DEP_1) | instskip(NEXT) | instid1(VALU_DEP_1)
	v_dual_fmac_f32 v23, v60, v58 :: v_dual_fmac_f32 v48, v61, v59
	v_fma_f32 v26, -v56, v23, v26
	s_delay_alu instid0(VALU_DEP_2) | instskip(SKIP_1) | instid1(VALU_DEP_2)
	v_fma_f32 v22, -v57, v48, v22
	s_wait_alu 0xfffd
	v_div_fmas_f32 v23, v26, v58, v23
	s_mov_b32 vcc_lo, s0
	s_wait_alu 0xfffe
	v_div_fmas_f32 v22, v22, v59, v48
	s_delay_alu instid0(VALU_DEP_2) | instskip(NEXT) | instid1(VALU_DEP_2)
	v_div_fixup_f32 v23, v23, v46, 1.0
	v_div_fixup_f32 v22, v22, v51, 1.0
	s_delay_alu instid0(VALU_DEP_1) | instskip(NEXT) | instid1(VALU_DEP_1)
	v_dual_mul_f32 v23, v50, v23 :: v_dual_mul_f32 v22, v49, v22
	v_fma_f32 v22, v22, v22, 1.0
	s_delay_alu instid0(VALU_DEP_1) | instskip(SKIP_1) | instid1(VALU_DEP_2)
	v_div_scale_f32 v26, null, v22, v22, 1.0
	v_div_scale_f32 v51, vcc_lo, 1.0, v22, 1.0
	v_rcp_f32_e32 v48, v26
	s_delay_alu instid0(TRANS32_DEP_1) | instskip(NEXT) | instid1(VALU_DEP_1)
	v_fma_f32 v49, -v26, v48, 1.0
	v_fmac_f32_e32 v48, v49, v48
	s_delay_alu instid0(VALU_DEP_1) | instskip(NEXT) | instid1(VALU_DEP_1)
	v_mul_f32_e32 v49, v51, v48
	v_fma_f32 v56, -v26, v49, v51
	s_delay_alu instid0(VALU_DEP_1) | instskip(NEXT) | instid1(VALU_DEP_1)
	v_fmac_f32_e32 v49, v56, v48
	v_fma_f32 v26, -v26, v49, v51
	s_wait_alu 0xfffd
	s_delay_alu instid0(VALU_DEP_1) | instskip(NEXT) | instid1(VALU_DEP_1)
	v_div_fmas_f32 v26, v26, v48, v49
	v_div_fixup_f32 v22, v26, v22, 1.0
	s_delay_alu instid0(VALU_DEP_1) | instskip(NEXT) | instid1(VALU_DEP_1)
	v_mul_f32_e32 v22, v44, v22
	v_mul_f32_e32 v26, 0x40549a78, v22
	v_cmp_ngt_f32_e32 vcc_lo, 0xc23369f4, v22
	s_delay_alu instid0(VALU_DEP_2) | instskip(SKIP_1) | instid1(VALU_DEP_2)
	v_fma_f32 v44, 0x40549a78, v22, -v26
	v_rndne_f32_e32 v48, v26
	v_fmac_f32_e32 v44, 0x33979a37, v22
	s_delay_alu instid0(VALU_DEP_2) | instskip(NEXT) | instid1(VALU_DEP_1)
	v_sub_f32_e32 v26, v26, v48
	v_add_f32_e32 v26, v26, v44
	v_cvt_i32_f32_e32 v44, v48
	v_mad_co_u64_u32 v[48:49], null, s2, 13, v[52:53]
	v_mov_b32_e32 v49, v1
	s_delay_alu instid0(VALU_DEP_4) | instskip(NEXT) | instid1(TRANS32_DEP_1)
	v_exp_f32_e32 v26, v26
	v_ldexp_f32 v26, v26, v44
	s_wait_alu 0xfffd
	s_delay_alu instid0(VALU_DEP_1) | instskip(SKIP_2) | instid1(VALU_DEP_2)
	v_cndmask_b32_e32 v26, 0, v26, vcc_lo
	v_cmp_nlt_f32_e32 vcc_lo, 0x421a209b, v22
	s_wait_alu 0xfffd
	v_cndmask_b32_e32 v22, 0x7f800000, v26, vcc_lo
	s_delay_alu instid0(VALU_DEP_1) | instskip(SKIP_1) | instid1(VALU_DEP_2)
	v_mul_f32_e32 v26, v23, v22
	v_lshlrev_b64_e32 v[22:23], 2, v[48:49]
	v_mul_f32_e32 v44, v55, v26
	s_delay_alu instid0(VALU_DEP_2) | instskip(SKIP_1) | instid1(VALU_DEP_3)
	v_add_co_u32 v49, vcc_lo, s8, v22
	s_wait_alu 0xfffd
	v_add_co_ci_u32_e64 v50, null, s9, v23, vcc_lo
	v_add_co_u32 v18, vcc_lo, s12, v18
	s_wait_alu 0xfffd
	v_add_co_ci_u32_e64 v19, null, s13, v19, vcc_lo
	v_add_co_u32 v14, vcc_lo, s10, v14
	s_wait_alu 0xfffd
	v_add_co_ci_u32_e64 v15, null, s11, v15, vcc_lo
	global_load_b32 v18, v[18:19], off
	global_store_b32 v[53:54], v44, off
	global_load_b32 v44, v[49:50], off
	v_mul_f32_e32 v53, 0xc61e6f33, v32
	s_wait_loadcnt 0x2
	v_mul_f32_e32 v19, v47, v27
	v_mul_f32_e32 v27, 0xb78bcf65, v33
	s_delay_alu instid0(VALU_DEP_2) | instskip(NEXT) | instid1(VALU_DEP_2)
	v_mul_f32_e32 v19, v41, v19
	v_cmp_ngt_f32_e64 s0, 0xc2ce8ed0, v27
	global_store_b32 v[30:31], v19, off
	global_load_b32 v19, v[14:15], off
	v_mul_f32_e32 v30, 0xba438ad4, v33
	v_mul_f32_e32 v31, 0x3fb8aa3b, v27
	s_delay_alu instid0(VALU_DEP_1) | instskip(SKIP_1) | instid1(VALU_DEP_2)
	v_fma_f32 v46, 0x3fb8aa3b, v27, -v31
	v_rndne_f32_e32 v47, v31
	v_fmac_f32_e32 v46, 0x32a5705f, v27
	s_delay_alu instid0(VALU_DEP_2) | instskip(SKIP_1) | instid1(VALU_DEP_2)
	v_sub_f32_e32 v31, v31, v47
	v_cvt_i32_f32_e32 v47, v47
	v_add_f32_e32 v31, v31, v46
	s_delay_alu instid0(VALU_DEP_1) | instskip(NEXT) | instid1(TRANS32_DEP_1)
	v_exp_f32_e32 v31, v31
	v_ldexp_f32 v31, v31, v47
	s_wait_alu 0xf1ff
	s_delay_alu instid0(VALU_DEP_1)
	v_cndmask_b32_e64 v31, 0, v31, s0
	s_wait_loadcnt 0x1
	v_div_scale_f32 v46, null, v44, v44, 1.0
	v_div_scale_f32 v57, vcc_lo, 1.0, v44, 1.0
	s_wait_loadcnt 0x0
	v_mul_f32_e32 v19, v45, v19
	v_dual_mul_f32 v41, 0x3fb8aa3b, v30 :: v_dual_mul_f32 v54, 0x3fb8aa3b, v53
	v_cmp_ngt_f32_e64 s0, 0xc2ce8ed0, v30
	s_delay_alu instid0(VALU_DEP_3) | instskip(NEXT) | instid1(VALU_DEP_3)
	v_mul_f32_e32 v19, v19, v42
	v_fma_f32 v51, 0x3fb8aa3b, v30, -v41
	v_rndne_f32_e32 v52, v41
	v_fma_f32 v55, 0x3fb8aa3b, v53, -v54
	v_rndne_f32_e32 v56, v54
	global_store_b32 v[14:15], v19, off
	v_fmac_f32_e32 v51, 0x32a5705f, v30
	v_sub_f32_e32 v41, v41, v52
	v_cvt_i32_f32_e32 v52, v52
	v_dual_fmac_f32 v55, 0x32a5705f, v53 :: v_dual_sub_f32 v54, v54, v56
	s_delay_alu instid0(VALU_DEP_3) | instskip(SKIP_1) | instid1(VALU_DEP_1)
	v_add_f32_e32 v41, v41, v51
	v_rcp_f32_e32 v51, v46
	v_exp_f32_e32 v41, v41
	s_delay_alu instid0(TRANS32_DEP_2) | instskip(NEXT) | instid1(TRANS32_DEP_1)
	v_fma_f32 v47, -v46, v51, 1.0
	v_ldexp_f32 v41, v41, v52
	s_delay_alu instid0(VALU_DEP_2)
	v_fmac_f32_e32 v51, v47, v51
	v_add_f32_e32 v47, v54, v55
	v_cvt_i32_f32_e32 v54, v56
	s_wait_alu 0xf1ff
	v_cndmask_b32_e64 v41, 0, v41, s0
	v_mul_f32_e32 v52, v57, v51
	v_cmp_nlt_f32_e64 s0, 0x42b17218, v27
	v_exp_f32_e32 v47, v47
	s_wait_alu 0xf1ff
	s_delay_alu instid0(VALU_DEP_1) | instskip(SKIP_2) | instid1(VALU_DEP_3)
	v_cndmask_b32_e64 v27, 0x7f800000, v31, s0
	v_fma_f32 v31, -v46, v52, v57
	v_cmp_nlt_f32_e64 s0, 0x42b17218, v30
	v_mul_f32_e32 v27, 0x3e333333, v27
	s_delay_alu instid0(VALU_DEP_3) | instskip(SKIP_1) | instid1(VALU_DEP_3)
	v_fmac_f32_e32 v52, v31, v51
	s_wait_alu 0xf1ff
	v_cndmask_b32_e64 v30, 0x7f800000, v41, s0
	s_delay_alu instid0(TRANS32_DEP_1) | instskip(SKIP_1) | instid1(VALU_DEP_3)
	v_ldexp_f32 v31, v47, v54
	v_cmp_ngt_f32_e64 s0, 0xc2ce8ed0, v53
	v_fmamk_f32 v27, v30, 0x3f533333, v27
	v_fma_f32 v30, -v46, v52, v57
	s_wait_alu 0xf1ff
	s_delay_alu instid0(VALU_DEP_3) | instskip(SKIP_1) | instid1(VALU_DEP_2)
	v_cndmask_b32_e64 v31, 0, v31, s0
	s_wait_alu 0xfffd
	v_div_fmas_f32 v30, v30, v51, v52
	v_cmp_nlt_f32_e32 vcc_lo, 0x42b17218, v53
	s_delay_alu instid0(VALU_DEP_2) | instskip(SKIP_1) | instid1(VALU_DEP_1)
	v_div_fixup_f32 v30, v30, v44, 1.0
	s_wait_alu 0xfffd
	v_dual_cndmask_b32 v31, 0x7f800000, v31 :: v_dual_mul_f32 v30, v35, v30
	s_delay_alu instid0(VALU_DEP_1) | instskip(NEXT) | instid1(VALU_DEP_2)
	v_add_f32_e32 v27, v31, v27
	v_mul_f32_e32 v31, v18, v30
	s_delay_alu instid0(VALU_DEP_2) | instskip(NEXT) | instid1(VALU_DEP_2)
	v_max_num_f32_e32 v27, 0x800000, v27
	v_max_num_f32_e32 v46, 0x800000, v31
	s_delay_alu instid0(VALU_DEP_2) | instskip(NEXT) | instid1(VALU_DEP_2)
	v_cmp_gt_f32_e32 vcc_lo, 0x800000, v27
	v_cmp_gt_f32_e64 s0, 0x800000, v46
	s_wait_alu 0xfffd
	v_cndmask_b32_e64 v41, 0, 32, vcc_lo
	v_cndmask_b32_e64 v51, 0, 0x411a209b, vcc_lo
	s_delay_alu instid0(VALU_DEP_2) | instskip(SKIP_2) | instid1(VALU_DEP_2)
	v_ldexp_f32 v27, v27, v41
	s_wait_alu 0xf1ff
	v_cndmask_b32_e64 v41, 0, 32, s0
	v_log_f32_e32 v27, v27
	s_delay_alu instid0(VALU_DEP_1) | instskip(NEXT) | instid1(VALU_DEP_1)
	v_ldexp_f32 v41, v46, v41
	v_log_f32_e32 v41, v41
	s_delay_alu instid0(TRANS32_DEP_2) | instskip(SKIP_1) | instid1(VALU_DEP_2)
	v_mul_f32_e32 v46, 0x3e9a209a, v27
	v_cmp_gt_f32_e64 vcc_lo, 0x7f800000, |v27|
	v_fma_f32 v46, 0x3e9a209a, v27, -v46
	s_delay_alu instid0(TRANS32_DEP_1) | instskip(NEXT) | instid1(VALU_DEP_2)
	v_mul_f32_e32 v47, 0x3e9a209a, v41
	v_fmac_f32_e32 v46, 0x3284fbcf, v27
	s_delay_alu instid0(VALU_DEP_2) | instskip(NEXT) | instid1(VALU_DEP_2)
	v_fma_f32 v47, 0x3e9a209a, v41, -v47
	v_fmac_f32_e32 v46, 0x3e9a209a, v27
	s_delay_alu instid0(VALU_DEP_2) | instskip(SKIP_1) | instid1(VALU_DEP_2)
	v_fmac_f32_e32 v47, 0x3284fbcf, v41
	s_wait_alu 0xfffd
	v_cndmask_b32_e32 v27, v27, v46, vcc_lo
	s_delay_alu instid0(VALU_DEP_2) | instskip(SKIP_1) | instid1(VALU_DEP_3)
	v_fmac_f32_e32 v47, 0x3e9a209a, v41
	v_cmp_gt_f32_e64 vcc_lo, 0x7f800000, |v41|
	v_sub_f32_e32 v46, v27, v51
	v_cndmask_b32_e64 v27, 0, 0x411a209b, s0
	s_wait_alu 0xfffd
	v_cndmask_b32_e32 v41, v41, v47, vcc_lo
	s_delay_alu instid0(VALU_DEP_3) | instskip(NEXT) | instid1(VALU_DEP_2)
	v_fmaak_f32 v47, s3, v46, 0x3ecccccd
	v_sub_f32_e32 v27, v41, v27
	v_fmaak_f32 v41, s4, v46, 0x3f400000
	s_delay_alu instid0(VALU_DEP_2) | instskip(NEXT) | instid1(VALU_DEP_1)
	v_sub_f32_e32 v47, v27, v47
	v_fmac_f32_e32 v41, 0xbe0f5c29, v47
	s_delay_alu instid0(VALU_DEP_1) | instskip(SKIP_1) | instid1(VALU_DEP_2)
	v_div_scale_f32 v51, null, v41, v41, 1.0
	v_div_scale_f32 v56, s0, 1.0, v41, 1.0
	v_rcp_f32_e32 v53, v51
	s_delay_alu instid0(TRANS32_DEP_1) | instskip(NEXT) | instid1(VALU_DEP_1)
	v_fma_f32 v54, -v51, v53, 1.0
	v_fmac_f32_e32 v53, v54, v53
	s_delay_alu instid0(VALU_DEP_1) | instskip(NEXT) | instid1(VALU_DEP_1)
	v_mul_f32_e32 v57, v56, v53
	v_fma_f32 v58, -v51, v57, v56
	s_delay_alu instid0(VALU_DEP_1) | instskip(SKIP_1) | instid1(VALU_DEP_1)
	v_fmac_f32_e32 v57, v58, v53
	v_fma_f32 v18, v18, v30, 1.0
	v_div_scale_f32 v30, null, v18, v18, 1.0
	v_div_scale_f32 v55, vcc_lo, 1.0, v18, 1.0
	s_delay_alu instid0(VALU_DEP_2) | instskip(NEXT) | instid1(TRANS32_DEP_1)
	v_rcp_f32_e32 v52, v30
	v_fma_f32 v27, -v30, v52, 1.0
	s_delay_alu instid0(VALU_DEP_1) | instskip(NEXT) | instid1(VALU_DEP_1)
	v_fmac_f32_e32 v52, v27, v52
	v_mul_f32_e32 v54, v55, v52
	s_delay_alu instid0(VALU_DEP_1) | instskip(NEXT) | instid1(VALU_DEP_1)
	v_fma_f32 v27, -v30, v54, v55
	v_fmac_f32_e32 v54, v27, v52
	v_add_co_u32 v27, s1, s10, v28
	s_wait_alu 0xf1ff
	v_add_co_ci_u32_e64 v28, null, s11, v29, s1
	s_delay_alu instid0(VALU_DEP_3)
	v_fma_f32 v29, -v30, v54, v55
	v_fma_f32 v30, -v51, v57, v56
	global_load_b32 v19, v[27:28], off
	s_wait_alu 0xfffd
	v_div_fmas_f32 v29, v29, v52, v54
	s_mov_b32 vcc_lo, s0
	s_wait_alu 0xfffe
	v_div_fmas_f32 v30, v30, v53, v57
	s_delay_alu instid0(VALU_DEP_2) | instskip(NEXT) | instid1(VALU_DEP_2)
	v_div_fixup_f32 v18, v29, v18, 1.0
	v_div_fixup_f32 v14, v30, v41, 1.0
	s_delay_alu instid0(VALU_DEP_2) | instskip(NEXT) | instid1(VALU_DEP_2)
	v_mul_f32_e32 v18, v31, v18
	v_mul_f32_e32 v14, v47, v14
	s_delay_alu instid0(VALU_DEP_1) | instskip(NEXT) | instid1(VALU_DEP_1)
	v_fma_f32 v14, v14, v14, 1.0
	v_div_scale_f32 v15, null, v14, v14, 1.0
	v_div_scale_f32 v42, vcc_lo, 1.0, v14, 1.0
	s_delay_alu instid0(VALU_DEP_2) | instskip(NEXT) | instid1(TRANS32_DEP_1)
	v_rcp_f32_e32 v30, v15
	v_fma_f32 v41, -v15, v30, 1.0
	s_delay_alu instid0(VALU_DEP_1) | instskip(NEXT) | instid1(VALU_DEP_1)
	v_fmac_f32_e32 v30, v41, v30
	v_mul_f32_e32 v41, v42, v30
	s_delay_alu instid0(VALU_DEP_1) | instskip(NEXT) | instid1(VALU_DEP_1)
	v_fma_f32 v45, -v15, v41, v42
	v_fmac_f32_e32 v41, v45, v30
	s_delay_alu instid0(VALU_DEP_1) | instskip(SKIP_1) | instid1(VALU_DEP_1)
	v_fma_f32 v15, -v15, v41, v42
	s_wait_alu 0xfffd
	v_div_fmas_f32 v15, v15, v30, v41
	s_delay_alu instid0(VALU_DEP_1) | instskip(NEXT) | instid1(VALU_DEP_1)
	v_div_fixup_f32 v14, v15, v14, 1.0
	v_mul_f32_e32 v14, v46, v14
	v_mul_f32_e32 v46, 0xc5e26000, v32
	s_delay_alu instid0(VALU_DEP_2) | instskip(SKIP_1) | instid1(VALU_DEP_3)
	v_mul_f32_e32 v15, 0x40549a78, v14
	v_cmp_ngt_f32_e32 vcc_lo, 0xc23369f4, v14
	v_mul_f32_e32 v47, 0x3fb8aa3b, v46
	s_delay_alu instid0(VALU_DEP_3) | instskip(SKIP_1) | instid1(VALU_DEP_1)
	v_fma_f32 v30, 0x40549a78, v14, -v15
	v_rndne_f32_e32 v41, v15
	v_dual_fmac_f32 v30, 0x33979a37, v14 :: v_dual_sub_f32 v15, v15, v41
	s_delay_alu instid0(VALU_DEP_1) | instskip(SKIP_1) | instid1(VALU_DEP_2)
	v_add_f32_e32 v15, v15, v30
	v_cvt_i32_f32_e32 v30, v41
	v_exp_f32_e32 v15, v15
	s_delay_alu instid0(TRANS32_DEP_1)
	v_ldexp_f32 v15, v15, v30
	v_mad_co_u64_u32 v[29:30], null, s2, 3, v[48:49]
	v_mov_b32_e32 v30, v1
	v_fma_f32 v48, 0x3fb8aa3b, v46, -v47
	s_wait_alu 0xfffd
	v_cndmask_b32_e32 v15, 0, v15, vcc_lo
	v_cmp_nlt_f32_e32 vcc_lo, 0x421a209b, v14
	s_delay_alu instid0(VALU_DEP_3) | instskip(SKIP_1) | instid1(VALU_DEP_3)
	v_fmac_f32_e32 v48, 0x32a5705f, v46
	s_wait_alu 0xfffd
	v_cndmask_b32_e32 v14, 0x7f800000, v15, vcc_lo
	s_delay_alu instid0(VALU_DEP_1) | instskip(SKIP_1) | instid1(VALU_DEP_2)
	v_mul_f32_e32 v18, v18, v14
	v_lshlrev_b64_e32 v[14:15], 2, v[29:30]
	v_mul_f32_e32 v41, v44, v18
	s_delay_alu instid0(VALU_DEP_2) | instskip(SKIP_1) | instid1(VALU_DEP_3)
	v_add_co_u32 v30, vcc_lo, s8, v14
	s_wait_alu 0xfffd
	v_add_co_ci_u32_e64 v31, null, s9, v15, vcc_lo
	v_add_co_u32 v10, vcc_lo, s12, v10
	s_wait_alu 0xfffd
	v_add_co_ci_u32_e64 v11, null, s13, v11, vcc_lo
	global_store_b32 v[49:50], v41, off
	global_load_b32 v41, v[30:31], off
	v_rndne_f32_e32 v49, v47
	global_load_b32 v42, v[10:11], off
	v_sub_f32_e32 v47, v47, v49
	s_wait_loadcnt 0x2
	v_mul_f32_e32 v10, v43, v19
	s_delay_alu instid0(VALU_DEP_1)
	v_mul_f32_e32 v19, v37, v10
	v_add_co_u32 v10, vcc_lo, s10, v24
	s_wait_alu 0xfffd
	v_add_co_ci_u32_e64 v11, null, s11, v25, vcc_lo
	global_store_b32 v[27:28], v19, off
	v_mul_f32_e32 v24, 0xb9710d4d, v33
	v_mul_f32_e32 v25, 0xb8eba293, v33
	global_load_b32 v19, v[10:11], off
	v_dual_mul_f32 v27, 0x3fb8aa3b, v24 :: v_dual_mul_f32 v28, 0x3fb8aa3b, v25
	s_delay_alu instid0(VALU_DEP_1) | instskip(SKIP_1) | instid1(VALU_DEP_3)
	v_fma_f32 v37, 0x3fb8aa3b, v24, -v27
	v_rndne_f32_e32 v43, v27
	v_fma_f32 v44, 0x3fb8aa3b, v25, -v28
	v_rndne_f32_e32 v45, v28
	s_delay_alu instid0(VALU_DEP_4) | instskip(NEXT) | instid1(VALU_DEP_3)
	v_fmac_f32_e32 v37, 0x32a5705f, v24
	v_dual_sub_f32 v27, v27, v43 :: v_dual_fmac_f32 v44, 0x32a5705f, v25
	s_delay_alu instid0(VALU_DEP_3) | instskip(SKIP_2) | instid1(VALU_DEP_4)
	v_sub_f32_e32 v28, v28, v45
	v_cvt_i32_f32_e32 v43, v43
	v_cvt_i32_f32_e32 v45, v45
	v_add_f32_e32 v27, v27, v37
	s_delay_alu instid0(VALU_DEP_1) | instskip(NEXT) | instid1(TRANS32_DEP_1)
	v_exp_f32_e32 v27, v27
	v_ldexp_f32 v27, v27, v43
	s_wait_loadcnt 0x2
	v_div_scale_f32 v37, null, v41, v41, 1.0
	v_div_scale_f32 v50, vcc_lo, 1.0, v41, 1.0
	s_wait_loadcnt 0x0
	v_dual_mul_f32 v19, v35, v19 :: v_dual_add_f32 v28, v28, v44
	s_delay_alu instid0(VALU_DEP_3) | instskip(NEXT) | instid1(VALU_DEP_1)
	v_rcp_f32_e32 v44, v37
	v_mul_f32_e32 v19, v19, v40
	s_delay_alu instid0(VALU_DEP_2) | instskip(NEXT) | instid1(VALU_DEP_1)
	v_exp_f32_e32 v28, v28
	v_mul_f32_e32 v19, v19, v36
	s_delay_alu instid0(TRANS32_DEP_2)
	v_fma_f32 v43, -v37, v44, 1.0
	global_store_b32 v[10:11], v19, off
	v_ldexp_f32 v28, v28, v45
	v_fmac_f32_e32 v44, v43, v44
	v_add_f32_e32 v43, v47, v48
	v_cmp_ngt_f32_e64 s0, 0xc2ce8ed0, v24
	v_cvt_i32_f32_e32 v47, v49
	s_delay_alu instid0(VALU_DEP_4) | instskip(NEXT) | instid1(VALU_DEP_4)
	v_mul_f32_e32 v45, v50, v44
	v_exp_f32_e32 v43, v43
	s_wait_alu 0xf1ff
	v_cndmask_b32_e64 v27, 0, v27, s0
	v_cmp_ngt_f32_e64 s0, 0xc2ce8ed0, v25
	s_wait_alu 0xf1ff
	s_delay_alu instid0(VALU_DEP_1) | instskip(SKIP_2) | instid1(VALU_DEP_1)
	v_cndmask_b32_e64 v28, 0, v28, s0
	v_cmp_nlt_f32_e64 s0, 0x42b17218, v24
	s_wait_alu 0xf1ff
	v_cndmask_b32_e64 v24, 0x7f800000, v27, s0
	v_fma_f32 v27, -v37, v45, v50
	v_cmp_nlt_f32_e64 s0, 0x42b17218, v25
	s_delay_alu instid0(VALU_DEP_3) | instskip(NEXT) | instid1(VALU_DEP_3)
	v_mul_f32_e32 v24, 0x3f0ccccd, v24
	v_fmac_f32_e32 v45, v27, v44
	s_wait_alu 0xf1ff
	s_delay_alu instid0(VALU_DEP_3) | instskip(SKIP_1) | instid1(VALU_DEP_2)
	v_cndmask_b32_e64 v25, 0x7f800000, v28, s0
	v_ldexp_f32 v27, v43, v47
	v_fmamk_f32 v24, v25, 0x3ee66666, v24
	v_fma_f32 v25, -v37, v45, v50
	s_wait_alu 0xfffd
	s_delay_alu instid0(VALU_DEP_1) | instskip(NEXT) | instid1(VALU_DEP_1)
	v_div_fmas_f32 v25, v25, v44, v45
	v_div_fixup_f32 v25, v25, v41, 1.0
	s_delay_alu instid0(VALU_DEP_1) | instskip(SKIP_2) | instid1(VALU_DEP_3)
	v_mul_f32_e32 v25, v35, v25
	v_cmp_ngt_f32_e64 s0, 0xc2ce8ed0, v46
	v_cmp_nlt_f32_e32 vcc_lo, 0x42b17218, v46
	v_mul_f32_e32 v43, v42, v25
	s_wait_alu 0xf1ff
	s_delay_alu instid0(VALU_DEP_3) | instskip(NEXT) | instid1(VALU_DEP_2)
	v_cndmask_b32_e64 v27, 0, v27, s0
	v_max_num_f32_e32 v28, 0x800000, v43
	s_wait_alu 0xfffd
	s_delay_alu instid0(VALU_DEP_2) | instskip(NEXT) | instid1(VALU_DEP_2)
	v_cndmask_b32_e32 v27, 0x7f800000, v27, vcc_lo
	v_cmp_gt_f32_e64 s0, 0x800000, v28
	s_delay_alu instid0(VALU_DEP_2) | instskip(NEXT) | instid1(VALU_DEP_1)
	v_add_f32_e32 v24, v27, v24
	v_max_num_f32_e32 v24, 0x800000, v24
	s_delay_alu instid0(VALU_DEP_1) | instskip(SKIP_3) | instid1(VALU_DEP_2)
	v_cmp_gt_f32_e32 vcc_lo, 0x800000, v24
	s_wait_alu 0xfffd
	v_cndmask_b32_e64 v27, 0, 32, vcc_lo
	v_cndmask_b32_e64 v44, 0, 0x411a209b, vcc_lo
	v_ldexp_f32 v24, v24, v27
	s_wait_alu 0xf1ff
	v_cndmask_b32_e64 v27, 0, 32, s0
	s_delay_alu instid0(VALU_DEP_2) | instskip(NEXT) | instid1(VALU_DEP_1)
	v_log_f32_e32 v24, v24
	v_ldexp_f32 v27, v28, v27
	s_delay_alu instid0(VALU_DEP_1) | instskip(NEXT) | instid1(TRANS32_DEP_2)
	v_log_f32_e32 v27, v27
	v_mul_f32_e32 v28, 0x3e9a209a, v24
	v_cmp_gt_f32_e64 vcc_lo, 0x7f800000, |v24|
	s_delay_alu instid0(VALU_DEP_2) | instskip(NEXT) | instid1(TRANS32_DEP_1)
	v_fma_f32 v28, 0x3e9a209a, v24, -v28
	v_mul_f32_e32 v37, 0x3e9a209a, v27
	s_delay_alu instid0(VALU_DEP_2) | instskip(NEXT) | instid1(VALU_DEP_2)
	v_fmac_f32_e32 v28, 0x3284fbcf, v24
	v_fma_f32 v37, 0x3e9a209a, v27, -v37
	s_delay_alu instid0(VALU_DEP_2) | instskip(SKIP_1) | instid1(VALU_DEP_1)
	v_fmac_f32_e32 v28, 0x3e9a209a, v24
	s_wait_alu 0xfffd
	v_dual_fmac_f32 v37, 0x3284fbcf, v27 :: v_dual_cndmask_b32 v24, v24, v28
	s_delay_alu instid0(VALU_DEP_1) | instskip(SKIP_1) | instid1(VALU_DEP_3)
	v_fmac_f32_e32 v37, 0x3e9a209a, v27
	v_cmp_gt_f32_e64 vcc_lo, 0x7f800000, |v27|
	v_sub_f32_e32 v28, v24, v44
	v_cndmask_b32_e64 v24, 0, 0x411a209b, s0
	s_wait_alu 0xfffd
	v_cndmask_b32_e32 v27, v27, v37, vcc_lo
	s_delay_alu instid0(VALU_DEP_3) | instskip(NEXT) | instid1(VALU_DEP_2)
	v_fmaak_f32 v37, s3, v28, 0x3ecccccd
	v_sub_f32_e32 v24, v27, v24
	s_delay_alu instid0(VALU_DEP_1) | instskip(SKIP_1) | instid1(VALU_DEP_2)
	v_dual_fmaak_f32 v27, s4, v28, 0x3f400000 :: v_dual_sub_f32 v24, v24, v37
	v_fma_f32 v37, v42, v25, 1.0
	v_fmac_f32_e32 v27, 0xbe0f5c29, v24
	s_delay_alu instid0(VALU_DEP_2) | instskip(SKIP_1) | instid1(VALU_DEP_3)
	v_div_scale_f32 v25, null, v37, v37, 1.0
	v_div_scale_f32 v48, vcc_lo, 1.0, v37, 1.0
	v_div_scale_f32 v42, null, v27, v27, 1.0
	s_delay_alu instid0(VALU_DEP_3) | instskip(NEXT) | instid1(VALU_DEP_1)
	v_rcp_f32_e32 v44, v25
	v_rcp_f32_e32 v45, v42
	s_delay_alu instid0(TRANS32_DEP_2) | instskip(NEXT) | instid1(TRANS32_DEP_1)
	v_fma_f32 v46, -v25, v44, 1.0
	v_fma_f32 v47, -v42, v45, 1.0
	s_delay_alu instid0(VALU_DEP_2) | instskip(SKIP_1) | instid1(VALU_DEP_3)
	v_fmac_f32_e32 v44, v46, v44
	v_div_scale_f32 v46, s0, 1.0, v27, 1.0
	v_fmac_f32_e32 v45, v47, v45
	s_delay_alu instid0(VALU_DEP_3) | instskip(NEXT) | instid1(VALU_DEP_2)
	v_mul_f32_e32 v47, v48, v44
	v_mul_f32_e32 v49, v46, v45
	s_delay_alu instid0(VALU_DEP_2) | instskip(NEXT) | instid1(VALU_DEP_2)
	v_fma_f32 v50, -v25, v47, v48
	v_fma_f32 v51, -v42, v49, v46
	s_delay_alu instid0(VALU_DEP_2) | instskip(NEXT) | instid1(VALU_DEP_2)
	v_fmac_f32_e32 v47, v50, v44
	v_fmac_f32_e32 v49, v51, v45
	s_delay_alu instid0(VALU_DEP_2) | instskip(NEXT) | instid1(VALU_DEP_2)
	v_fma_f32 v25, -v25, v47, v48
	v_fma_f32 v42, -v42, v49, v46
	s_wait_alu 0xfffd
	s_delay_alu instid0(VALU_DEP_2) | instskip(SKIP_3) | instid1(VALU_DEP_1)
	v_div_fmas_f32 v44, v25, v44, v47
	s_mov_b32 vcc_lo, s0
	s_wait_alu 0xfffe
	v_div_fmas_f32 v25, v42, v45, v49
	v_div_fixup_f32 v25, v25, v27, 1.0
	s_delay_alu instid0(VALU_DEP_1) | instskip(NEXT) | instid1(VALU_DEP_1)
	v_mul_f32_e32 v24, v24, v25
	v_fma_f32 v27, v24, v24, 1.0
	v_add_co_u32 v24, vcc_lo, s10, v16
	s_wait_alu 0xfffd
	v_add_co_ci_u32_e64 v25, null, s11, v17, vcc_lo
	s_delay_alu instid0(VALU_DEP_3) | instskip(SKIP_3) | instid1(TRANS32_DEP_1)
	v_div_scale_f32 v42, null, v27, v27, 1.0
	v_div_scale_f32 v10, vcc_lo, 1.0, v27, 1.0
	global_load_b32 v17, v[24:25], off
	v_rcp_f32_e32 v40, v42
	v_fma_f32 v16, -v42, v40, 1.0
	s_wait_loadcnt 0x0
	s_delay_alu instid0(VALU_DEP_1) | instskip(NEXT) | instid1(VALU_DEP_1)
	v_dual_fmac_f32 v40, v16, v40 :: v_dual_mul_f32 v17, v39, v17
	v_mul_f32_e32 v17, v17, v38
	global_store_b32 v[24:25], v17, off
	v_mul_f32_e32 v25, 0xbbb60b61, v33
	v_dual_mul_f32 v11, v10, v40 :: v_dual_mul_f32 v24, 0xba7d477b, v33
	s_delay_alu instid0(VALU_DEP_1) | instskip(NEXT) | instid1(VALU_DEP_2)
	v_fma_f32 v16, -v42, v11, v10
	v_cmp_ngt_f32_e64 s0, 0xc2ce8ed0, v24
	s_delay_alu instid0(VALU_DEP_2) | instskip(NEXT) | instid1(VALU_DEP_1)
	v_fmac_f32_e32 v11, v16, v40
	v_fma_f32 v10, -v42, v11, v10
	s_wait_alu 0xfffd
	s_delay_alu instid0(VALU_DEP_1) | instskip(NEXT) | instid1(VALU_DEP_1)
	v_div_fmas_f32 v10, v10, v40, v11
	v_div_fixup_f32 v10, v10, v27, 1.0
	s_delay_alu instid0(VALU_DEP_1) | instskip(SKIP_1) | instid1(VALU_DEP_2)
	v_mul_f32_e32 v10, v28, v10
	v_mad_co_u64_u32 v[27:28], null, 0xffffff7d, s2, v[29:30]
	v_dual_mov_b32 v28, v1 :: v_dual_mul_f32 v11, 0x40549a78, v10
	v_cmp_ngt_f32_e32 vcc_lo, 0xc23369f4, v10
	s_delay_alu instid0(VALU_DEP_2) | instskip(SKIP_1) | instid1(VALU_DEP_1)
	v_fma_f32 v16, 0x40549a78, v10, -v11
	v_rndne_f32_e32 v19, v11
	v_dual_fmac_f32 v16, 0x33979a37, v10 :: v_dual_sub_f32 v11, v11, v19
	s_delay_alu instid0(VALU_DEP_1) | instskip(SKIP_1) | instid1(VALU_DEP_2)
	v_add_f32_e32 v11, v11, v16
	v_cvt_i32_f32_e32 v16, v19
	v_exp_f32_e32 v11, v11
	s_delay_alu instid0(TRANS32_DEP_1)
	v_ldexp_f32 v11, v11, v16
	v_div_fixup_f32 v16, v44, v37, 1.0
	v_mad_co_u64_u32 v[36:37], null, 0x8a, s2, v[27:28]
	v_mov_b32_e32 v37, v1
	s_wait_alu 0xfffd
	v_cndmask_b32_e32 v11, 0, v11, vcc_lo
	v_cmp_nlt_f32_e32 vcc_lo, 0x421a209b, v10
	v_mul_f32_e32 v16, v43, v16
	v_lshlrev_b64_e32 v[27:28], 2, v[27:28]
	s_wait_alu 0xfffd
	v_cndmask_b32_e32 v10, 0x7f800000, v11, vcc_lo
	s_delay_alu instid0(VALU_DEP_1) | instskip(SKIP_1) | instid1(VALU_DEP_2)
	v_mul_f32_e32 v16, v16, v10
	v_lshlrev_b64_e32 v[10:11], 2, v[36:37]
	v_mul_f32_e32 v19, v41, v16
	s_delay_alu instid0(VALU_DEP_2) | instskip(SKIP_1) | instid1(VALU_DEP_3)
	v_add_co_u32 v40, vcc_lo, s8, v10
	s_wait_alu 0xfffd
	v_add_co_ci_u32_e64 v41, null, s9, v11, vcc_lo
	global_store_b32 v[30:31], v19, off
	v_add_co_u32 v27, vcc_lo, s12, v27
	global_load_b32 v29, v[40:41], off
	s_wait_alu 0xfffd
	v_add_co_ci_u32_e64 v28, null, s13, v28, vcc_lo
	v_add_co_u32 v12, vcc_lo, s10, v12
	s_wait_alu 0xfffd
	v_add_co_ci_u32_e64 v13, null, s11, v13, vcc_lo
	global_load_b32 v19, v[27:28], off
	v_mul_f32_e32 v28, 0x3fb8aa3b, v25
	global_load_b32 v17, v[12:13], off
	v_rndne_f32_e32 v38, v28
	v_mul_f32_e32 v27, 0x3fb8aa3b, v24
	v_fma_f32 v37, 0x3fb8aa3b, v25, -v28
	s_delay_alu instid0(VALU_DEP_3) | instskip(NEXT) | instid1(VALU_DEP_3)
	v_sub_f32_e32 v28, v28, v38
	v_fma_f32 v30, 0x3fb8aa3b, v24, -v27
	v_rndne_f32_e32 v31, v27
	s_delay_alu instid0(VALU_DEP_4) | instskip(SKIP_1) | instid1(VALU_DEP_3)
	v_fmac_f32_e32 v37, 0x32a5705f, v25
	v_cvt_i32_f32_e32 v38, v38
	v_dual_fmac_f32 v30, 0x32a5705f, v24 :: v_dual_sub_f32 v27, v27, v31
	s_delay_alu instid0(VALU_DEP_3) | instskip(SKIP_1) | instid1(VALU_DEP_3)
	v_add_f32_e32 v28, v28, v37
	v_cvt_i32_f32_e32 v31, v31
	v_add_f32_e32 v27, v27, v30
	s_delay_alu instid0(VALU_DEP_3) | instskip(NEXT) | instid1(VALU_DEP_1)
	v_exp_f32_e32 v28, v28
	v_exp_f32_e32 v27, v27
	s_delay_alu instid0(TRANS32_DEP_2) | instskip(NEXT) | instid1(TRANS32_DEP_1)
	v_ldexp_f32 v28, v28, v38
	v_ldexp_f32 v27, v27, v31
	s_wait_alu 0xf1ff
	s_delay_alu instid0(VALU_DEP_1) | instskip(SKIP_2) | instid1(VALU_DEP_1)
	v_cndmask_b32_e64 v27, 0, v27, s0
	v_cmp_ngt_f32_e64 s0, 0xc2ce8ed0, v25
	s_wait_alu 0xf1ff
	v_cndmask_b32_e64 v28, 0, v28, s0
	v_cmp_nlt_f32_e64 s0, 0x42b17218, v24
	s_wait_alu 0xf1ff
	s_delay_alu instid0(VALU_DEP_1) | instskip(SKIP_1) | instid1(VALU_DEP_2)
	v_cndmask_b32_e64 v24, 0x7f800000, v27, s0
	v_cmp_nlt_f32_e64 s0, 0x42b17218, v25
	v_mul_f32_e32 v24, 0x3f3c0831, v24
	s_wait_alu 0xf1ff
	s_delay_alu instid0(VALU_DEP_2) | instskip(NEXT) | instid1(VALU_DEP_1)
	v_cndmask_b32_e64 v25, 0x7f800000, v28, s0
	v_fmamk_f32 v24, v25, 0x3e87ef9e, v24
	s_wait_loadcnt 0x2
	v_div_scale_f32 v30, null, v29, v29, 1.0
	v_div_scale_f32 v45, vcc_lo, 1.0, v29, 1.0
	s_delay_alu instid0(VALU_DEP_2) | instskip(SKIP_2) | instid1(TRANS32_DEP_1)
	v_rcp_f32_e32 v37, v30
	s_wait_loadcnt 0x0
	v_mul_f32_e32 v0, v17, v0
	v_fma_f32 v31, -v30, v37, 1.0
	global_store_b32 v[12:13], v0, off
	v_fmac_f32_e32 v37, v31, v37
	s_delay_alu instid0(VALU_DEP_1) | instskip(NEXT) | instid1(VALU_DEP_1)
	v_dual_mul_f32 v39, 0xc5a94800, v32 :: v_dual_mul_f32 v38, v45, v37
	v_cmp_ngt_f32_e64 s0, 0xc2ce8ed0, v39
	s_delay_alu instid0(VALU_DEP_2) | instskip(NEXT) | instid1(VALU_DEP_1)
	v_fma_f32 v27, -v30, v38, v45
	v_fmac_f32_e32 v38, v27, v37
	s_delay_alu instid0(VALU_DEP_1) | instskip(SKIP_1) | instid1(VALU_DEP_1)
	v_fma_f32 v25, -v30, v38, v45
	s_wait_alu 0xfffd
	v_div_fmas_f32 v25, v25, v37, v38
	v_cmp_nlt_f32_e32 vcc_lo, 0x42b17218, v39
	s_delay_alu instid0(VALU_DEP_2) | instskip(NEXT) | instid1(VALU_DEP_1)
	v_div_fixup_f32 v25, v25, v29, 1.0
	v_dual_mul_f32 v42, 0x3fb8aa3b, v39 :: v_dual_mul_f32 v25, v35, v25
	s_delay_alu instid0(VALU_DEP_1) | instskip(SKIP_1) | instid1(VALU_DEP_1)
	v_fma_f32 v43, 0x3fb8aa3b, v39, -v42
	v_rndne_f32_e32 v44, v42
	v_dual_fmac_f32 v43, 0x32a5705f, v39 :: v_dual_sub_f32 v42, v42, v44
	s_delay_alu instid0(VALU_DEP_1) | instskip(SKIP_1) | instid1(VALU_DEP_2)
	v_add_f32_e32 v31, v42, v43
	v_cvt_i32_f32_e32 v42, v44
	v_exp_f32_e32 v31, v31
	s_delay_alu instid0(TRANS32_DEP_1) | instskip(SKIP_1) | instid1(VALU_DEP_1)
	v_ldexp_f32 v27, v31, v42
	s_wait_alu 0xf1ff
	v_cndmask_b32_e64 v27, 0, v27, s0
	s_wait_alu 0xfffd
	s_delay_alu instid0(VALU_DEP_1) | instskip(NEXT) | instid1(VALU_DEP_1)
	v_cndmask_b32_e32 v27, 0x7f800000, v27, vcc_lo
	v_add_f32_e32 v24, v27, v24
	v_mul_f32_e32 v27, v19, v25
	v_fma_f32 v25, v19, v25, 1.0
	s_delay_alu instid0(VALU_DEP_3) | instskip(NEXT) | instid1(VALU_DEP_3)
	v_max_num_f32_e32 v24, 0x800000, v24
	v_max_num_f32_e32 v30, 0x800000, v27
	s_delay_alu instid0(VALU_DEP_3) | instskip(NEXT) | instid1(VALU_DEP_3)
	v_div_scale_f32 v19, null, v25, v25, 1.0
	v_cmp_gt_f32_e32 vcc_lo, 0x800000, v24
	s_delay_alu instid0(VALU_DEP_3) | instskip(SKIP_3) | instid1(VALU_DEP_2)
	v_cmp_gt_f32_e64 s0, 0x800000, v30
	s_wait_alu 0xfffd
	v_cndmask_b32_e64 v28, 0, 32, vcc_lo
	v_cndmask_b32_e64 v37, 0, 0x411a209b, vcc_lo
	v_ldexp_f32 v24, v24, v28
	s_wait_alu 0xf1ff
	v_cndmask_b32_e64 v28, 0, 32, s0
	s_delay_alu instid0(VALU_DEP_2) | instskip(NEXT) | instid1(VALU_DEP_1)
	v_log_f32_e32 v24, v24
	v_ldexp_f32 v28, v30, v28
	s_delay_alu instid0(VALU_DEP_1) | instskip(NEXT) | instid1(TRANS32_DEP_2)
	v_log_f32_e32 v28, v28
	v_mul_f32_e32 v30, 0x3e9a209a, v24
	v_cmp_gt_f32_e64 vcc_lo, 0x7f800000, |v24|
	s_delay_alu instid0(VALU_DEP_2) | instskip(NEXT) | instid1(VALU_DEP_1)
	v_fma_f32 v30, 0x3e9a209a, v24, -v30
	v_fmac_f32_e32 v30, 0x3284fbcf, v24
	s_delay_alu instid0(VALU_DEP_1)
	v_fmac_f32_e32 v30, 0x3e9a209a, v24
	s_wait_alu 0xfffd
	s_delay_alu instid0(TRANS32_DEP_1) | instid1(VALU_DEP_1)
	v_dual_mul_f32 v31, 0x3e9a209a, v28 :: v_dual_cndmask_b32 v24, v24, v30
	s_delay_alu instid0(VALU_DEP_1) | instskip(SKIP_2) | instid1(VALU_DEP_3)
	v_fma_f32 v31, 0x3e9a209a, v28, -v31
	v_cndmask_b32_e64 v30, 0, 0x411a209b, s0
	v_cmp_gt_f32_e64 vcc_lo, 0x7f800000, |v28|
	v_dual_sub_f32 v24, v24, v37 :: v_dual_fmac_f32 v31, 0x3284fbcf, v28
	v_rcp_f32_e32 v37, v19
	s_delay_alu instid0(VALU_DEP_1) | instskip(SKIP_1) | instid1(VALU_DEP_1)
	v_fmac_f32_e32 v31, 0x3e9a209a, v28
	s_wait_alu 0xfffd
	v_cndmask_b32_e32 v28, v28, v31, vcc_lo
	v_fmaak_f32 v31, s3, v24, 0x3ecccccd
	s_delay_alu instid0(TRANS32_DEP_1) | instskip(SKIP_1) | instid1(VALU_DEP_4)
	v_fma_f32 v39, -v19, v37, 1.0
	v_div_scale_f32 v43, vcc_lo, 1.0, v25, 1.0
	v_sub_f32_e32 v28, v28, v30
	s_delay_alu instid0(VALU_DEP_3) | instskip(NEXT) | instid1(VALU_DEP_2)
	v_dual_fmaak_f32 v30, s4, v24, 0x3f400000 :: v_dual_fmac_f32 v37, v39, v37
	v_sub_f32_e32 v28, v28, v31
	s_delay_alu instid0(VALU_DEP_1) | instskip(NEXT) | instid1(VALU_DEP_1)
	v_fmac_f32_e32 v30, 0xbe0f5c29, v28
	v_div_scale_f32 v31, null, v30, v30, 1.0
	v_div_scale_f32 v39, s0, 1.0, v30, 1.0
	s_delay_alu instid0(VALU_DEP_2) | instskip(NEXT) | instid1(TRANS32_DEP_1)
	v_rcp_f32_e32 v38, v31
	v_fma_f32 v42, -v31, v38, 1.0
	s_delay_alu instid0(VALU_DEP_1) | instskip(SKIP_1) | instid1(VALU_DEP_2)
	v_fmac_f32_e32 v38, v42, v38
	v_mul_f32_e32 v42, v43, v37
	v_mul_f32_e32 v44, v39, v38
	s_delay_alu instid0(VALU_DEP_2) | instskip(NEXT) | instid1(VALU_DEP_2)
	v_fma_f32 v45, -v19, v42, v43
	v_fma_f32 v46, -v31, v44, v39
	s_delay_alu instid0(VALU_DEP_2) | instskip(NEXT) | instid1(VALU_DEP_2)
	v_fmac_f32_e32 v42, v45, v37
	v_fmac_f32_e32 v44, v46, v38
	s_delay_alu instid0(VALU_DEP_2) | instskip(NEXT) | instid1(VALU_DEP_2)
	v_fma_f32 v19, -v19, v42, v43
	v_fma_f32 v31, -v31, v44, v39
	s_wait_alu 0xfffd
	s_delay_alu instid0(VALU_DEP_2) | instskip(SKIP_3) | instid1(VALU_DEP_1)
	v_div_fmas_f32 v37, v19, v37, v42
	s_mov_b32 vcc_lo, s0
	s_wait_alu 0xfffe
	v_div_fmas_f32 v19, v31, v38, v44
	v_div_fixup_f32 v19, v19, v30, 1.0
	s_delay_alu instid0(VALU_DEP_1) | instskip(NEXT) | instid1(VALU_DEP_1)
	v_mul_f32_e32 v19, v28, v19
	v_fma_f32 v28, v19, v19, 1.0
	s_delay_alu instid0(VALU_DEP_1) | instskip(SKIP_1) | instid1(VALU_DEP_2)
	v_div_scale_f32 v30, null, v28, v28, 1.0
	v_div_scale_f32 v38, vcc_lo, 1.0, v28, 1.0
	v_rcp_f32_e32 v31, v30
	s_delay_alu instid0(TRANS32_DEP_1) | instskip(NEXT) | instid1(VALU_DEP_1)
	v_fma_f32 v19, -v30, v31, 1.0
	v_fmac_f32_e32 v31, v19, v31
	s_delay_alu instid0(VALU_DEP_1) | instskip(NEXT) | instid1(VALU_DEP_1)
	v_mul_f32_e32 v39, v38, v31
	v_fma_f32 v19, -v30, v39, v38
	s_delay_alu instid0(VALU_DEP_1) | instskip(SKIP_3) | instid1(VALU_DEP_3)
	v_fmac_f32_e32 v39, v19, v31
	v_add_co_u32 v19, s0, s10, v20
	s_wait_alu 0xf1ff
	v_add_co_ci_u32_e64 v20, null, s11, v21, s0
	v_fma_f32 v17, -v30, v39, v38
	global_load_b32 v21, v[19:20], off
	s_wait_alu 0xfffd
	v_div_fmas_f32 v0, v17, v31, v39
	s_delay_alu instid0(VALU_DEP_1) | instskip(NEXT) | instid1(VALU_DEP_1)
	v_div_fixup_f32 v0, v0, v28, 1.0
	v_mul_f32_e32 v0, v24, v0
	s_delay_alu instid0(VALU_DEP_1) | instskip(SKIP_1) | instid1(VALU_DEP_2)
	v_mul_f32_e32 v12, 0x40549a78, v0
	v_cmp_ngt_f32_e32 vcc_lo, 0xc23369f4, v0
	v_fma_f32 v13, 0x40549a78, v0, -v12
	v_rndne_f32_e32 v17, v12
	s_delay_alu instid0(VALU_DEP_1) | instskip(NEXT) | instid1(VALU_DEP_1)
	v_dual_fmac_f32 v13, 0x33979a37, v0 :: v_dual_sub_f32 v12, v12, v17
	v_add_f32_e32 v12, v12, v13
	v_cvt_i32_f32_e32 v13, v17
	s_delay_alu instid0(VALU_DEP_2) | instskip(NEXT) | instid1(TRANS32_DEP_1)
	v_exp_f32_e32 v12, v12
	v_ldexp_f32 v12, v12, v13
	v_div_fixup_f32 v13, v37, v25, 1.0
	s_wait_alu 0xfffd
	s_delay_alu instid0(VALU_DEP_2) | instskip(SKIP_1) | instid1(VALU_DEP_3)
	v_cndmask_b32_e32 v12, 0, v12, vcc_lo
	v_cmp_nlt_f32_e32 vcc_lo, 0x421a209b, v0
	v_dual_mul_f32 v13, v27, v13 :: v_dual_add_nc_u32 v0, s2, v36
	v_mul_f32_e32 v36, 0xc588b000, v32
	s_wait_alu 0xfffd
	v_cndmask_b32_e32 v12, 0x7f800000, v12, vcc_lo
	s_delay_alu instid0(VALU_DEP_2) | instskip(NEXT) | instid1(VALU_DEP_2)
	v_mul_f32_e32 v37, 0x3fb8aa3b, v36
	v_mul_f32_e32 v17, v13, v12
	v_lshlrev_b64_e32 v[12:13], 2, v[0:1]
	s_delay_alu instid0(VALU_DEP_3) | instskip(SKIP_1) | instid1(VALU_DEP_4)
	v_fma_f32 v38, 0x3fb8aa3b, v36, -v37
	v_rndne_f32_e32 v39, v37
	v_mul_f32_e32 v27, v29, v17
	s_delay_alu instid0(VALU_DEP_4)
	v_add_co_u32 v24, vcc_lo, s8, v12
	s_wait_alu 0xfffd
	v_add_co_ci_u32_e64 v25, null, s9, v13, vcc_lo
	global_store_b32 v[40:41], v27, off
	v_add_co_u32 v8, vcc_lo, s12, v8
	global_load_b32 v27, v[24:25], off
	s_wait_alu 0xfffd
	v_add_co_ci_u32_e64 v9, null, s13, v9, vcc_lo
	v_dual_fmac_f32 v38, 0x32a5705f, v36 :: v_dual_sub_f32 v37, v37, v39
	global_load_b32 v28, v[8:9], off
	v_add_co_u32 v8, vcc_lo, s10, v22
	s_wait_alu 0xfffd
	v_add_co_ci_u32_e64 v9, null, s11, v23, vcc_lo
	s_wait_loadcnt 0x2
	v_mul_f32_e32 v21, v21, v26
	global_store_b32 v[19:20], v21, off
	global_load_b32 v19, v[8:9], off
	v_mul_f32_e32 v20, 0xba853408, v33
	v_mul_f32_e32 v21, 0xbb9c09c1, v33
	s_delay_alu instid0(VALU_DEP_1) | instskip(SKIP_1) | instid1(VALU_DEP_2)
	v_dual_mul_f32 v22, 0x3fb8aa3b, v20 :: v_dual_mul_f32 v23, 0x3fb8aa3b, v21
	v_cmp_ngt_f32_e64 s0, 0xc2ce8ed0, v20
	v_fma_f32 v26, 0x3fb8aa3b, v20, -v22
	v_rndne_f32_e32 v29, v22
	s_delay_alu instid0(VALU_DEP_4) | instskip(SKIP_1) | instid1(VALU_DEP_4)
	v_fma_f32 v30, 0x3fb8aa3b, v21, -v23
	v_rndne_f32_e32 v31, v23
	v_fmac_f32_e32 v26, 0x32a5705f, v20
	s_delay_alu instid0(VALU_DEP_4) | instskip(NEXT) | instid1(VALU_DEP_3)
	v_sub_f32_e32 v22, v22, v29
	v_dual_fmac_f32 v30, 0x32a5705f, v21 :: v_dual_sub_f32 v23, v23, v31
	v_cvt_i32_f32_e32 v29, v29
	v_cvt_i32_f32_e32 v31, v31
	s_delay_alu instid0(VALU_DEP_4) | instskip(NEXT) | instid1(VALU_DEP_4)
	v_add_f32_e32 v22, v22, v26
	v_add_f32_e32 v23, v23, v30
	s_delay_alu instid0(VALU_DEP_2) | instskip(NEXT) | instid1(VALU_DEP_1)
	v_exp_f32_e32 v22, v22
	v_exp_f32_e32 v23, v23
	s_delay_alu instid0(TRANS32_DEP_2) | instskip(NEXT) | instid1(TRANS32_DEP_1)
	v_ldexp_f32 v22, v22, v29
	v_ldexp_f32 v23, v23, v31
	s_wait_alu 0xf1ff
	s_delay_alu instid0(VALU_DEP_2) | instskip(SKIP_2) | instid1(VALU_DEP_1)
	v_cndmask_b32_e64 v22, 0, v22, s0
	v_cmp_ngt_f32_e64 s0, 0xc2ce8ed0, v21
	s_wait_alu 0xf1ff
	v_cndmask_b32_e64 v23, 0, v23, s0
	v_cmp_nlt_f32_e64 s0, 0x42b17218, v20
	s_wait_alu 0xf1ff
	s_delay_alu instid0(VALU_DEP_1) | instskip(SKIP_1) | instid1(VALU_DEP_2)
	v_cndmask_b32_e64 v20, 0x7f800000, v22, s0
	v_cmp_nlt_f32_e64 s0, 0x42b17218, v21
	v_mul_f32_e32 v20, 0x3f79ad43, v20
	s_wait_alu 0xf1ff
	s_delay_alu instid0(VALU_DEP_2) | instskip(SKIP_1) | instid1(VALU_DEP_2)
	v_cndmask_b32_e64 v21, 0x7f800000, v23, s0
	v_cmp_ngt_f32_e64 s0, 0xc2ce8ed0, v36
	v_fmamk_f32 v20, v21, 0x3cca57a8, v20
	s_wait_loadcnt 0x2
	v_div_scale_f32 v26, null, v27, v27, 1.0
	v_div_scale_f32 v40, vcc_lo, 1.0, v27, 1.0
	s_delay_alu instid0(VALU_DEP_2) | instskip(NEXT) | instid1(TRANS32_DEP_1)
	v_rcp_f32_e32 v30, v26
	v_fma_f32 v29, -v26, v30, 1.0
	s_delay_alu instid0(VALU_DEP_1) | instskip(SKIP_2) | instid1(VALU_DEP_3)
	v_fmac_f32_e32 v30, v29, v30
	v_add_f32_e32 v29, v37, v38
	v_cvt_i32_f32_e32 v37, v39
	v_mul_f32_e32 v31, v40, v30
	s_delay_alu instid0(VALU_DEP_3) | instskip(NEXT) | instid1(VALU_DEP_1)
	v_exp_f32_e32 v29, v29
	v_fma_f32 v22, -v26, v31, v40
	s_delay_alu instid0(VALU_DEP_1) | instskip(NEXT) | instid1(TRANS32_DEP_1)
	v_fmac_f32_e32 v31, v22, v30
	v_ldexp_f32 v22, v29, v37
	s_delay_alu instid0(VALU_DEP_2) | instskip(SKIP_1) | instid1(VALU_DEP_2)
	v_fma_f32 v21, -v26, v31, v40
	s_wait_alu 0xf1ff
	v_cndmask_b32_e64 v22, 0, v22, s0
	s_wait_alu 0xfffd
	s_delay_alu instid0(VALU_DEP_2) | instskip(SKIP_1) | instid1(VALU_DEP_2)
	v_div_fmas_f32 v21, v21, v30, v31
	v_cmp_nlt_f32_e32 vcc_lo, 0x42b17218, v36
	v_div_fixup_f32 v21, v21, v27, 1.0
	s_wait_alu 0xfffd
	s_delay_alu instid0(VALU_DEP_1) | instskip(NEXT) | instid1(VALU_DEP_1)
	v_dual_cndmask_b32 v22, 0x7f800000, v22 :: v_dual_mul_f32 v21, v35, v21
	v_add_f32_e32 v20, v22, v20
	s_wait_loadcnt 0x1
	s_delay_alu instid0(VALU_DEP_2) | instskip(NEXT) | instid1(VALU_DEP_2)
	v_mul_f32_e32 v22, v28, v21
	v_max_num_f32_e32 v20, 0x800000, v20
	v_fma_f32 v21, v28, v21, 1.0
	s_delay_alu instid0(VALU_DEP_3) | instskip(NEXT) | instid1(VALU_DEP_3)
	v_max_num_f32_e32 v26, 0x800000, v22
	v_cmp_gt_f32_e32 vcc_lo, 0x800000, v20
	s_delay_alu instid0(VALU_DEP_3) | instskip(NEXT) | instid1(VALU_DEP_3)
	v_div_scale_f32 v28, null, v21, v21, 1.0
	v_cmp_gt_f32_e64 s0, 0x800000, v26
	s_wait_alu 0xfffd
	v_cndmask_b32_e64 v23, 0, 32, vcc_lo
	v_cndmask_b32_e64 v30, 0, 0x411a209b, vcc_lo
	s_delay_alu instid0(VALU_DEP_2) | instskip(SKIP_2) | instid1(VALU_DEP_2)
	v_ldexp_f32 v20, v20, v23
	s_wait_alu 0xf1ff
	v_cndmask_b32_e64 v23, 0, 32, s0
	v_log_f32_e32 v20, v20
	s_delay_alu instid0(VALU_DEP_1) | instskip(NEXT) | instid1(VALU_DEP_1)
	v_ldexp_f32 v23, v26, v23
	v_log_f32_e32 v23, v23
	s_delay_alu instid0(TRANS32_DEP_2) | instskip(SKIP_1) | instid1(VALU_DEP_2)
	v_mul_f32_e32 v26, 0x3e9a209a, v20
	v_cmp_gt_f32_e64 vcc_lo, 0x7f800000, |v20|
	v_fma_f32 v26, 0x3e9a209a, v20, -v26
	s_delay_alu instid0(TRANS32_DEP_1) | instskip(NEXT) | instid1(VALU_DEP_2)
	v_mul_f32_e32 v29, 0x3e9a209a, v23
	v_fmac_f32_e32 v26, 0x3284fbcf, v20
	s_delay_alu instid0(VALU_DEP_2) | instskip(NEXT) | instid1(VALU_DEP_2)
	v_fma_f32 v29, 0x3e9a209a, v23, -v29
	v_fmac_f32_e32 v26, 0x3e9a209a, v20
	s_wait_alu 0xfffd
	s_delay_alu instid0(VALU_DEP_1) | instskip(NEXT) | instid1(VALU_DEP_1)
	v_dual_fmac_f32 v29, 0x3284fbcf, v23 :: v_dual_cndmask_b32 v20, v20, v26
	v_fmac_f32_e32 v29, 0x3e9a209a, v23
	v_cmp_gt_f32_e64 vcc_lo, 0x7f800000, |v23|
	v_cndmask_b32_e64 v26, 0, 0x411a209b, s0
	s_delay_alu instid0(VALU_DEP_4)
	v_sub_f32_e32 v20, v20, v30
	v_rcp_f32_e32 v30, v28
	s_wait_alu 0xfffd
	v_cndmask_b32_e32 v23, v23, v29, vcc_lo
	v_div_scale_f32 v38, vcc_lo, 1.0, v21, 1.0
	v_fmaak_f32 v29, s3, v20, 0x3ecccccd
	s_delay_alu instid0(VALU_DEP_3) | instskip(NEXT) | instid1(TRANS32_DEP_1)
	v_dual_sub_f32 v23, v23, v26 :: v_dual_fmaak_f32 v26, s4, v20, 0x3f400000
	v_fma_f32 v36, -v28, v30, 1.0
	s_delay_alu instid0(VALU_DEP_1) | instskip(NEXT) | instid1(VALU_DEP_1)
	v_dual_sub_f32 v23, v23, v29 :: v_dual_fmac_f32 v30, v36, v30
	v_fmac_f32_e32 v26, 0xbe0f5c29, v23
	s_delay_alu instid0(VALU_DEP_1) | instskip(SKIP_1) | instid1(VALU_DEP_2)
	v_div_scale_f32 v29, null, v26, v26, 1.0
	v_div_scale_f32 v36, s0, 1.0, v26, 1.0
	v_rcp_f32_e32 v31, v29
	s_delay_alu instid0(TRANS32_DEP_1) | instskip(NEXT) | instid1(VALU_DEP_1)
	v_fma_f32 v37, -v29, v31, 1.0
	v_fmac_f32_e32 v31, v37, v31
	v_mul_f32_e32 v37, v38, v30
	s_delay_alu instid0(VALU_DEP_2) | instskip(NEXT) | instid1(VALU_DEP_2)
	v_mul_f32_e32 v39, v36, v31
	v_fma_f32 v40, -v28, v37, v38
	s_delay_alu instid0(VALU_DEP_2) | instskip(NEXT) | instid1(VALU_DEP_2)
	v_fma_f32 v41, -v29, v39, v36
	v_fmac_f32_e32 v37, v40, v30
	s_delay_alu instid0(VALU_DEP_2) | instskip(NEXT) | instid1(VALU_DEP_2)
	v_fmac_f32_e32 v39, v41, v31
	v_fma_f32 v28, -v28, v37, v38
	s_delay_alu instid0(VALU_DEP_2) | instskip(SKIP_1) | instid1(VALU_DEP_2)
	v_fma_f32 v29, -v29, v39, v36
	s_wait_alu 0xfffd
	v_div_fmas_f32 v28, v28, v30, v37
	s_mov_b32 vcc_lo, s0
	s_wait_alu 0xfffe
	v_div_fmas_f32 v29, v29, v31, v39
	s_delay_alu instid0(VALU_DEP_1) | instskip(NEXT) | instid1(VALU_DEP_1)
	v_div_fixup_f32 v26, v29, v26, 1.0
	v_mul_f32_e32 v23, v23, v26
	s_delay_alu instid0(VALU_DEP_1) | instskip(NEXT) | instid1(VALU_DEP_1)
	v_fma_f32 v23, v23, v23, 1.0
	v_div_scale_f32 v26, null, v23, v23, 1.0
	v_div_scale_f32 v31, vcc_lo, 1.0, v23, 1.0
	s_delay_alu instid0(VALU_DEP_2) | instskip(NEXT) | instid1(TRANS32_DEP_1)
	v_rcp_f32_e32 v29, v26
	v_fma_f32 v30, -v26, v29, 1.0
	s_delay_alu instid0(VALU_DEP_1) | instskip(NEXT) | instid1(VALU_DEP_1)
	v_fmac_f32_e32 v29, v30, v29
	v_mul_f32_e32 v30, v31, v29
	s_delay_alu instid0(VALU_DEP_1) | instskip(NEXT) | instid1(VALU_DEP_1)
	v_fma_f32 v36, -v26, v30, v31
	v_fmac_f32_e32 v30, v36, v29
	s_delay_alu instid0(VALU_DEP_1) | instskip(SKIP_1) | instid1(VALU_DEP_1)
	v_fma_f32 v26, -v26, v30, v31
	s_wait_alu 0xfffd
	v_div_fmas_f32 v26, v26, v29, v30
	v_add_co_u32 v14, vcc_lo, s10, v14
	s_wait_loadcnt 0x0
	v_mul_f32_e32 v18, v19, v18
	s_wait_alu 0xfffd
	v_add_co_ci_u32_e64 v15, null, s11, v15, vcc_lo
	v_div_fixup_f32 v23, v26, v23, 1.0
	global_store_b32 v[8:9], v18, off
	v_mul_f32_e32 v19, v20, v23
	global_load_b32 v23, v[14:15], off
	v_mul_f32_e32 v20, 0x40549a78, v19
	v_cmp_ngt_f32_e32 vcc_lo, 0xc23369f4, v19
	s_delay_alu instid0(VALU_DEP_2) | instskip(SKIP_1) | instid1(VALU_DEP_2)
	v_fma_f32 v8, 0x40549a78, v19, -v20
	v_rndne_f32_e32 v9, v20
	v_fmac_f32_e32 v8, 0x33979a37, v19
	s_delay_alu instid0(VALU_DEP_2) | instskip(SKIP_1) | instid1(VALU_DEP_2)
	v_sub_f32_e32 v18, v20, v9
	v_cvt_i32_f32_e32 v9, v9
	v_add_f32_e32 v8, v18, v8
	v_div_fixup_f32 v18, v28, v21, 1.0
	s_delay_alu instid0(VALU_DEP_2) | instskip(NEXT) | instid1(TRANS32_DEP_1)
	v_exp_f32_e32 v8, v8
	v_ldexp_f32 v8, v8, v9
	s_wait_alu 0xfffd
	s_delay_alu instid0(VALU_DEP_1)
	v_cndmask_b32_e32 v20, 0, v8, vcc_lo
	v_cmp_nlt_f32_e32 vcc_lo, 0x421a209b, v19
	v_mad_co_u64_u32 v[8:9], null, s2, 14, v[0:1]
	v_dual_mul_f32 v0, v22, v18 :: v_dual_mov_b32 v9, v1
	s_wait_alu 0xfffd
	v_cndmask_b32_e32 v18, 0x7f800000, v20, vcc_lo
	s_delay_alu instid0(VALU_DEP_1) | instskip(NEXT) | instid1(VALU_DEP_3)
	v_mul_f32_e32 v0, v0, v18
	v_lshlrev_b64_e32 v[18:19], 2, v[8:9]
	s_delay_alu instid0(VALU_DEP_2) | instskip(SKIP_1) | instid1(VALU_DEP_3)
	v_mul_f32_e32 v9, v27, v0
	v_mul_f32_e32 v27, 0xc5d71000, v32
	v_add_co_u32 v20, vcc_lo, s8, v18
	s_wait_alu 0xfffd
	s_delay_alu instid0(VALU_DEP_4)
	v_add_co_ci_u32_e64 v21, null, s9, v19, vcc_lo
	global_store_b32 v[24:25], v9, off
	v_add_co_u32 v6, vcc_lo, s12, v6
	global_load_b32 v22, v[20:21], off
	s_wait_alu 0xfffd
	v_add_co_ci_u32_e64 v7, null, s13, v7, vcc_lo
	v_mul_f32_e32 v28, 0x3fb8aa3b, v27
	global_load_b32 v9, v[6:7], off
	v_add_co_u32 v6, vcc_lo, s10, v10
	s_wait_alu 0xfffd
	v_add_co_ci_u32_e64 v7, null, s11, v11, vcc_lo
	v_mul_f32_e32 v11, 0xb9ec45af, v33
	v_fma_f32 v29, 0x3fb8aa3b, v27, -v28
	v_rndne_f32_e32 v30, v28
	s_delay_alu instid0(VALU_DEP_3) | instskip(NEXT) | instid1(VALU_DEP_2)
	v_cmp_ngt_f32_e64 s0, 0xc2ce8ed0, v11
	v_dual_fmac_f32 v29, 0x32a5705f, v27 :: v_dual_sub_f32 v28, v28, v30
	s_wait_loadcnt 0x2
	v_mul_f32_e32 v16, v23, v16
	global_store_b32 v[14:15], v16, off
	global_load_b32 v10, v[6:7], off
	v_mul_f32_e32 v14, 0xbc03126f, v33
	s_delay_alu instid0(VALU_DEP_1) | instskip(NEXT) | instid1(VALU_DEP_1)
	v_dual_mul_f32 v15, 0x3fb8aa3b, v11 :: v_dual_mul_f32 v16, 0x3fb8aa3b, v14
	v_fma_f32 v23, 0x3fb8aa3b, v11, -v15
	v_rndne_f32_e32 v24, v15
	s_delay_alu instid0(VALU_DEP_3) | instskip(SKIP_1) | instid1(VALU_DEP_4)
	v_fma_f32 v25, 0x3fb8aa3b, v14, -v16
	v_rndne_f32_e32 v26, v16
	v_fmac_f32_e32 v23, 0x32a5705f, v11
	s_delay_alu instid0(VALU_DEP_4) | instskip(SKIP_4) | instid1(VALU_DEP_2)
	v_sub_f32_e32 v15, v15, v24
	v_cvt_i32_f32_e32 v24, v24
	v_fmac_f32_e32 v25, 0x32a5705f, v14
	v_sub_f32_e32 v16, v16, v26
	v_cvt_i32_f32_e32 v26, v26
	v_dual_add_f32 v15, v15, v23 :: v_dual_add_f32 v16, v16, v25
	s_delay_alu instid0(VALU_DEP_1) | instskip(NEXT) | instid1(VALU_DEP_1)
	v_exp_f32_e32 v15, v15
	v_exp_f32_e32 v16, v16
	s_delay_alu instid0(TRANS32_DEP_2) | instskip(NEXT) | instid1(TRANS32_DEP_1)
	v_ldexp_f32 v15, v15, v24
	v_ldexp_f32 v16, v16, v26
	s_wait_alu 0xf1ff
	s_delay_alu instid0(VALU_DEP_2) | instskip(SKIP_2) | instid1(VALU_DEP_1)
	v_cndmask_b32_e64 v15, 0, v15, s0
	v_cmp_ngt_f32_e64 s0, 0xc2ce8ed0, v14
	s_wait_alu 0xf1ff
	v_cndmask_b32_e64 v16, 0, v16, s0
	v_cmp_nlt_f32_e64 s0, 0x42b17218, v11
	s_wait_alu 0xf1ff
	s_delay_alu instid0(VALU_DEP_1) | instskip(SKIP_1) | instid1(VALU_DEP_2)
	v_cndmask_b32_e64 v11, 0x7f800000, v15, s0
	v_cmp_nlt_f32_e64 s0, 0x42b17218, v14
	v_mul_f32_e32 v11, 0x3f579a6b, v11
	s_wait_alu 0xf1ff
	s_delay_alu instid0(VALU_DEP_2)
	v_cndmask_b32_e64 v14, 0x7f800000, v16, s0
	v_cmp_ngt_f32_e64 s0, 0xc2ce8ed0, v27
	s_wait_loadcnt 0x2
	v_div_scale_f32 v23, null, v22, v22, 1.0
	v_div_scale_f32 v31, vcc_lo, 1.0, v22, 1.0
	v_fmamk_f32 v11, v14, 0x3e219653, v11
	s_delay_alu instid0(VALU_DEP_3) | instskip(NEXT) | instid1(TRANS32_DEP_1)
	v_rcp_f32_e32 v25, v23
	v_fma_f32 v24, -v23, v25, 1.0
	s_delay_alu instid0(VALU_DEP_1) | instskip(SKIP_2) | instid1(VALU_DEP_3)
	v_fmac_f32_e32 v25, v24, v25
	v_add_f32_e32 v24, v28, v29
	v_cvt_i32_f32_e32 v28, v30
	v_mul_f32_e32 v26, v31, v25
	s_delay_alu instid0(VALU_DEP_3) | instskip(NEXT) | instid1(VALU_DEP_1)
	v_exp_f32_e32 v24, v24
	v_fma_f32 v15, -v23, v26, v31
	s_delay_alu instid0(VALU_DEP_1) | instskip(NEXT) | instid1(TRANS32_DEP_1)
	v_fmac_f32_e32 v26, v15, v25
	v_ldexp_f32 v15, v24, v28
	s_delay_alu instid0(VALU_DEP_2) | instskip(SKIP_1) | instid1(VALU_DEP_2)
	v_fma_f32 v14, -v23, v26, v31
	s_wait_alu 0xf1ff
	v_cndmask_b32_e64 v15, 0, v15, s0
	s_wait_alu 0xfffd
	s_delay_alu instid0(VALU_DEP_2) | instskip(SKIP_1) | instid1(VALU_DEP_2)
	v_div_fmas_f32 v14, v14, v25, v26
	v_cmp_nlt_f32_e32 vcc_lo, 0x42b17218, v27
	v_div_fixup_f32 v14, v14, v22, 1.0
	s_wait_alu 0xfffd
	s_delay_alu instid0(VALU_DEP_1) | instskip(NEXT) | instid1(VALU_DEP_1)
	v_dual_cndmask_b32 v15, 0x7f800000, v15 :: v_dual_mul_f32 v14, v35, v14
	v_add_f32_e32 v11, v15, v11
	s_delay_alu instid0(VALU_DEP_1) | instskip(NEXT) | instid1(VALU_DEP_1)
	v_max_num_f32_e32 v11, 0x800000, v11
	v_cmp_gt_f32_e32 vcc_lo, 0x800000, v11
	s_wait_alu 0xfffd
	v_cndmask_b32_e64 v16, 0, 32, vcc_lo
	v_cndmask_b32_e64 v25, 0, 0x411a209b, vcc_lo
	s_delay_alu instid0(VALU_DEP_2) | instskip(NEXT) | instid1(VALU_DEP_1)
	v_ldexp_f32 v11, v11, v16
	v_log_f32_e32 v11, v11
	s_delay_alu instid0(TRANS32_DEP_1)
	v_cmp_gt_f32_e64 vcc_lo, 0x7f800000, |v11|
	s_wait_loadcnt 0x0
	v_mul_f32_e32 v17, v10, v17
	v_mul_f32_e32 v15, v9, v14
	v_fma_f32 v14, v9, v14, 1.0
	global_store_b32 v[6:7], v17, off
	v_max_num_f32_e32 v23, 0x800000, v15
	v_div_scale_f32 v9, null, v14, v14, 1.0
	s_delay_alu instid0(VALU_DEP_2) | instskip(SKIP_1) | instid1(VALU_DEP_1)
	v_cmp_gt_f32_e64 s0, 0x800000, v23
	s_wait_alu 0xf1ff
	v_cndmask_b32_e64 v16, 0, 32, s0
	s_delay_alu instid0(VALU_DEP_1) | instskip(SKIP_1) | instid1(VALU_DEP_2)
	v_ldexp_f32 v16, v23, v16
	v_mul_f32_e32 v23, 0x3e9a209a, v11
	v_log_f32_e32 v16, v16
	s_delay_alu instid0(VALU_DEP_1) | instskip(NEXT) | instid1(VALU_DEP_1)
	v_fma_f32 v23, 0x3e9a209a, v11, -v23
	v_fmac_f32_e32 v23, 0x3284fbcf, v11
	s_delay_alu instid0(TRANS32_DEP_1) | instid1(VALU_DEP_1)
	v_dual_mul_f32 v24, 0x3e9a209a, v16 :: v_dual_fmac_f32 v23, 0x3e9a209a, v11
	s_delay_alu instid0(VALU_DEP_1) | instskip(SKIP_1) | instid1(VALU_DEP_2)
	v_fma_f32 v24, 0x3e9a209a, v16, -v24
	s_wait_alu 0xfffd
	v_cndmask_b32_e32 v11, v11, v23, vcc_lo
	v_cmp_gt_f32_e64 vcc_lo, 0x7f800000, |v16|
	v_cndmask_b32_e64 v23, 0, 0x411a209b, s0
	s_delay_alu instid0(VALU_DEP_3) | instskip(SKIP_1) | instid1(VALU_DEP_1)
	v_dual_fmac_f32 v24, 0x3284fbcf, v16 :: v_dual_sub_f32 v11, v11, v25
	v_rcp_f32_e32 v25, v9
	v_fmac_f32_e32 v24, 0x3e9a209a, v16
	s_wait_alu 0xfffd
	s_delay_alu instid0(VALU_DEP_1) | instskip(SKIP_1) | instid1(TRANS32_DEP_1)
	v_cndmask_b32_e32 v16, v16, v24, vcc_lo
	v_fmaak_f32 v24, s3, v11, 0x3ecccccd
	v_fma_f32 v27, -v9, v25, 1.0
	v_div_scale_f32 v29, vcc_lo, 1.0, v14, 1.0
	s_delay_alu instid0(VALU_DEP_4) | instskip(SKIP_1) | instid1(VALU_DEP_2)
	v_sub_f32_e32 v16, v16, v23
	v_fmaak_f32 v23, s4, v11, 0x3f400000
	v_dual_fmac_f32 v25, v27, v25 :: v_dual_sub_f32 v16, v16, v24
	s_delay_alu instid0(VALU_DEP_1) | instskip(NEXT) | instid1(VALU_DEP_1)
	v_fmac_f32_e32 v23, 0xbe0f5c29, v16
	v_div_scale_f32 v24, null, v23, v23, 1.0
	v_div_scale_f32 v27, s0, 1.0, v23, 1.0
	s_delay_alu instid0(VALU_DEP_2) | instskip(NEXT) | instid1(TRANS32_DEP_1)
	v_rcp_f32_e32 v26, v24
	v_fma_f32 v28, -v24, v26, 1.0
	s_delay_alu instid0(VALU_DEP_1) | instskip(SKIP_1) | instid1(VALU_DEP_2)
	v_fmac_f32_e32 v26, v28, v26
	v_mul_f32_e32 v28, v29, v25
	v_mul_f32_e32 v30, v27, v26
	s_delay_alu instid0(VALU_DEP_2) | instskip(NEXT) | instid1(VALU_DEP_2)
	v_fma_f32 v31, -v9, v28, v29
	v_fma_f32 v36, -v24, v30, v27
	s_delay_alu instid0(VALU_DEP_2) | instskip(NEXT) | instid1(VALU_DEP_2)
	v_fmac_f32_e32 v28, v31, v25
	v_fmac_f32_e32 v30, v36, v26
	s_delay_alu instid0(VALU_DEP_2) | instskip(NEXT) | instid1(VALU_DEP_2)
	v_fma_f32 v9, -v9, v28, v29
	v_fma_f32 v24, -v24, v30, v27
	s_wait_alu 0xfffd
	s_delay_alu instid0(VALU_DEP_2) | instskip(SKIP_3) | instid1(VALU_DEP_1)
	v_div_fmas_f32 v25, v9, v25, v28
	s_mov_b32 vcc_lo, s0
	s_wait_alu 0xfffe
	v_div_fmas_f32 v9, v24, v26, v30
	v_div_fixup_f32 v9, v9, v23, 1.0
	s_delay_alu instid0(VALU_DEP_1) | instskip(NEXT) | instid1(VALU_DEP_1)
	v_mul_f32_e32 v9, v16, v9
	v_fma_f32 v9, v9, v9, 1.0
	s_delay_alu instid0(VALU_DEP_1) | instskip(SKIP_1) | instid1(VALU_DEP_2)
	v_div_scale_f32 v16, null, v9, v9, 1.0
	v_div_scale_f32 v26, vcc_lo, 1.0, v9, 1.0
	v_rcp_f32_e32 v23, v16
	s_delay_alu instid0(TRANS32_DEP_1) | instskip(NEXT) | instid1(VALU_DEP_1)
	v_fma_f32 v24, -v16, v23, 1.0
	v_fmac_f32_e32 v23, v24, v23
	s_delay_alu instid0(VALU_DEP_1) | instskip(NEXT) | instid1(VALU_DEP_1)
	v_mul_f32_e32 v24, v26, v23
	v_fma_f32 v27, -v16, v24, v26
	s_delay_alu instid0(VALU_DEP_1) | instskip(NEXT) | instid1(VALU_DEP_1)
	v_fmac_f32_e32 v24, v27, v23
	v_fma_f32 v16, -v16, v24, v26
	s_wait_alu 0xfffd
	s_delay_alu instid0(VALU_DEP_1) | instskip(NEXT) | instid1(VALU_DEP_1)
	v_div_fmas_f32 v16, v16, v23, v24
	v_div_fixup_f32 v9, v16, v9, 1.0
	s_delay_alu instid0(VALU_DEP_1) | instskip(NEXT) | instid1(VALU_DEP_1)
	v_mul_f32_e32 v11, v11, v9
	v_mul_f32_e32 v9, 0x40549a78, v11
	s_delay_alu instid0(VALU_DEP_1) | instskip(SKIP_1) | instid1(VALU_DEP_2)
	v_fma_f32 v16, 0x40549a78, v11, -v9
	v_rndne_f32_e32 v23, v9
	v_fmac_f32_e32 v16, 0x33979a37, v11
	s_delay_alu instid0(VALU_DEP_2) | instskip(SKIP_1) | instid1(VALU_DEP_2)
	v_sub_f32_e32 v9, v9, v23
	v_cvt_i32_f32_e32 v7, v23
	v_add_f32_e32 v16, v9, v16
	v_add_co_u32 v9, vcc_lo, s10, v12
	s_wait_alu 0xfffd
	v_add_co_ci_u32_e64 v10, null, s11, v13, vcc_lo
	s_delay_alu instid0(VALU_DEP_3)
	v_exp_f32_e32 v6, v16
	v_cmp_ngt_f32_e32 vcc_lo, 0xc23369f4, v11
	v_div_fixup_f32 v12, v25, v14, 1.0
	global_load_b32 v13, v[9:10], off
	v_ldexp_f32 v6, v6, v7
	s_wait_alu 0xfffd
	s_delay_alu instid0(VALU_DEP_1)
	v_cndmask_b32_e32 v14, 0, v6, vcc_lo
	v_cmp_nlt_f32_e32 vcc_lo, 0x421a209b, v11
	v_mad_co_u64_u32 v[6:7], null, s2, 15, v[8:9]
	v_dual_mul_f32 v8, v15, v12 :: v_dual_mov_b32 v7, v1
	s_wait_alu 0xfffd
	v_cndmask_b32_e32 v11, 0x7f800000, v14, vcc_lo
	s_delay_alu instid0(VALU_DEP_1) | instskip(NEXT) | instid1(VALU_DEP_3)
	v_mul_f32_e32 v14, v8, v11
	v_lshlrev_b64_e32 v[7:8], 2, v[6:7]
	s_delay_alu instid0(VALU_DEP_2) | instskip(NEXT) | instid1(VALU_DEP_2)
	v_mul_f32_e32 v15, v22, v14
	v_add_co_u32 v11, vcc_lo, s8, v7
	s_wait_alu 0xfffd
	s_delay_alu instid0(VALU_DEP_3)
	v_add_co_ci_u32_e64 v12, null, s9, v8, vcc_lo
	global_store_b32 v[20:21], v15, off
	v_add_co_u32 v4, vcc_lo, s12, v4
	global_load_b32 v15, v[11:12], off
	s_wait_alu 0xfffd
	v_add_co_ci_u32_e64 v5, null, s13, v5, vcc_lo
	global_load_b32 v16, v[4:5], off
	v_add_co_u32 v4, vcc_lo, s10, v18
	s_wait_alu 0xfffd
	v_add_co_ci_u32_e64 v5, null, s11, v19, vcc_lo
	v_mul_f32_e32 v18, 0xc5d65c00, v32
	s_delay_alu instid0(VALU_DEP_1) | instskip(NEXT) | instid1(VALU_DEP_1)
	v_mul_f32_e32 v20, 0x3fb8aa3b, v18
	v_fma_f32 v21, 0x3fb8aa3b, v18, -v20
	v_rndne_f32_e32 v22, v20
	s_delay_alu instid0(VALU_DEP_2) | instskip(NEXT) | instid1(VALU_DEP_2)
	v_fmac_f32_e32 v21, 0x32a5705f, v18
	v_sub_f32_e32 v20, v20, v22
	s_wait_loadcnt 0x2
	v_mul_f32_e32 v0, v13, v0
	global_store_b32 v[9:10], v0, off
	global_load_b32 v9, v[4:5], off
	v_mul_f32_e32 v0, 0xba6f0d37, v33
	s_delay_alu instid0(VALU_DEP_1) | instskip(SKIP_1) | instid1(VALU_DEP_2)
	v_mul_f32_e32 v10, 0x3fb8aa3b, v0
	v_cmp_ngt_f32_e64 s0, 0xc2ce8ed0, v0
	v_fma_f32 v13, 0x3fb8aa3b, v0, -v10
	v_rndne_f32_e32 v17, v10
	s_delay_alu instid0(VALU_DEP_1) | instskip(SKIP_1) | instid1(VALU_DEP_2)
	v_dual_fmac_f32 v13, 0x32a5705f, v0 :: v_dual_sub_f32 v10, v10, v17
	v_cvt_i32_f32_e32 v17, v17
	v_add_f32_e32 v10, v10, v13
	s_delay_alu instid0(VALU_DEP_1) | instskip(SKIP_3) | instid1(VALU_DEP_2)
	v_exp_f32_e32 v10, v10
	s_wait_loadcnt 0x2
	v_div_scale_f32 v13, null, v15, v15, 1.0
	v_div_scale_f32 v23, vcc_lo, 1.0, v15, 1.0
	v_rcp_f32_e32 v19, v13
	s_delay_alu instid0(TRANS32_DEP_2) | instskip(SKIP_1) | instid1(VALU_DEP_1)
	v_ldexp_f32 v10, v10, v17
	s_wait_alu 0xf1ff
	v_cndmask_b32_e64 v10, 0, v10, s0
	v_cmp_nlt_f32_e64 s0, 0x42b17218, v0
	s_delay_alu instid0(TRANS32_DEP_1) | instskip(SKIP_1) | instid1(VALU_DEP_2)
	v_fma_f32 v17, -v13, v19, 1.0
	s_wait_alu 0xf1ff
	v_cndmask_b32_e64 v0, 0x7f800000, v10, s0
	v_cmp_ngt_f32_e64 s0, 0xc2ce8ed0, v18
	s_delay_alu instid0(VALU_DEP_3) | instskip(SKIP_3) | instid1(VALU_DEP_4)
	v_fmac_f32_e32 v19, v17, v19
	v_add_f32_e32 v17, v20, v21
	v_cvt_i32_f32_e32 v21, v22
	v_mul_f32_e32 v22, 0x3ca3d70a, v0
	v_mul_f32_e32 v20, v23, v19
	s_delay_alu instid0(VALU_DEP_4) | instskip(NEXT) | instid1(VALU_DEP_2)
	v_exp_f32_e32 v17, v17
	v_fmamk_f32 v0, v0, 0x3f7ae148, v22
	s_delay_alu instid0(VALU_DEP_2) | instskip(NEXT) | instid1(VALU_DEP_1)
	v_fma_f32 v10, -v13, v20, v23
	v_fmac_f32_e32 v20, v10, v19
	s_delay_alu instid0(TRANS32_DEP_1) | instskip(NEXT) | instid1(VALU_DEP_2)
	v_ldexp_f32 v10, v17, v21
	v_fma_f32 v13, -v13, v20, v23
	s_wait_alu 0xf1ff
	s_delay_alu instid0(VALU_DEP_2) | instskip(SKIP_1) | instid1(VALU_DEP_2)
	v_cndmask_b32_e64 v10, 0, v10, s0
	s_wait_alu 0xfffd
	v_div_fmas_f32 v13, v13, v19, v20
	v_cmp_nlt_f32_e32 vcc_lo, 0x42b17218, v18
	s_delay_alu instid0(VALU_DEP_2) | instskip(SKIP_2) | instid1(VALU_DEP_1)
	v_div_fixup_f32 v13, v13, v15, 1.0
	s_wait_alu 0xfffd
	v_cndmask_b32_e32 v10, 0x7f800000, v10, vcc_lo
	v_add_f32_e32 v0, v10, v0
	s_delay_alu instid0(VALU_DEP_3) | instskip(SKIP_1) | instid1(VALU_DEP_1)
	v_mul_f32_e32 v10, v35, v13
	s_wait_loadcnt 0x1
	v_dual_max_num_f32 v0, 0x800000, v0 :: v_dual_mul_f32 v13, v16, v10
	v_fma_f32 v10, v16, v10, 1.0
	s_delay_alu instid0(VALU_DEP_2) | instskip(NEXT) | instid1(VALU_DEP_3)
	v_cmp_gt_f32_e32 vcc_lo, 0x800000, v0
	v_max_num_f32_e32 v18, 0x800000, v13
	s_delay_alu instid0(VALU_DEP_3) | instskip(SKIP_2) | instid1(VALU_DEP_3)
	v_div_scale_f32 v16, null, v10, v10, 1.0
	s_wait_alu 0xfffd
	v_cndmask_b32_e64 v17, 0, 32, vcc_lo
	v_cmp_gt_f32_e64 s0, 0x800000, v18
	v_cndmask_b32_e64 v20, 0, 0x411a209b, vcc_lo
	s_delay_alu instid0(VALU_DEP_3) | instskip(SKIP_1) | instid1(VALU_DEP_3)
	v_ldexp_f32 v0, v0, v17
	s_wait_alu 0xf1ff
	v_cndmask_b32_e64 v17, 0, 32, s0
	s_delay_alu instid0(VALU_DEP_2) | instskip(NEXT) | instid1(VALU_DEP_1)
	v_log_f32_e32 v0, v0
	v_ldexp_f32 v17, v18, v17
	s_delay_alu instid0(VALU_DEP_1) | instskip(NEXT) | instid1(TRANS32_DEP_2)
	v_log_f32_e32 v17, v17
	v_mul_f32_e32 v18, 0x3e9a209a, v0
	v_cmp_gt_f32_e64 vcc_lo, 0x7f800000, |v0|
	s_delay_alu instid0(VALU_DEP_2) | instskip(NEXT) | instid1(TRANS32_DEP_1)
	v_fma_f32 v18, 0x3e9a209a, v0, -v18
	v_mul_f32_e32 v19, 0x3e9a209a, v17
	s_delay_alu instid0(VALU_DEP_2) | instskip(NEXT) | instid1(VALU_DEP_2)
	v_fmac_f32_e32 v18, 0x3284fbcf, v0
	v_fma_f32 v19, 0x3e9a209a, v17, -v19
	s_delay_alu instid0(VALU_DEP_2) | instskip(SKIP_1) | instid1(VALU_DEP_1)
	v_fmac_f32_e32 v18, 0x3e9a209a, v0
	s_wait_alu 0xfffd
	v_dual_fmac_f32 v19, 0x3284fbcf, v17 :: v_dual_cndmask_b32 v0, v0, v18
	s_delay_alu instid0(VALU_DEP_1) | instskip(SKIP_2) | instid1(VALU_DEP_4)
	v_fmac_f32_e32 v19, 0x3e9a209a, v17
	v_cmp_gt_f32_e64 vcc_lo, 0x7f800000, |v17|
	v_cndmask_b32_e64 v18, 0, 0x411a209b, s0
	v_sub_f32_e32 v0, v0, v20
	v_rcp_f32_e32 v20, v16
	s_wait_alu 0xfffd
	v_cndmask_b32_e32 v17, v17, v19, vcc_lo
	v_div_scale_f32 v24, vcc_lo, 1.0, v10, 1.0
	v_fmaak_f32 v19, s3, v0, 0x3ecccccd
	s_delay_alu instid0(VALU_DEP_3) | instskip(NEXT) | instid1(TRANS32_DEP_1)
	v_dual_sub_f32 v17, v17, v18 :: v_dual_fmaak_f32 v18, s4, v0, 0x3f400000
	v_fma_f32 v22, -v16, v20, 1.0
	s_delay_alu instid0(VALU_DEP_1) | instskip(NEXT) | instid1(VALU_DEP_1)
	v_dual_sub_f32 v17, v17, v19 :: v_dual_fmac_f32 v20, v22, v20
	v_fmac_f32_e32 v18, 0xbe0f5c29, v17
	s_delay_alu instid0(VALU_DEP_1) | instskip(SKIP_1) | instid1(VALU_DEP_2)
	v_div_scale_f32 v19, null, v18, v18, 1.0
	v_div_scale_f32 v22, s0, 1.0, v18, 1.0
	v_rcp_f32_e32 v21, v19
	s_delay_alu instid0(TRANS32_DEP_1) | instskip(NEXT) | instid1(VALU_DEP_1)
	v_fma_f32 v23, -v19, v21, 1.0
	v_fmac_f32_e32 v21, v23, v21
	v_mul_f32_e32 v23, v24, v20
	s_delay_alu instid0(VALU_DEP_2) | instskip(NEXT) | instid1(VALU_DEP_2)
	v_mul_f32_e32 v25, v22, v21
	v_fma_f32 v26, -v16, v23, v24
	s_delay_alu instid0(VALU_DEP_2) | instskip(NEXT) | instid1(VALU_DEP_2)
	v_fma_f32 v27, -v19, v25, v22
	v_fmac_f32_e32 v23, v26, v20
	s_delay_alu instid0(VALU_DEP_2) | instskip(NEXT) | instid1(VALU_DEP_2)
	v_fmac_f32_e32 v25, v27, v21
	v_fma_f32 v16, -v16, v23, v24
	s_delay_alu instid0(VALU_DEP_2) | instskip(SKIP_1) | instid1(VALU_DEP_2)
	v_fma_f32 v19, -v19, v25, v22
	s_wait_alu 0xfffd
	v_div_fmas_f32 v16, v16, v20, v23
	s_mov_b32 vcc_lo, s0
	s_wait_alu 0xfffe
	v_div_fmas_f32 v19, v19, v21, v25
	s_delay_alu instid0(VALU_DEP_2) | instskip(SKIP_1) | instid1(VALU_DEP_3)
	v_div_fixup_f32 v10, v16, v10, 1.0
	v_mul_f32_e32 v16, 0xc73be100, v32
	v_div_fixup_f32 v18, v19, v18, 1.0
	s_delay_alu instid0(VALU_DEP_1) | instskip(NEXT) | instid1(VALU_DEP_1)
	v_mul_f32_e32 v17, v17, v18
	v_fma_f32 v17, v17, v17, 1.0
	s_delay_alu instid0(VALU_DEP_1) | instskip(SKIP_1) | instid1(VALU_DEP_2)
	v_div_scale_f32 v18, null, v17, v17, 1.0
	v_div_scale_f32 v21, vcc_lo, 1.0, v17, 1.0
	v_rcp_f32_e32 v19, v18
	s_delay_alu instid0(TRANS32_DEP_1) | instskip(NEXT) | instid1(VALU_DEP_1)
	v_fma_f32 v20, -v18, v19, 1.0
	v_fmac_f32_e32 v19, v20, v19
	s_delay_alu instid0(VALU_DEP_1) | instskip(NEXT) | instid1(VALU_DEP_1)
	v_mul_f32_e32 v20, v21, v19
	v_fma_f32 v22, -v18, v20, v21
	s_delay_alu instid0(VALU_DEP_1) | instskip(NEXT) | instid1(VALU_DEP_1)
	v_fmac_f32_e32 v20, v22, v19
	v_fma_f32 v18, -v18, v20, v21
	s_wait_alu 0xfffd
	s_delay_alu instid0(VALU_DEP_1) | instskip(NEXT) | instid1(VALU_DEP_1)
	v_div_fmas_f32 v18, v18, v19, v20
	v_div_fixup_f32 v17, v18, v17, 1.0
	s_delay_alu instid0(VALU_DEP_1) | instskip(NEXT) | instid1(VALU_DEP_1)
	v_mul_f32_e32 v17, v0, v17
	v_mul_f32_e32 v0, 0x40549a78, v17
	v_cmp_ngt_f32_e32 vcc_lo, 0xc23369f4, v17
	s_delay_alu instid0(VALU_DEP_2) | instskip(SKIP_1) | instid1(VALU_DEP_2)
	v_fma_f32 v18, 0x40549a78, v17, -v0
	v_rndne_f32_e32 v19, v0
	v_fmac_f32_e32 v18, 0x33979a37, v17
	s_delay_alu instid0(VALU_DEP_2) | instskip(NEXT) | instid1(VALU_DEP_1)
	v_sub_f32_e32 v0, v0, v19
	v_add_f32_e32 v0, v0, v18
	v_cvt_i32_f32_e32 v18, v19
	s_delay_alu instid0(VALU_DEP_2) | instskip(SKIP_2) | instid1(TRANS32_DEP_1)
	v_exp_f32_e32 v0, v0
	s_wait_loadcnt 0x0
	v_mul_f32_e32 v9, v9, v14
	v_ldexp_f32 v18, v0, v18
	v_add_nc_u32_e32 v0, s6, v6
	global_store_b32 v[4:5], v9, off
	s_wait_alu 0xfffd
	v_cndmask_b32_e32 v14, 0, v18, vcc_lo
	v_add_co_u32 v6, vcc_lo, s10, v7
	s_wait_alu 0xfffd
	v_add_co_ci_u32_e64 v7, null, s11, v8, vcc_lo
	v_cmp_nlt_f32_e32 vcc_lo, 0x421a209b, v17
	v_mul_f32_e32 v8, v13, v10
	v_lshlrev_b64_e32 v[0:1], 2, v[0:1]
	global_load_b32 v9, v[6:7], off
	v_mul_f32_e32 v17, 0x3fb8aa3b, v16
	s_wait_alu 0xfffd
	v_cndmask_b32_e32 v10, 0x7f800000, v14, vcc_lo
	v_add_co_u32 v4, vcc_lo, s8, v0
	s_delay_alu instid0(VALU_DEP_2) | instskip(SKIP_3) | instid1(VALU_DEP_3)
	v_mul_f32_e32 v8, v8, v10
	s_wait_alu 0xfffd
	v_add_co_ci_u32_e64 v5, null, s9, v1, vcc_lo
	v_add_co_u32 v2, vcc_lo, s12, v2
	v_mul_f32_e32 v10, v15, v8
	s_wait_alu 0xfffd
	v_add_co_ci_u32_e64 v3, null, s13, v3, vcc_lo
	v_add_co_u32 v0, vcc_lo, s10, v0
	global_store_b32 v[11:12], v10, off
	global_load_b32 v10, v[4:5], off
	global_load_b32 v2, v[2:3], off
	v_mul_f32_e32 v3, 0xba83126f, v33
	v_mul_f32_e32 v11, 0xba481c24, v33
	s_wait_alu 0xfffd
	v_add_co_ci_u32_e64 v1, null, s11, v1, vcc_lo
	v_rndne_f32_e32 v18, v17
	v_mul_f32_e32 v12, 0x3fb8aa3b, v3
	v_cmp_ngt_f32_e64 s0, 0xc2ce8ed0, v3
	s_delay_alu instid0(VALU_DEP_2) | instskip(SKIP_1) | instid1(VALU_DEP_1)
	v_fma_f32 v13, 0x3fb8aa3b, v3, -v12
	s_wait_loadcnt 0x2
	v_dual_fmac_f32 v13, 0x32a5705f, v3 :: v_dual_mul_f32 v8, v9, v8
	v_mul_f32_e32 v9, 0x3fb8aa3b, v11
	global_store_b32 v[6:7], v8, off
	v_rndne_f32_e32 v7, v12
	global_load_b32 v6, v[0:1], off
	v_fma_f32 v8, 0x3fb8aa3b, v11, -v9
	v_rndne_f32_e32 v14, v9
	v_sub_f32_e32 v12, v12, v7
	v_cvt_i32_f32_e32 v7, v7
	s_delay_alu instid0(VALU_DEP_3) | instskip(SKIP_1) | instid1(VALU_DEP_4)
	v_dual_fmac_f32 v8, 0x32a5705f, v11 :: v_dual_sub_f32 v9, v9, v14
	v_cvt_i32_f32_e32 v14, v14
	v_add_f32_e32 v12, v12, v13
	s_wait_loadcnt 0x2
	v_div_scale_f32 v15, null, v10, v10, 1.0
	v_add_f32_e32 v8, v9, v8
	s_delay_alu instid0(VALU_DEP_3) | instskip(SKIP_1) | instid1(VALU_DEP_3)
	v_exp_f32_e32 v9, v12
	v_fma_f32 v12, 0x3fb8aa3b, v16, -v17
	v_rcp_f32_e32 v13, v15
	v_sub_f32_e32 v17, v17, v18
	v_exp_f32_e32 v8, v8
	v_div_scale_f32 v20, vcc_lo, 1.0, v10, 1.0
	v_fmac_f32_e32 v12, 0x32a5705f, v16
	s_delay_alu instid0(TRANS32_DEP_3) | instskip(NEXT) | instid1(TRANS32_DEP_2)
	v_ldexp_f32 v7, v9, v7
	v_fma_f32 v19, -v15, v13, 1.0
	s_delay_alu instid0(VALU_DEP_3) | instskip(NEXT) | instid1(TRANS32_DEP_1)
	v_add_f32_e32 v9, v17, v12
	v_ldexp_f32 v8, v8, v14
	s_wait_alu 0xf1ff
	v_cndmask_b32_e64 v7, 0, v7, s0
	v_cmp_ngt_f32_e64 s0, 0xc2ce8ed0, v11
	v_fmac_f32_e32 v13, v19, v13
	v_exp_f32_e32 v9, v9
	s_wait_alu 0xf1ff
	s_delay_alu instid0(VALU_DEP_2) | instskip(NEXT) | instid1(VALU_DEP_2)
	v_cndmask_b32_e64 v8, 0, v8, s0
	v_mul_f32_e32 v12, v20, v13
	v_cmp_nlt_f32_e64 s0, 0x42b17218, v3
	s_delay_alu instid0(VALU_DEP_2) | instskip(SKIP_1) | instid1(VALU_DEP_2)
	v_fma_f32 v14, -v15, v12, v20
	s_wait_alu 0xf1ff
	v_cndmask_b32_e64 v3, 0x7f800000, v7, s0
	v_cmp_nlt_f32_e64 s0, 0x42b17218, v11
	v_cvt_i32_f32_e32 v7, v18
	v_fmac_f32_e32 v12, v14, v13
	s_wait_alu 0xf1ff
	s_delay_alu instid0(VALU_DEP_3) | instskip(NEXT) | instid1(VALU_DEP_3)
	v_cndmask_b32_e64 v8, 0x7f800000, v8, s0
	v_ldexp_f32 v7, v9, v7
	v_cmp_ngt_f32_e64 s0, 0xc2ce8ed0, v16
	s_delay_alu instid0(VALU_DEP_3) | instskip(SKIP_2) | instid1(VALU_DEP_3)
	v_fmac_f32_e32 v8, 0, v3
	v_fma_f32 v3, -v15, v12, v20
	s_wait_alu 0xf1ff
	v_cndmask_b32_e64 v7, 0, v7, s0
	s_wait_alu 0xfffd
	s_delay_alu instid0(VALU_DEP_2) | instskip(SKIP_1) | instid1(VALU_DEP_2)
	v_div_fmas_f32 v3, v3, v13, v12
	v_cmp_nlt_f32_e32 vcc_lo, 0x42b17218, v16
	v_div_fixup_f32 v3, v3, v10, 1.0
	s_wait_alu 0xfffd
	v_cndmask_b32_e32 v7, 0x7f800000, v7, vcc_lo
	s_delay_alu instid0(VALU_DEP_2) | instskip(SKIP_1) | instid1(VALU_DEP_1)
	v_mul_f32_e32 v3, v34, v3
	s_wait_loadcnt 0x1
	v_dual_add_f32 v7, v7, v8 :: v_dual_mul_f32 v8, v2, v3
	s_delay_alu instid0(VALU_DEP_1) | instskip(SKIP_1) | instid1(VALU_DEP_3)
	v_max_num_f32_e32 v7, 0x800000, v7
	v_fma_f32 v2, v2, v3, 1.0
	v_max_num_f32_e32 v11, 0x800000, v8
	s_delay_alu instid0(VALU_DEP_3) | instskip(NEXT) | instid1(VALU_DEP_3)
	v_cmp_gt_f32_e32 vcc_lo, 0x800000, v7
	v_div_scale_f32 v3, null, v2, v2, 1.0
	s_delay_alu instid0(VALU_DEP_3) | instskip(SKIP_3) | instid1(VALU_DEP_2)
	v_cmp_gt_f32_e64 s0, 0x800000, v11
	s_wait_alu 0xfffd
	v_cndmask_b32_e64 v9, 0, 32, vcc_lo
	v_cndmask_b32_e64 v13, 0, 0x411a209b, vcc_lo
	v_ldexp_f32 v7, v7, v9
	s_wait_alu 0xf1ff
	v_cndmask_b32_e64 v9, 0, 32, s0
	s_delay_alu instid0(VALU_DEP_2) | instskip(NEXT) | instid1(VALU_DEP_1)
	v_log_f32_e32 v7, v7
	v_ldexp_f32 v9, v11, v9
	s_delay_alu instid0(VALU_DEP_1) | instskip(NEXT) | instid1(TRANS32_DEP_2)
	v_log_f32_e32 v9, v9
	v_mul_f32_e32 v11, 0x3e9a209a, v7
	v_cmp_gt_f32_e64 vcc_lo, 0x7f800000, |v7|
	s_delay_alu instid0(VALU_DEP_2) | instskip(NEXT) | instid1(TRANS32_DEP_1)
	v_fma_f32 v11, 0x3e9a209a, v7, -v11
	v_mul_f32_e32 v12, 0x3e9a209a, v9
	s_delay_alu instid0(VALU_DEP_2) | instskip(NEXT) | instid1(VALU_DEP_2)
	v_fmac_f32_e32 v11, 0x3284fbcf, v7
	v_fma_f32 v12, 0x3e9a209a, v9, -v12
	s_delay_alu instid0(VALU_DEP_2) | instskip(SKIP_1) | instid1(VALU_DEP_1)
	v_fmac_f32_e32 v11, 0x3e9a209a, v7
	s_wait_alu 0xfffd
	v_dual_fmac_f32 v12, 0x3284fbcf, v9 :: v_dual_cndmask_b32 v7, v7, v11
	s_delay_alu instid0(VALU_DEP_1) | instskip(SKIP_2) | instid1(VALU_DEP_4)
	v_fmac_f32_e32 v12, 0x3e9a209a, v9
	v_cmp_gt_f32_e64 vcc_lo, 0x7f800000, |v9|
	v_cndmask_b32_e64 v11, 0, 0x411a209b, s0
	v_sub_f32_e32 v7, v7, v13
	v_rcp_f32_e32 v13, v3
	s_wait_alu 0xfffd
	v_cndmask_b32_e32 v9, v9, v12, vcc_lo
	v_div_scale_f32 v17, vcc_lo, 1.0, v2, 1.0
	v_fmaak_f32 v12, s3, v7, 0x3ecccccd
	s_delay_alu instid0(VALU_DEP_3) | instskip(SKIP_1) | instid1(TRANS32_DEP_1)
	v_sub_f32_e32 v9, v9, v11
	v_fmaak_f32 v11, s4, v7, 0x3f400000
	v_fma_f32 v15, -v3, v13, 1.0
	s_delay_alu instid0(VALU_DEP_3) | instskip(NEXT) | instid1(VALU_DEP_2)
	v_sub_f32_e32 v9, v9, v12
	v_fmac_f32_e32 v13, v15, v13
	s_delay_alu instid0(VALU_DEP_2) | instskip(NEXT) | instid1(VALU_DEP_1)
	v_fmac_f32_e32 v11, 0xbe0f5c29, v9
	v_div_scale_f32 v12, null, v11, v11, 1.0
	v_div_scale_f32 v15, s0, 1.0, v11, 1.0
	s_delay_alu instid0(VALU_DEP_2) | instskip(NEXT) | instid1(TRANS32_DEP_1)
	v_rcp_f32_e32 v14, v12
	v_fma_f32 v16, -v12, v14, 1.0
	s_delay_alu instid0(VALU_DEP_1) | instskip(SKIP_1) | instid1(VALU_DEP_2)
	v_fmac_f32_e32 v14, v16, v14
	v_mul_f32_e32 v16, v17, v13
	v_mul_f32_e32 v18, v15, v14
	s_delay_alu instid0(VALU_DEP_2) | instskip(NEXT) | instid1(VALU_DEP_2)
	v_fma_f32 v19, -v3, v16, v17
	v_fma_f32 v20, -v12, v18, v15
	s_delay_alu instid0(VALU_DEP_2) | instskip(NEXT) | instid1(VALU_DEP_2)
	v_fmac_f32_e32 v16, v19, v13
	v_fmac_f32_e32 v18, v20, v14
	s_delay_alu instid0(VALU_DEP_2) | instskip(NEXT) | instid1(VALU_DEP_2)
	v_fma_f32 v3, -v3, v16, v17
	v_fma_f32 v12, -v12, v18, v15
	s_wait_alu 0xfffd
	s_delay_alu instid0(VALU_DEP_2) | instskip(SKIP_3) | instid1(VALU_DEP_2)
	v_div_fmas_f32 v3, v3, v13, v16
	s_mov_b32 vcc_lo, s0
	s_wait_alu 0xfffe
	v_div_fmas_f32 v12, v12, v14, v18
	v_div_fixup_f32 v2, v3, v2, 1.0
	s_delay_alu instid0(VALU_DEP_2) | instskip(NEXT) | instid1(VALU_DEP_1)
	v_div_fixup_f32 v11, v12, v11, 1.0
	v_dual_mul_f32 v2, v8, v2 :: v_dual_mul_f32 v9, v9, v11
	s_delay_alu instid0(VALU_DEP_1) | instskip(NEXT) | instid1(VALU_DEP_1)
	v_fma_f32 v9, v9, v9, 1.0
	v_div_scale_f32 v11, null, v9, v9, 1.0
	v_div_scale_f32 v14, vcc_lo, 1.0, v9, 1.0
	s_delay_alu instid0(VALU_DEP_2) | instskip(NEXT) | instid1(TRANS32_DEP_1)
	v_rcp_f32_e32 v12, v11
	v_fma_f32 v13, -v11, v12, 1.0
	s_delay_alu instid0(VALU_DEP_1) | instskip(NEXT) | instid1(VALU_DEP_1)
	v_fmac_f32_e32 v12, v13, v12
	v_mul_f32_e32 v13, v14, v12
	s_delay_alu instid0(VALU_DEP_1) | instskip(NEXT) | instid1(VALU_DEP_1)
	v_fma_f32 v15, -v11, v13, v14
	v_fmac_f32_e32 v13, v15, v12
	s_delay_alu instid0(VALU_DEP_1) | instskip(SKIP_1) | instid1(VALU_DEP_1)
	v_fma_f32 v11, -v11, v13, v14
	s_wait_alu 0xfffd
	v_div_fmas_f32 v11, v11, v12, v13
	s_delay_alu instid0(VALU_DEP_1) | instskip(NEXT) | instid1(VALU_DEP_1)
	v_div_fixup_f32 v9, v11, v9, 1.0
	v_mul_f32_e32 v7, v7, v9
	s_delay_alu instid0(VALU_DEP_1) | instskip(SKIP_1) | instid1(VALU_DEP_2)
	v_mul_f32_e32 v9, 0x40549a78, v7
	v_cmp_ngt_f32_e32 vcc_lo, 0xc23369f4, v7
	v_fma_f32 v11, 0x40549a78, v7, -v9
	v_rndne_f32_e32 v12, v9
	s_delay_alu instid0(VALU_DEP_2) | instskip(NEXT) | instid1(VALU_DEP_2)
	v_fmac_f32_e32 v11, 0x33979a37, v7
	v_sub_f32_e32 v9, v9, v12
	s_delay_alu instid0(VALU_DEP_1) | instskip(SKIP_1) | instid1(VALU_DEP_2)
	v_add_f32_e32 v9, v9, v11
	v_cvt_i32_f32_e32 v11, v12
	v_exp_f32_e32 v9, v9
	s_delay_alu instid0(TRANS32_DEP_1) | instskip(SKIP_1) | instid1(VALU_DEP_1)
	v_ldexp_f32 v9, v9, v11
	s_wait_alu 0xfffd
	v_cndmask_b32_e32 v3, 0, v9, vcc_lo
	v_cmp_nlt_f32_e32 vcc_lo, 0x421a209b, v7
	s_wait_alu 0xfffd
	s_delay_alu instid0(VALU_DEP_2) | instskip(NEXT) | instid1(VALU_DEP_1)
	v_cndmask_b32_e32 v3, 0x7f800000, v3, vcc_lo
	v_mul_f32_e32 v2, v2, v3
	s_delay_alu instid0(VALU_DEP_1)
	v_mul_f32_e32 v3, v10, v2
	s_wait_loadcnt 0x0
	v_mul_f32_e32 v2, v6, v2
	global_store_b32 v[4:5], v3, off
	global_store_b32 v[0:1], v2, off
	s_endpgm
	.section	.rodata,"a",@progbits
	.p2align	6, 0x0
	.amdhsa_kernel _Z12ratxb_kernelIfEvPKT_S2_PS0_S3_S2_S0_
		.amdhsa_group_segment_fixed_size 0
		.amdhsa_private_segment_fixed_size 0
		.amdhsa_kernarg_size 304
		.amdhsa_user_sgpr_count 2
		.amdhsa_user_sgpr_dispatch_ptr 0
		.amdhsa_user_sgpr_queue_ptr 0
		.amdhsa_user_sgpr_kernarg_segment_ptr 1
		.amdhsa_user_sgpr_dispatch_id 0
		.amdhsa_user_sgpr_private_segment_size 0
		.amdhsa_wavefront_size32 1
		.amdhsa_uses_dynamic_stack 0
		.amdhsa_enable_private_segment 0
		.amdhsa_system_sgpr_workgroup_id_x 1
		.amdhsa_system_sgpr_workgroup_id_y 0
		.amdhsa_system_sgpr_workgroup_id_z 0
		.amdhsa_system_sgpr_workgroup_info 0
		.amdhsa_system_vgpr_workitem_id 0
		.amdhsa_next_free_vgpr 72
		.amdhsa_next_free_sgpr 15
		.amdhsa_reserve_vcc 1
		.amdhsa_float_round_mode_32 0
		.amdhsa_float_round_mode_16_64 0
		.amdhsa_float_denorm_mode_32 3
		.amdhsa_float_denorm_mode_16_64 3
		.amdhsa_fp16_overflow 0
		.amdhsa_workgroup_processor_mode 1
		.amdhsa_memory_ordered 1
		.amdhsa_forward_progress 1
		.amdhsa_inst_pref_size 120
		.amdhsa_round_robin_scheduling 0
		.amdhsa_exception_fp_ieee_invalid_op 0
		.amdhsa_exception_fp_denorm_src 0
		.amdhsa_exception_fp_ieee_div_zero 0
		.amdhsa_exception_fp_ieee_overflow 0
		.amdhsa_exception_fp_ieee_underflow 0
		.amdhsa_exception_fp_ieee_inexact 0
		.amdhsa_exception_int_div_zero 0
	.end_amdhsa_kernel
	.section	.text._Z12ratxb_kernelIfEvPKT_S2_PS0_S3_S2_S0_,"axG",@progbits,_Z12ratxb_kernelIfEvPKT_S2_PS0_S3_S2_S0_,comdat
.Lfunc_end13:
	.size	_Z12ratxb_kernelIfEvPKT_S2_PS0_S3_S2_S0_, .Lfunc_end13-_Z12ratxb_kernelIfEvPKT_S2_PS0_S3_S2_S0_
                                        ; -- End function
	.set _Z12ratxb_kernelIfEvPKT_S2_PS0_S3_S2_S0_.num_vgpr, 72
	.set _Z12ratxb_kernelIfEvPKT_S2_PS0_S3_S2_S0_.num_agpr, 0
	.set _Z12ratxb_kernelIfEvPKT_S2_PS0_S3_S2_S0_.numbered_sgpr, 15
	.set _Z12ratxb_kernelIfEvPKT_S2_PS0_S3_S2_S0_.num_named_barrier, 0
	.set _Z12ratxb_kernelIfEvPKT_S2_PS0_S3_S2_S0_.private_seg_size, 0
	.set _Z12ratxb_kernelIfEvPKT_S2_PS0_S3_S2_S0_.uses_vcc, 1
	.set _Z12ratxb_kernelIfEvPKT_S2_PS0_S3_S2_S0_.uses_flat_scratch, 0
	.set _Z12ratxb_kernelIfEvPKT_S2_PS0_S3_S2_S0_.has_dyn_sized_stack, 0
	.set _Z12ratxb_kernelIfEvPKT_S2_PS0_S3_S2_S0_.has_recursion, 0
	.set _Z12ratxb_kernelIfEvPKT_S2_PS0_S3_S2_S0_.has_indirect_call, 0
	.section	.AMDGPU.csdata,"",@progbits
; Kernel info:
; codeLenInByte = 15320
; TotalNumSgprs: 17
; NumVgprs: 72
; ScratchSize: 0
; MemoryBound: 0
; FloatMode: 240
; IeeeMode: 1
; LDSByteSize: 0 bytes/workgroup (compile time only)
; SGPRBlocks: 0
; VGPRBlocks: 8
; NumSGPRsForWavesPerEU: 17
; NumVGPRsForWavesPerEU: 72
; Occupancy: 16
; WaveLimiterHint : 0
; COMPUTE_PGM_RSRC2:SCRATCH_EN: 0
; COMPUTE_PGM_RSRC2:USER_SGPR: 2
; COMPUTE_PGM_RSRC2:TRAP_HANDLER: 0
; COMPUTE_PGM_RSRC2:TGID_X_EN: 1
; COMPUTE_PGM_RSRC2:TGID_Y_EN: 0
; COMPUTE_PGM_RSRC2:TGID_Z_EN: 0
; COMPUTE_PGM_RSRC2:TIDIG_COMP_CNT: 0
	.section	.text._Z12ratx2_kernelIfEvPKT_PS0_S3_,"axG",@progbits,_Z12ratx2_kernelIfEvPKT_PS0_S3_,comdat
	.protected	_Z12ratx2_kernelIfEvPKT_PS0_S3_ ; -- Begin function _Z12ratx2_kernelIfEvPKT_PS0_S3_
	.globl	_Z12ratx2_kernelIfEvPKT_PS0_S3_
	.p2align	8
	.type	_Z12ratx2_kernelIfEvPKT_PS0_S3_,@function
_Z12ratx2_kernelIfEvPKT_PS0_S3_:        ; @_Z12ratx2_kernelIfEvPKT_PS0_S3_
; %bb.0:
	s_clause 0x2
	s_load_b128 s[4:7], s[0:1], 0x0
	s_load_b32 s2, s[0:1], 0x18
	s_load_b32 s0, s[0:1], 0x24
	s_wait_kmcnt 0x0
	s_and_b32 s0, s0, 0xffff
	s_delay_alu instid0(SALU_CYCLE_1)
	v_mad_co_u64_u32 v[0:1], null, ttmp9, s0, v[0:1]
	s_mul_i32 s0, s2, s0
	v_mov_b32_e32 v1, 0
	s_wait_alu 0xfffe
	s_lshl_b32 s1, s0, 1
	v_add_nc_u32_e32 v2, s0, v0
	s_delay_alu instid0(VALU_DEP_2) | instskip(NEXT) | instid1(VALU_DEP_1)
	v_lshlrev_b64_e32 v[6:7], 2, v[0:1]
	v_add_co_u32 v8, vcc_lo, s6, v6
	s_delay_alu instid0(VALU_DEP_1) | instskip(SKIP_2) | instid1(VALU_DEP_1)
	v_add_co_ci_u32_e64 v9, null, s7, v7, vcc_lo
	global_load_b32 v12, v[8:9], off
	v_mov_b32_e32 v3, v1
	v_lshlrev_b64_e32 v[10:11], 2, v[2:3]
	s_wait_alu 0xfffe
	v_add_nc_u32_e32 v2, s1, v2
	s_delay_alu instid0(VALU_DEP_2) | instskip(SKIP_1) | instid1(VALU_DEP_3)
	v_add_co_u32 v4, vcc_lo, s4, v10
	s_wait_alu 0xfffd
	v_add_co_ci_u32_e64 v5, null, s5, v11, vcc_lo
	global_load_b32 v42, v[4:5], off
	v_add_nc_u32_e32 v0, s1, v0
	s_wait_loadcnt 0x0
	v_mul_f32_e32 v14, v12, v42
	v_lshlrev_b64_e32 v[12:13], 2, v[2:3]
	s_delay_alu instid0(VALU_DEP_1) | instskip(SKIP_1) | instid1(VALU_DEP_2)
	v_add_co_u32 v2, vcc_lo, s4, v12
	s_wait_alu 0xfffd
	v_add_co_ci_u32_e64 v3, null, s5, v13, vcc_lo
	v_add_co_u32 v10, vcc_lo, s6, v10
	s_wait_alu 0xfffd
	v_add_co_ci_u32_e64 v11, null, s7, v11, vcc_lo
	global_load_b32 v16, v[2:3], off
	s_wait_loadcnt 0x0
	v_mul_f32_e32 v14, v14, v16
	global_store_b32 v[8:9], v14, off
	v_lshlrev_b64_e32 v[14:15], 2, v[0:1]
	global_load_b32 v17, v[10:11], off
	v_add_nc_u32_e32 v0, s1, v0
	v_add_co_u32 v8, vcc_lo, s4, v14
	s_wait_alu 0xfffd
	v_add_co_ci_u32_e64 v9, null, s5, v15, vcc_lo
	v_add_co_u32 v34, vcc_lo, s4, v6
	s_wait_alu 0xfffd
	v_add_co_ci_u32_e64 v35, null, s5, v7, vcc_lo
	s_clause 0x1
	global_load_b32 v43, v[8:9], off
	global_load_b32 v18, v[34:35], off
	s_wait_loadcnt 0x1
	v_mul_f32_e32 v17, v17, v43
	s_wait_loadcnt 0x0
	s_delay_alu instid0(VALU_DEP_1)
	v_mul_f32_e32 v6, v17, v18
	global_store_b32 v[10:11], v6, off
	v_lshlrev_b64_e32 v[6:7], 2, v[0:1]
	v_add_co_u32 v10, vcc_lo, s6, v14
	s_wait_alu 0xfffd
	v_add_co_ci_u32_e64 v11, null, s7, v15, vcc_lo
	v_add_nc_u32_e32 v0, s0, v0
	s_delay_alu instid0(VALU_DEP_4)
	v_add_co_u32 v6, vcc_lo, s4, v6
	s_wait_alu 0xfffd
	v_add_co_ci_u32_e64 v7, null, s5, v7, vcc_lo
	global_load_b32 v14, v[10:11], off
	global_load_b32 v44, v[6:7], off
	s_wait_loadcnt 0x0
	v_mul_f32_e32 v14, v14, v44
	s_delay_alu instid0(VALU_DEP_1)
	v_mul_f32_e32 v14, v18, v14
	global_store_b32 v[10:11], v14, off
	v_add_co_u32 v10, vcc_lo, s6, v12
	s_wait_alu 0xfffd
	v_add_co_ci_u32_e64 v11, null, s7, v13, vcc_lo
	global_load_b32 v12, v[10:11], off
	s_wait_loadcnt 0x0
	v_mul_f32_e32 v12, v44, v12
	s_delay_alu instid0(VALU_DEP_1) | instskip(SKIP_3) | instid1(VALU_DEP_2)
	v_mul_f32_e32 v12, v44, v12
	global_store_b32 v[10:11], v12, off
	v_lshlrev_b64_e32 v[10:11], 2, v[0:1]
	v_add_nc_u32_e32 v0, s0, v0
	v_add_co_u32 v12, vcc_lo, s6, v10
	s_wait_alu 0xfffd
	s_delay_alu instid0(VALU_DEP_3) | instskip(SKIP_3) | instid1(VALU_DEP_1)
	v_add_co_ci_u32_e64 v13, null, s7, v11, vcc_lo
	global_load_b32 v14, v[12:13], off
	s_wait_loadcnt 0x0
	v_mul_f32_e32 v14, v42, v14
	v_mul_f32_e32 v14, v42, v14
	s_delay_alu instid0(VALU_DEP_1) | instskip(SKIP_3) | instid1(VALU_DEP_2)
	v_mul_f32_e32 v14, v18, v14
	global_store_b32 v[12:13], v14, off
	v_lshlrev_b64_e32 v[12:13], 2, v[0:1]
	v_add_nc_u32_e32 v0, s0, v0
	v_add_co_u32 v14, vcc_lo, s6, v12
	s_wait_alu 0xfffd
	s_delay_alu instid0(VALU_DEP_3)
	v_add_co_ci_u32_e64 v15, null, s7, v13, vcc_lo
	v_add_co_u32 v32, vcc_lo, s4, v10
	s_wait_alu 0xfffd
	v_add_co_ci_u32_e64 v33, null, s5, v11, vcc_lo
	global_load_b32 v17, v[14:15], off
	v_lshlrev_b64_e32 v[18:19], 2, v[0:1]
	v_lshl_add_u32 v0, s0, 2, v0
	global_load_b32 v20, v[32:33], off
	s_wait_loadcnt 0x1
	v_mul_f32_e32 v17, v42, v17
	s_delay_alu instid0(VALU_DEP_1) | instskip(SKIP_1) | instid1(VALU_DEP_1)
	v_mul_f32_e32 v17, v42, v17
	s_wait_loadcnt 0x0
	v_mul_f32_e32 v10, v20, v17
	global_store_b32 v[14:15], v10, off
	v_add_co_u32 v10, vcc_lo, s6, v18
	s_wait_alu 0xfffd
	v_add_co_ci_u32_e64 v11, null, s7, v19, vcc_lo
	global_load_b32 v14, v[10:11], off
	s_wait_loadcnt 0x0
	v_mul_f32_e32 v14, v42, v14
	s_delay_alu instid0(VALU_DEP_1) | instskip(SKIP_2) | instid1(VALU_DEP_2)
	v_mul_f32_e32 v17, v42, v14
	v_lshlrev_b64_e32 v[14:15], 2, v[0:1]
	v_add_nc_u32_e32 v0, s0, v0
	v_add_co_u32 v30, vcc_lo, s4, v14
	s_wait_alu 0xfffd
	s_delay_alu instid0(VALU_DEP_3) | instskip(NEXT) | instid1(VALU_DEP_3)
	v_add_co_ci_u32_e64 v31, null, s5, v15, vcc_lo
	v_lshlrev_b64_e32 v[22:23], 2, v[0:1]
	v_add_nc_u32_e32 v0, s0, v0
	global_load_b32 v14, v[30:31], off
	v_lshlrev_b64_e32 v[26:27], 2, v[0:1]
	v_add_nc_u32_e32 v0, s0, v0
	s_wait_loadcnt 0x0
	v_mul_f32_e32 v14, v14, v17
	global_store_b32 v[10:11], v14, off
	v_add_co_u32 v10, vcc_lo, s6, v22
	s_wait_alu 0xfffd
	v_add_co_ci_u32_e64 v11, null, s7, v23, vcc_lo
	global_load_b32 v14, v[10:11], off
	s_wait_loadcnt 0x0
	v_mul_f32_e32 v14, v42, v14
	s_delay_alu instid0(VALU_DEP_1) | instskip(NEXT) | instid1(VALU_DEP_1)
	v_mul_f32_e32 v14, v16, v14
	v_mul_f32_e32 v14, v16, v14
	global_store_b32 v[10:11], v14, off
	v_add_co_u32 v10, vcc_lo, s6, v26
	s_wait_alu 0xfffd
	v_add_co_ci_u32_e64 v11, null, s7, v27, vcc_lo
	global_load_b32 v14, v[10:11], off
	s_wait_loadcnt 0x0
	v_mul_f32_e32 v14, v42, v14
	s_delay_alu instid0(VALU_DEP_1) | instskip(NEXT) | instid1(VALU_DEP_1)
	v_mul_f32_e32 v14, v16, v14
	v_mul_f32_e32 v14, v20, v14
	v_lshlrev_b64_e32 v[20:21], 2, v[0:1]
	global_store_b32 v[10:11], v14, off
	v_add_co_u32 v10, vcc_lo, s6, v20
	s_wait_alu 0xfffd
	v_add_co_ci_u32_e64 v11, null, s7, v21, vcc_lo
	global_load_b32 v14, v[10:11], off
	s_wait_loadcnt 0x0
	v_mul_f32_e32 v14, v42, v14
	s_delay_alu instid0(VALU_DEP_1) | instskip(SKIP_2) | instid1(VALU_DEP_1)
	v_mul_f32_e32 v16, v16, v14
	v_mad_co_u64_u32 v[14:15], null, s0, 7, v[0:1]
	v_mov_b32_e32 v15, v1
	v_lshlrev_b64_e32 v[38:39], 2, v[14:15]
	s_delay_alu instid0(VALU_DEP_1) | instskip(SKIP_1) | instid1(VALU_DEP_2)
	v_add_co_u32 v36, vcc_lo, s4, v38
	s_wait_alu 0xfffd
	v_add_co_ci_u32_e64 v37, null, s5, v39, vcc_lo
	global_load_b32 v0, v[36:37], off
	s_wait_loadcnt 0x0
	v_mul_f32_e32 v0, v0, v16
	global_store_b32 v[10:11], v0, off
	v_mad_co_u64_u32 v[10:11], null, s0, -6, v[14:15]
	v_mov_b32_e32 v11, v1
	s_delay_alu instid0(VALU_DEP_1) | instskip(NEXT) | instid1(VALU_DEP_1)
	v_lshlrev_b64_e32 v[16:17], 2, v[10:11]
	v_add_co_u32 v14, vcc_lo, s6, v16
	s_wait_alu 0xfffd
	s_delay_alu instid0(VALU_DEP_2) | instskip(SKIP_3) | instid1(VALU_DEP_1)
	v_add_co_ci_u32_e64 v15, null, s7, v17, vcc_lo
	global_load_b32 v0, v[14:15], off
	s_wait_loadcnt 0x0
	v_mul_f32_e32 v0, v44, v0
	v_mul_f32_e32 v0, v44, v0
	global_store_b32 v[14:15], v0, off
	v_add_nc_u32_e32 v0, s0, v10
	s_delay_alu instid0(VALU_DEP_1) | instskip(SKIP_1) | instid1(VALU_DEP_2)
	v_lshlrev_b64_e32 v[28:29], 2, v[0:1]
	v_add_nc_u32_e32 v0, s0, v0
	v_add_co_u32 v14, vcc_lo, s6, v28
	s_wait_alu 0xfffd
	s_delay_alu instid0(VALU_DEP_3)
	v_add_co_ci_u32_e64 v15, null, s7, v29, vcc_lo
	v_add_co_u32 v10, vcc_lo, s4, v12
	s_wait_alu 0xfffd
	v_add_co_ci_u32_e64 v11, null, s5, v13, vcc_lo
	global_load_b32 v24, v[14:15], off
	s_clause 0x1
	global_load_b32 v45, v[10:11], off
	global_load_b32 v47, v[10:11], off
	s_wait_loadcnt 0x1
	v_mul_f32_e32 v12, v24, v45
	v_lshlrev_b64_e32 v[24:25], 2, v[0:1]
	v_add_nc_u32_e32 v0, s0, v0
	s_delay_alu instid0(VALU_DEP_3)
	v_mul_f32_e32 v12, v42, v12
	global_store_b32 v[14:15], v12, off
	v_add_co_u32 v12, vcc_lo, s6, v24
	s_wait_alu 0xfffd
	v_add_co_ci_u32_e64 v13, null, s7, v25, vcc_lo
	global_load_b32 v14, v[12:13], off
	s_wait_loadcnt 0x0
	v_mul_f32_e32 v14, v45, v14
	s_delay_alu instid0(VALU_DEP_1) | instskip(SKIP_3) | instid1(VALU_DEP_2)
	v_mul_f32_e32 v14, v42, v14
	global_store_b32 v[12:13], v14, off
	v_lshlrev_b64_e32 v[12:13], 2, v[0:1]
	v_add_nc_u32_e32 v0, s0, v0
	v_add_co_u32 v12, vcc_lo, s6, v12
	s_wait_alu 0xfffd
	s_delay_alu instid0(VALU_DEP_3) | instskip(SKIP_3) | instid1(VALU_DEP_1)
	v_add_co_ci_u32_e64 v13, null, s7, v13, vcc_lo
	global_load_b32 v14, v[12:13], off
	s_wait_loadcnt 0x0
	v_mul_f32_e32 v14, v45, v14
	v_mul_f32_e32 v14, v42, v14
	global_store_b32 v[12:13], v14, off
	v_lshlrev_b64_e32 v[14:15], 2, v[0:1]
	v_add_nc_u32_e32 v0, s0, v0
	s_delay_alu instid0(VALU_DEP_2) | instskip(SKIP_1) | instid1(VALU_DEP_3)
	v_add_co_u32 v12, vcc_lo, s6, v14
	s_wait_alu 0xfffd
	v_add_co_ci_u32_e64 v13, null, s7, v15, vcc_lo
	global_load_b32 v40, v[12:13], off
	s_wait_loadcnt 0x0
	v_mul_f32_e32 v40, v45, v40
	s_delay_alu instid0(VALU_DEP_1) | instskip(SKIP_3) | instid1(VALU_DEP_2)
	v_mul_f32_e32 v40, v43, v40
	global_store_b32 v[12:13], v40, off
	v_lshlrev_b64_e32 v[12:13], 2, v[0:1]
	v_add_nc_u32_e32 v0, s1, v0
	v_add_co_u32 v40, vcc_lo, s6, v12
	s_wait_alu 0xfffd
	s_delay_alu instid0(VALU_DEP_3)
	v_add_co_ci_u32_e64 v41, null, s7, v13, vcc_lo
	v_add_co_u32 v38, vcc_lo, s6, v38
	s_wait_alu 0xfffd
	v_add_co_ci_u32_e64 v39, null, s7, v39, vcc_lo
	global_load_b32 v46, v[40:41], off
	s_wait_loadcnt 0x0
	v_mul_f32_e32 v46, v45, v46
	s_delay_alu instid0(VALU_DEP_1) | instskip(SKIP_4) | instid1(VALU_DEP_1)
	v_mul_f32_e32 v46, v44, v46
	global_store_b32 v[40:41], v46, off
	global_load_b32 v40, v[38:39], off
	s_wait_loadcnt 0x0
	v_mul_f32_e32 v40, v45, v40
	v_mul_f32_e32 v40, v45, v40
	global_store_b32 v[38:39], v40, off
	v_lshlrev_b64_e32 v[38:39], 2, v[0:1]
	v_add_nc_u32_e32 v0, s0, v0
	s_delay_alu instid0(VALU_DEP_2) | instskip(SKIP_1) | instid1(VALU_DEP_3)
	v_add_co_u32 v38, vcc_lo, s6, v38
	s_wait_alu 0xfffd
	v_add_co_ci_u32_e64 v39, null, s7, v39, vcc_lo
	global_load_b32 v40, v[38:39], off
	s_wait_loadcnt 0x0
	v_mul_f32_e32 v40, v45, v40
	s_delay_alu instid0(VALU_DEP_1) | instskip(SKIP_3) | instid1(VALU_DEP_2)
	v_mul_f32_e32 v40, v45, v40
	global_store_b32 v[38:39], v40, off
	v_lshlrev_b64_e32 v[38:39], 2, v[0:1]
	v_add_nc_u32_e32 v0, s0, v0
	v_add_co_u32 v38, vcc_lo, s6, v38
	s_wait_alu 0xfffd
	s_delay_alu instid0(VALU_DEP_3)
	v_add_co_ci_u32_e64 v39, null, s7, v39, vcc_lo
	v_add_co_u32 v18, vcc_lo, s4, v18
	s_wait_alu 0xfffd
	v_add_co_ci_u32_e64 v19, null, s5, v19, vcc_lo
	global_load_b32 v40, v[38:39], off
	global_load_b32 v41, v[18:19], off
	s_wait_loadcnt 0x0
	v_mul_f32_e32 v40, v40, v41
	s_delay_alu instid0(VALU_DEP_1) | instskip(SKIP_3) | instid1(VALU_DEP_2)
	v_mul_f32_e32 v40, v42, v40
	global_store_b32 v[38:39], v40, off
	v_lshlrev_b64_e32 v[38:39], 2, v[0:1]
	v_add_nc_u32_e32 v0, s0, v0
	v_add_co_u32 v38, vcc_lo, s6, v38
	s_wait_alu 0xfffd
	s_delay_alu instid0(VALU_DEP_3) | instskip(SKIP_3) | instid1(VALU_DEP_1)
	v_add_co_ci_u32_e64 v39, null, s7, v39, vcc_lo
	global_load_b32 v40, v[38:39], off
	s_wait_loadcnt 0x0
	v_mul_f32_e32 v40, v41, v40
	v_mul_f32_e32 v40, v42, v40
	global_store_b32 v[38:39], v40, off
	v_lshlrev_b64_e32 v[38:39], 2, v[0:1]
	v_add_nc_u32_e32 v0, s0, v0
	s_delay_alu instid0(VALU_DEP_2) | instskip(SKIP_1) | instid1(VALU_DEP_3)
	v_add_co_u32 v38, vcc_lo, s6, v38
	s_wait_alu 0xfffd
	v_add_co_ci_u32_e64 v39, null, s7, v39, vcc_lo
	global_load_b32 v40, v[38:39], off
	s_wait_loadcnt 0x0
	v_mul_f32_e32 v40, v41, v40
	s_delay_alu instid0(VALU_DEP_1) | instskip(SKIP_3) | instid1(VALU_DEP_2)
	v_mul_f32_e32 v40, v43, v40
	global_store_b32 v[38:39], v40, off
	v_lshlrev_b64_e32 v[38:39], 2, v[0:1]
	v_add_nc_u32_e32 v0, s0, v0
	v_add_co_u32 v38, vcc_lo, s6, v38
	s_wait_alu 0xfffd
	s_delay_alu instid0(VALU_DEP_3) | instskip(SKIP_3) | instid1(VALU_DEP_1)
	v_add_co_ci_u32_e64 v39, null, s7, v39, vcc_lo
	global_load_b32 v40, v[38:39], off
	s_wait_loadcnt 0x0
	v_mul_f32_e32 v40, v41, v40
	v_mul_f32_e32 v40, v44, v40
	global_load_b32 v44, v[6:7], off
	global_store_b32 v[38:39], v40, off
	v_lshlrev_b64_e32 v[38:39], 2, v[0:1]
	v_add_nc_u32_e32 v0, s1, v0
	s_delay_alu instid0(VALU_DEP_2) | instskip(SKIP_1) | instid1(VALU_DEP_3)
	v_add_co_u32 v38, vcc_lo, s6, v38
	s_wait_alu 0xfffd
	v_add_co_ci_u32_e64 v39, null, s7, v39, vcc_lo
	s_delay_alu instid0(VALU_DEP_3) | instskip(SKIP_4) | instid1(VALU_DEP_1)
	v_mad_co_u64_u32 v[42:43], null, 0xffffffed, s0, v[0:1]
	v_mov_b32_e32 v43, v1
	global_load_b32 v40, v[38:39], off
	s_wait_loadcnt 0x0
	v_mul_f32_e32 v40, v40, v41
	v_mul_f32_e32 v40, v40, v44
	global_store_b32 v[38:39], v40, off
	v_lshlrev_b64_e32 v[38:39], 2, v[0:1]
	s_delay_alu instid0(VALU_DEP_1) | instskip(SKIP_1) | instid1(VALU_DEP_2)
	v_add_co_u32 v40, vcc_lo, s6, v38
	s_wait_alu 0xfffd
	v_add_co_ci_u32_e64 v41, null, s7, v39, vcc_lo
	v_lshlrev_b64_e32 v[38:39], 2, v[42:43]
	global_load_b32 v45, v[40:41], off
	v_add_co_u32 v38, vcc_lo, s4, v38
	s_wait_alu 0xfffd
	v_add_co_ci_u32_e64 v39, null, s5, v39, vcc_lo
	global_load_b32 v46, v[38:39], off
	s_wait_loadcnt 0x0
	v_mul_f32_e32 v0, v45, v46
	global_load_b32 v45, v[34:35], off
	v_mul_f32_e32 v0, v0, v44
	global_store_b32 v[40:41], v0, off
	v_mad_co_u64_u32 v[40:41], null, s0, 20, v[42:43]
	v_mov_b32_e32 v41, v1
	global_load_b32 v43, v[2:3], off
	v_lshlrev_b64_e32 v[41:42], 2, v[40:41]
	s_delay_alu instid0(VALU_DEP_1) | instskip(SKIP_1) | instid1(VALU_DEP_2)
	v_add_co_u32 v41, vcc_lo, s6, v41
	s_wait_alu 0xfffd
	v_add_co_ci_u32_e64 v42, null, s7, v42, vcc_lo
	global_load_b32 v0, v[41:42], off
	s_wait_loadcnt 0x0
	v_mul_f32_e32 v0, v0, v46
	s_delay_alu instid0(VALU_DEP_1) | instskip(SKIP_2) | instid1(VALU_DEP_1)
	v_mul_f32_e32 v0, v0, v45
	global_store_b32 v[41:42], v0, off
	v_add_nc_u32_e32 v0, s0, v40
	v_lshlrev_b64_e32 v[40:41], 2, v[0:1]
	v_add_nc_u32_e32 v0, s0, v0
	s_delay_alu instid0(VALU_DEP_2) | instskip(SKIP_1) | instid1(VALU_DEP_3)
	v_add_co_u32 v40, vcc_lo, s6, v40
	s_wait_alu 0xfffd
	v_add_co_ci_u32_e64 v41, null, s7, v41, vcc_lo
	global_load_b32 v42, v[40:41], off
	s_wait_loadcnt 0x0
	v_mul_f32_e32 v42, v42, v46
	s_delay_alu instid0(VALU_DEP_1) | instskip(SKIP_3) | instid1(VALU_DEP_2)
	v_mul_f32_e32 v42, v42, v43
	global_store_b32 v[40:41], v42, off
	v_lshlrev_b64_e32 v[40:41], 2, v[0:1]
	v_add_nc_u32_e32 v0, s0, v0
	v_add_co_u32 v40, vcc_lo, s6, v40
	s_wait_alu 0xfffd
	s_delay_alu instid0(VALU_DEP_3) | instskip(SKIP_3) | instid1(VALU_DEP_1)
	v_add_co_ci_u32_e64 v41, null, s7, v41, vcc_lo
	global_load_b32 v42, v[40:41], off
	s_wait_loadcnt 0x0
	v_mul_f32_e32 v42, v42, v46
	v_mul_f32_e32 v42, v42, v47
	global_store_b32 v[40:41], v42, off
	v_lshlrev_b64_e32 v[40:41], 2, v[0:1]
	v_add_nc_u32_e32 v0, s0, v0
	s_delay_alu instid0(VALU_DEP_2) | instskip(SKIP_1) | instid1(VALU_DEP_3)
	v_add_co_u32 v40, vcc_lo, s6, v40
	s_wait_alu 0xfffd
	v_add_co_ci_u32_e64 v41, null, s7, v41, vcc_lo
	global_load_b32 v47, v[40:41], off
	global_load_b32 v42, v[8:9], off
	s_wait_loadcnt 0x0
	v_mul_f32_e32 v47, v47, v42
	global_store_b32 v[40:41], v47, off
	v_lshlrev_b64_e32 v[40:41], 2, v[0:1]
	v_add_nc_u32_e32 v0, s0, v0
	s_delay_alu instid0(VALU_DEP_2) | instskip(SKIP_1) | instid1(VALU_DEP_3)
	v_add_co_u32 v40, vcc_lo, s6, v40
	s_wait_alu 0xfffd
	v_add_co_ci_u32_e64 v41, null, s7, v41, vcc_lo
	global_load_b32 v47, v[40:41], off
	s_wait_loadcnt 0x0
	v_mul_f32_e32 v44, v47, v44
	global_store_b32 v[40:41], v44, off
	v_lshlrev_b64_e32 v[40:41], 2, v[0:1]
	v_add_nc_u32_e32 v0, s0, v0
	s_delay_alu instid0(VALU_DEP_2) | instskip(SKIP_1) | instid1(VALU_DEP_3)
	v_add_co_u32 v40, vcc_lo, s6, v40
	s_wait_alu 0xfffd
	v_add_co_ci_u32_e64 v41, null, s7, v41, vcc_lo
	;; [unrolled: 10-line block ×3, first 2 shown]
	global_load_b32 v44, v[40:41], off
	global_load_b32 v45, v[32:33], off
	s_wait_loadcnt 0x0
	v_mul_f32_e32 v44, v44, v45
	global_store_b32 v[40:41], v44, off
	v_lshlrev_b64_e32 v[40:41], 2, v[0:1]
	v_add_nc_u32_e32 v0, s0, v0
	s_delay_alu instid0(VALU_DEP_2) | instskip(SKIP_1) | instid1(VALU_DEP_3)
	v_add_co_u32 v40, vcc_lo, s6, v40
	s_wait_alu 0xfffd
	v_add_co_ci_u32_e64 v41, null, s7, v41, vcc_lo
	global_load_b32 v44, v[40:41], off
	s_wait_loadcnt 0x0
	v_mul_f32_e32 v44, v44, v43
	global_store_b32 v[40:41], v44, off
	v_lshlrev_b64_e32 v[40:41], 2, v[0:1]
	v_add_nc_u32_e32 v0, s0, v0
	s_delay_alu instid0(VALU_DEP_2) | instskip(SKIP_1) | instid1(VALU_DEP_3)
	v_add_co_u32 v40, vcc_lo, s6, v40
	s_wait_alu 0xfffd
	v_add_co_ci_u32_e64 v41, null, s7, v41, vcc_lo
	global_load_b32 v44, v[40:41], off
	s_wait_loadcnt 0x0
	v_mul_f32_e32 v44, v44, v46
	global_store_b32 v[40:41], v44, off
	v_lshlrev_b64_e32 v[40:41], 2, v[0:1]
	v_add_nc_u32_e32 v0, s0, v0
	s_delay_alu instid0(VALU_DEP_2) | instskip(SKIP_1) | instid1(VALU_DEP_3)
	v_add_co_u32 v40, vcc_lo, s6, v40
	s_wait_alu 0xfffd
	v_add_co_ci_u32_e64 v41, null, s7, v41, vcc_lo
	global_load_b32 v44, v[40:41], off
	global_load_b32 v45, v[30:31], off
	s_wait_loadcnt 0x0
	v_mul_f32_e32 v44, v44, v45
	global_store_b32 v[40:41], v44, off
	v_lshlrev_b64_e32 v[40:41], 2, v[0:1]
	v_add_nc_u32_e32 v0, s0, v0
	s_delay_alu instid0(VALU_DEP_2) | instskip(SKIP_1) | instid1(VALU_DEP_3)
	v_add_co_u32 v40, vcc_lo, s6, v40
	s_wait_alu 0xfffd
	v_add_co_ci_u32_e64 v41, null, s7, v41, vcc_lo
	global_load_b32 v44, v[40:41], off
	global_load_b32 v45, v[4:5], off
	s_wait_loadcnt 0x0
	v_mul_f32_e32 v44, v44, v45
	global_store_b32 v[40:41], v44, off
	v_lshlrev_b64_e32 v[40:41], 2, v[0:1]
	v_add_nc_u32_e32 v0, s0, v0
	s_delay_alu instid0(VALU_DEP_2) | instskip(SKIP_1) | instid1(VALU_DEP_3)
	v_add_co_u32 v40, vcc_lo, s6, v40
	s_wait_alu 0xfffd
	v_add_co_ci_u32_e64 v41, null, s7, v41, vcc_lo
	global_load_b32 v44, v[40:41], off
	s_wait_loadcnt 0x0
	v_mul_f32_e32 v44, v44, v45
	global_store_b32 v[40:41], v44, off
	v_lshlrev_b64_e32 v[40:41], 2, v[0:1]
	v_add_nc_u32_e32 v0, s0, v0
	s_delay_alu instid0(VALU_DEP_2) | instskip(SKIP_1) | instid1(VALU_DEP_3)
	v_add_co_u32 v40, vcc_lo, s6, v40
	s_wait_alu 0xfffd
	v_add_co_ci_u32_e64 v41, null, s7, v41, vcc_lo
	;; [unrolled: 10-line block ×4, first 2 shown]
	global_load_b32 v44, v[40:41], off
	global_load_b32 v46, v[6:7], off
	s_wait_loadcnt 0x0
	v_mul_f32_e32 v44, v44, v46
	global_store_b32 v[40:41], v44, off
	v_lshlrev_b64_e32 v[40:41], 2, v[0:1]
	v_add_nc_u32_e32 v0, s0, v0
	s_delay_alu instid0(VALU_DEP_2) | instskip(SKIP_1) | instid1(VALU_DEP_3)
	v_add_co_u32 v40, vcc_lo, s6, v40
	s_wait_alu 0xfffd
	v_add_co_ci_u32_e64 v41, null, s7, v41, vcc_lo
	global_load_b32 v44, v[40:41], off
	s_wait_loadcnt 0x0
	v_mul_f32_e32 v44, v44, v43
	global_store_b32 v[40:41], v44, off
	v_lshlrev_b64_e32 v[40:41], 2, v[0:1]
	v_add_nc_u32_e32 v0, s0, v0
	s_delay_alu instid0(VALU_DEP_2) | instskip(SKIP_1) | instid1(VALU_DEP_3)
	v_add_co_u32 v40, vcc_lo, s6, v40
	s_wait_alu 0xfffd
	v_add_co_ci_u32_e64 v41, null, s7, v41, vcc_lo
	;; [unrolled: 10-line block ×3, first 2 shown]
	global_load_b32 v44, v[40:41], off
	global_load_b32 v45, v[34:35], off
	s_wait_loadcnt 0x0
	v_mul_f32_e32 v34, v44, v45
	global_store_b32 v[40:41], v34, off
	v_lshlrev_b64_e32 v[34:35], 2, v[0:1]
	v_add_nc_u32_e32 v0, s0, v0
	s_delay_alu instid0(VALU_DEP_2) | instskip(SKIP_1) | instid1(VALU_DEP_3)
	v_add_co_u32 v34, vcc_lo, s6, v34
	s_wait_alu 0xfffd
	v_add_co_ci_u32_e64 v35, null, s7, v35, vcc_lo
	global_load_b32 v40, v[34:35], off
	s_wait_loadcnt 0x0
	v_mul_f32_e32 v40, v40, v42
	global_store_b32 v[34:35], v40, off
	v_lshlrev_b64_e32 v[34:35], 2, v[0:1]
	v_add_nc_u32_e32 v0, s0, v0
	s_delay_alu instid0(VALU_DEP_2) | instskip(SKIP_1) | instid1(VALU_DEP_3)
	v_add_co_u32 v34, vcc_lo, s6, v34
	s_wait_alu 0xfffd
	v_add_co_ci_u32_e64 v35, null, s7, v35, vcc_lo
	;; [unrolled: 10-line block ×6, first 2 shown]
	global_load_b32 v40, v[34:35], off
	global_load_b32 v41, v[10:11], off
	s_wait_loadcnt 0x0
	v_mul_f32_e32 v40, v40, v41
	global_store_b32 v[34:35], v40, off
	v_lshlrev_b64_e32 v[34:35], 2, v[0:1]
	s_delay_alu instid0(VALU_DEP_1) | instskip(SKIP_1) | instid1(VALU_DEP_2)
	v_add_co_u32 v34, vcc_lo, s6, v34
	s_wait_alu 0xfffd
	v_add_co_ci_u32_e64 v35, null, s7, v35, vcc_lo
	global_load_b32 v40, v[34:35], off
	global_load_b32 v41, v[38:39], off
	s_wait_loadcnt 0x0
	v_mul_f32_e32 v38, v40, v41
	global_store_b32 v[34:35], v38, off
	v_mad_co_u64_u32 v[34:35], null, s0, 3, v[0:1]
	v_mov_b32_e32 v35, v1
	s_delay_alu instid0(VALU_DEP_1) | instskip(NEXT) | instid1(VALU_DEP_1)
	v_lshlrev_b64_e32 v[38:39], 2, v[34:35]
	v_add_co_u32 v38, vcc_lo, s6, v38
	s_wait_alu 0xfffd
	s_delay_alu instid0(VALU_DEP_2)
	v_add_co_ci_u32_e64 v39, null, s7, v39, vcc_lo
	global_load_b32 v0, v[38:39], off
	global_load_b32 v35, v[36:37], off
	s_wait_loadcnt 0x0
	v_mul_f32_e32 v0, v0, v35
	global_store_b32 v[38:39], v0, off
	v_add_nc_u32_e32 v0, s0, v34
	s_delay_alu instid0(VALU_DEP_1) | instskip(SKIP_1) | instid1(VALU_DEP_2)
	v_lshlrev_b64_e32 v[34:35], 2, v[0:1]
	v_add_nc_u32_e32 v0, s0, v0
	v_add_co_u32 v34, vcc_lo, s6, v34
	s_wait_alu 0xfffd
	s_delay_alu instid0(VALU_DEP_3)
	v_add_co_ci_u32_e64 v35, null, s7, v35, vcc_lo
	global_load_b32 v36, v[34:35], off
	global_load_b32 v37, v[4:5], off
	s_wait_loadcnt 0x0
	v_mul_f32_e32 v36, v36, v37
	global_store_b32 v[34:35], v36, off
	v_lshlrev_b64_e32 v[34:35], 2, v[0:1]
	v_add_nc_u32_e32 v0, s0, v0
	s_delay_alu instid0(VALU_DEP_2) | instskip(SKIP_1) | instid1(VALU_DEP_3)
	v_add_co_u32 v34, vcc_lo, s6, v34
	s_wait_alu 0xfffd
	v_add_co_ci_u32_e64 v35, null, s7, v35, vcc_lo
	global_load_b32 v36, v[34:35], off
	s_wait_loadcnt 0x0
	v_mul_f32_e32 v36, v36, v42
	global_store_b32 v[34:35], v36, off
	v_lshlrev_b64_e32 v[34:35], 2, v[0:1]
	v_add_nc_u32_e32 v0, s0, v0
	s_delay_alu instid0(VALU_DEP_2) | instskip(SKIP_1) | instid1(VALU_DEP_3)
	v_add_co_u32 v34, vcc_lo, s6, v34
	s_wait_alu 0xfffd
	v_add_co_ci_u32_e64 v35, null, s7, v35, vcc_lo
	;; [unrolled: 10-line block ×5, first 2 shown]
	global_load_b32 v36, v[34:35], off
	global_load_b32 v38, v[2:3], off
	s_wait_loadcnt 0x0
	v_mul_f32_e32 v36, v36, v38
	global_store_b32 v[34:35], v36, off
	v_lshlrev_b64_e32 v[34:35], 2, v[0:1]
	v_add_nc_u32_e32 v0, s0, v0
	s_delay_alu instid0(VALU_DEP_2) | instskip(SKIP_1) | instid1(VALU_DEP_3)
	v_add_co_u32 v34, vcc_lo, s6, v34
	s_wait_alu 0xfffd
	v_add_co_ci_u32_e64 v35, null, s7, v35, vcc_lo
	global_load_b32 v36, v[34:35], off
	s_wait_loadcnt 0x0
	v_mul_f32_e32 v36, v36, v38
	global_store_b32 v[34:35], v36, off
	v_lshlrev_b64_e32 v[34:35], 2, v[0:1]
	v_add_nc_u32_e32 v0, s0, v0
	s_delay_alu instid0(VALU_DEP_2) | instskip(SKIP_1) | instid1(VALU_DEP_3)
	v_add_co_u32 v34, vcc_lo, s6, v34
	s_wait_alu 0xfffd
	v_add_co_ci_u32_e64 v35, null, s7, v35, vcc_lo
	global_load_b32 v36, v[34:35], off
	global_load_b32 v32, v[32:33], off
	s_wait_loadcnt 0x0
	v_mul_f32_e32 v32, v36, v32
	global_store_b32 v[34:35], v32, off
	v_lshlrev_b64_e32 v[32:33], 2, v[0:1]
	v_add_nc_u32_e32 v0, s0, v0
	s_delay_alu instid0(VALU_DEP_2) | instskip(SKIP_1) | instid1(VALU_DEP_3)
	v_add_co_u32 v32, vcc_lo, s6, v32
	s_wait_alu 0xfffd
	v_add_co_ci_u32_e64 v33, null, s7, v33, vcc_lo
	global_load_b32 v34, v[32:33], off
	s_wait_loadcnt 0x0
	v_mul_f32_e32 v34, v34, v41
	global_store_b32 v[32:33], v34, off
	v_lshlrev_b64_e32 v[32:33], 2, v[0:1]
	v_add_nc_u32_e32 v0, s0, v0
	s_delay_alu instid0(VALU_DEP_2) | instskip(SKIP_1) | instid1(VALU_DEP_3)
	v_add_co_u32 v32, vcc_lo, s6, v32
	s_wait_alu 0xfffd
	v_add_co_ci_u32_e64 v33, null, s7, v33, vcc_lo
	global_load_b32 v34, v[32:33], off
	s_clause 0x1
	global_load_b32 v35, v[30:31], off
	global_load_b32 v36, v[8:9], off
	s_wait_loadcnt 0x1
	v_mul_f32_e32 v30, v34, v35
	global_store_b32 v[32:33], v30, off
	v_lshlrev_b64_e32 v[30:31], 2, v[0:1]
	v_add_nc_u32_e32 v0, s0, v0
	s_delay_alu instid0(VALU_DEP_2) | instskip(SKIP_1) | instid1(VALU_DEP_3)
	v_add_co_u32 v30, vcc_lo, s6, v30
	s_wait_alu 0xfffd
	v_add_co_ci_u32_e64 v31, null, s7, v31, vcc_lo
	global_load_b32 v32, v[30:31], off
	s_wait_loadcnt 0x0
	v_mul_f32_e32 v32, v32, v35
	global_store_b32 v[30:31], v32, off
	v_lshlrev_b64_e32 v[30:31], 2, v[0:1]
	v_add_nc_u32_e32 v0, s0, v0
	s_delay_alu instid0(VALU_DEP_2) | instskip(SKIP_1) | instid1(VALU_DEP_3)
	v_add_co_u32 v32, vcc_lo, s6, v30
	s_wait_alu 0xfffd
	v_add_co_ci_u32_e64 v33, null, s7, v31, vcc_lo
	v_add_co_u32 v30, vcc_lo, s4, v22
	s_wait_alu 0xfffd
	v_add_co_ci_u32_e64 v31, null, s5, v23, vcc_lo
	global_load_b32 v34, v[32:33], off
	s_clause 0x1
	global_load_b32 v35, v[30:31], off
	global_load_b32 v30, v[30:31], off
	s_wait_loadcnt 0x1
	v_mul_f32_e32 v22, v34, v35
	s_delay_alu instid0(VALU_DEP_1) | instskip(SKIP_3) | instid1(VALU_DEP_2)
	v_mul_f32_e32 v22, v22, v37
	global_store_b32 v[32:33], v22, off
	v_lshlrev_b64_e32 v[22:23], 2, v[0:1]
	v_add_nc_u32_e32 v0, s0, v0
	v_add_co_u32 v22, vcc_lo, s6, v22
	s_wait_alu 0xfffd
	s_delay_alu instid0(VALU_DEP_3) | instskip(SKIP_3) | instid1(VALU_DEP_1)
	v_add_co_ci_u32_e64 v23, null, s7, v23, vcc_lo
	global_load_b32 v32, v[22:23], off
	s_wait_loadcnt 0x0
	v_mul_f32_e32 v32, v32, v35
	v_mul_f32_e32 v32, v32, v37
	global_load_b32 v37, v[10:11], off
	global_store_b32 v[22:23], v32, off
	v_lshlrev_b64_e32 v[22:23], 2, v[0:1]
	v_add_nc_u32_e32 v0, s0, v0
	s_delay_alu instid0(VALU_DEP_2) | instskip(SKIP_1) | instid1(VALU_DEP_3)
	v_add_co_u32 v22, vcc_lo, s6, v22
	s_wait_alu 0xfffd
	v_add_co_ci_u32_e64 v23, null, s7, v23, vcc_lo
	global_load_b32 v32, v[22:23], off
	s_wait_loadcnt 0x0
	v_mul_f32_e32 v32, v32, v35
	s_delay_alu instid0(VALU_DEP_1) | instskip(SKIP_3) | instid1(VALU_DEP_2)
	v_mul_f32_e32 v32, v32, v36
	global_store_b32 v[22:23], v32, off
	v_lshlrev_b64_e32 v[22:23], 2, v[0:1]
	v_add_nc_u32_e32 v0, s0, v0
	v_add_co_u32 v22, vcc_lo, s6, v22
	s_wait_alu 0xfffd
	s_delay_alu instid0(VALU_DEP_3) | instskip(SKIP_3) | instid1(VALU_DEP_1)
	v_add_co_ci_u32_e64 v23, null, s7, v23, vcc_lo
	global_load_b32 v32, v[22:23], off
	s_wait_loadcnt 0x0
	v_mul_f32_e32 v32, v32, v35
	v_mul_f32_e32 v32, v32, v46
	global_store_b32 v[22:23], v32, off
	v_lshlrev_b64_e32 v[22:23], 2, v[0:1]
	v_add_nc_u32_e32 v0, s0, v0
	s_delay_alu instid0(VALU_DEP_2) | instskip(SKIP_1) | instid1(VALU_DEP_3)
	v_add_co_u32 v22, vcc_lo, s6, v22
	s_wait_alu 0xfffd
	v_add_co_ci_u32_e64 v23, null, s7, v23, vcc_lo
	global_load_b32 v32, v[22:23], off
	s_wait_loadcnt 0x0
	v_mul_f32_e32 v32, v32, v35
	s_delay_alu instid0(VALU_DEP_1) | instskip(SKIP_3) | instid1(VALU_DEP_2)
	v_mul_f32_e32 v32, v32, v38
	global_store_b32 v[22:23], v32, off
	v_lshlrev_b64_e32 v[22:23], 2, v[0:1]
	v_add_nc_u32_e32 v0, s0, v0
	v_add_co_u32 v22, vcc_lo, s6, v22
	s_wait_alu 0xfffd
	s_delay_alu instid0(VALU_DEP_3) | instskip(SKIP_3) | instid1(VALU_DEP_1)
	v_add_co_ci_u32_e64 v23, null, s7, v23, vcc_lo
	global_load_b32 v32, v[22:23], off
	s_wait_loadcnt 0x0
	v_mul_f32_e32 v32, v32, v35
	v_mul_f32_e32 v32, v32, v37
	global_store_b32 v[22:23], v32, off
	v_lshlrev_b64_e32 v[22:23], 2, v[0:1]
	v_add_nc_u32_e32 v0, s0, v0
	s_delay_alu instid0(VALU_DEP_2) | instskip(SKIP_1) | instid1(VALU_DEP_3)
	v_add_co_u32 v22, vcc_lo, s6, v22
	s_wait_alu 0xfffd
	v_add_co_ci_u32_e64 v23, null, s7, v23, vcc_lo
	global_load_b32 v32, v[22:23], off
	s_wait_loadcnt 0x0
	v_mul_f32_e32 v32, v32, v35
	v_mad_co_u64_u32 v[34:35], null, 0xffffffbb, s0, v[0:1]
	v_mov_b32_e32 v35, v1
	global_store_b32 v[22:23], v32, off
	v_lshlrev_b64_e32 v[22:23], 2, v[0:1]
	s_delay_alu instid0(VALU_DEP_1) | instskip(SKIP_1) | instid1(VALU_DEP_2)
	v_add_co_u32 v32, vcc_lo, s6, v22
	s_wait_alu 0xfffd
	v_add_co_ci_u32_e64 v33, null, s7, v23, vcc_lo
	v_lshlrev_b64_e32 v[22:23], 2, v[34:35]
	global_load_b32 v38, v[32:33], off
	v_add_co_u32 v22, vcc_lo, s4, v22
	s_wait_alu 0xfffd
	v_add_co_ci_u32_e64 v23, null, s5, v23, vcc_lo
	global_load_b32 v35, v[22:23], off
	s_wait_loadcnt 0x0
	v_mul_f32_e32 v0, v38, v35
	global_load_b32 v38, v[4:5], off
	s_wait_loadcnt 0x0
	v_mul_f32_e32 v0, v0, v38
	global_store_b32 v[32:33], v0, off
	v_mad_co_u64_u32 v[32:33], null, 0x46, s0, v[34:35]
	v_mov_b32_e32 v33, v1
	s_delay_alu instid0(VALU_DEP_1) | instskip(NEXT) | instid1(VALU_DEP_1)
	v_lshlrev_b64_e32 v[33:34], 2, v[32:33]
	v_add_co_u32 v33, vcc_lo, s6, v33
	s_wait_alu 0xfffd
	s_delay_alu instid0(VALU_DEP_2) | instskip(SKIP_3) | instid1(VALU_DEP_1)
	v_add_co_ci_u32_e64 v34, null, s7, v34, vcc_lo
	global_load_b32 v0, v[33:34], off
	s_wait_loadcnt 0x0
	v_mul_f32_e32 v0, v0, v35
	v_mul_f32_e32 v0, v0, v36
	global_load_b32 v36, v[6:7], off
	global_store_b32 v[33:34], v0, off
	v_add_nc_u32_e32 v0, s0, v32
	s_delay_alu instid0(VALU_DEP_1) | instskip(SKIP_1) | instid1(VALU_DEP_2)
	v_lshlrev_b64_e32 v[32:33], 2, v[0:1]
	v_add_nc_u32_e32 v0, s0, v0
	v_add_co_u32 v32, vcc_lo, s6, v32
	s_wait_alu 0xfffd
	s_delay_alu instid0(VALU_DEP_3) | instskip(SKIP_3) | instid1(VALU_DEP_1)
	v_add_co_ci_u32_e64 v33, null, s7, v33, vcc_lo
	global_load_b32 v34, v[32:33], off
	s_wait_loadcnt 0x0
	v_mul_f32_e32 v34, v34, v35
	v_mul_f32_e32 v34, v34, v36
	global_store_b32 v[32:33], v34, off
	v_lshlrev_b64_e32 v[32:33], 2, v[0:1]
	v_add_nc_u32_e32 v0, s0, v0
	s_delay_alu instid0(VALU_DEP_2) | instskip(SKIP_1) | instid1(VALU_DEP_3)
	v_add_co_u32 v32, vcc_lo, s6, v32
	s_wait_alu 0xfffd
	v_add_co_ci_u32_e64 v33, null, s7, v33, vcc_lo
	global_load_b32 v34, v[32:33], off
	s_wait_loadcnt 0x0
	v_mul_f32_e32 v34, v34, v35
	s_delay_alu instid0(VALU_DEP_1) | instskip(SKIP_4) | instid1(VALU_DEP_2)
	v_mul_f32_e32 v34, v34, v36
	global_load_b32 v36, v[2:3], off
	global_store_b32 v[32:33], v34, off
	v_lshlrev_b64_e32 v[32:33], 2, v[0:1]
	v_add_nc_u32_e32 v0, s0, v0
	v_add_co_u32 v32, vcc_lo, s6, v32
	s_wait_alu 0xfffd
	s_delay_alu instid0(VALU_DEP_3) | instskip(SKIP_3) | instid1(VALU_DEP_1)
	v_add_co_ci_u32_e64 v33, null, s7, v33, vcc_lo
	global_load_b32 v34, v[32:33], off
	s_wait_loadcnt 0x0
	v_mul_f32_e32 v34, v34, v35
	v_mul_f32_e32 v34, v34, v36
	global_store_b32 v[32:33], v34, off
	v_lshlrev_b64_e32 v[32:33], 2, v[0:1]
	v_add_nc_u32_e32 v0, s0, v0
	s_delay_alu instid0(VALU_DEP_2) | instskip(SKIP_1) | instid1(VALU_DEP_3)
	v_add_co_u32 v32, vcc_lo, s6, v32
	s_wait_alu 0xfffd
	v_add_co_ci_u32_e64 v33, null, s7, v33, vcc_lo
	global_load_b32 v34, v[32:33], off
	s_wait_loadcnt 0x0
	v_mul_f32_e32 v34, v34, v35
	s_delay_alu instid0(VALU_DEP_1) | instskip(SKIP_4) | instid1(VALU_DEP_2)
	v_mul_f32_e32 v34, v34, v36
	global_load_b32 v36, v[18:19], off
	global_store_b32 v[32:33], v34, off
	v_lshlrev_b64_e32 v[32:33], 2, v[0:1]
	v_add_nc_u32_e32 v0, s0, v0
	v_add_co_u32 v32, vcc_lo, s6, v32
	s_wait_alu 0xfffd
	s_delay_alu instid0(VALU_DEP_3) | instskip(SKIP_3) | instid1(VALU_DEP_1)
	v_add_co_ci_u32_e64 v33, null, s7, v33, vcc_lo
	global_load_b32 v34, v[32:33], off
	s_wait_loadcnt 0x0
	v_mul_f32_e32 v34, v34, v35
	v_mul_f32_e32 v34, v34, v37
	global_store_b32 v[32:33], v34, off
	v_lshlrev_b64_e32 v[32:33], 2, v[0:1]
	v_add_nc_u32_e32 v0, s0, v0
	s_delay_alu instid0(VALU_DEP_2) | instskip(SKIP_1) | instid1(VALU_DEP_3)
	v_add_co_u32 v32, vcc_lo, s6, v32
	s_wait_alu 0xfffd
	v_add_co_ci_u32_e64 v33, null, s7, v33, vcc_lo
	global_load_b32 v34, v[32:33], off
	s_wait_loadcnt 0x0
	v_mul_f32_e32 v34, v34, v35
	s_delay_alu instid0(VALU_DEP_1) | instskip(SKIP_3) | instid1(VALU_DEP_2)
	v_mul_f32_e32 v34, v34, v37
	global_store_b32 v[32:33], v34, off
	v_lshlrev_b64_e32 v[32:33], 2, v[0:1]
	v_add_nc_u32_e32 v0, s0, v0
	v_add_co_u32 v32, vcc_lo, s6, v32
	s_wait_alu 0xfffd
	s_delay_alu instid0(VALU_DEP_3) | instskip(SKIP_3) | instid1(VALU_DEP_1)
	v_add_co_ci_u32_e64 v33, null, s7, v33, vcc_lo
	global_load_b32 v34, v[32:33], off
	s_wait_loadcnt 0x0
	v_mul_f32_e32 v34, v34, v35
	v_mul_f32_e32 v34, v34, v36
	global_store_b32 v[32:33], v34, off
	v_lshlrev_b64_e32 v[32:33], 2, v[0:1]
	v_add_nc_u32_e32 v0, s0, v0
	s_delay_alu instid0(VALU_DEP_2) | instskip(SKIP_1) | instid1(VALU_DEP_3)
	v_add_co_u32 v32, vcc_lo, s6, v32
	s_wait_alu 0xfffd
	v_add_co_ci_u32_e64 v33, null, s7, v33, vcc_lo
	global_load_b32 v34, v[32:33], off
	s_wait_loadcnt 0x0
	v_mul_f32_e32 v34, v34, v35
	global_store_b32 v[32:33], v34, off
	v_lshlrev_b64_e32 v[32:33], 2, v[0:1]
	v_add_nc_u32_e32 v0, s0, v0
	s_delay_alu instid0(VALU_DEP_2) | instskip(SKIP_1) | instid1(VALU_DEP_3)
	v_add_co_u32 v32, vcc_lo, s6, v32
	s_wait_alu 0xfffd
	v_add_co_ci_u32_e64 v33, null, s7, v33, vcc_lo
	global_load_b32 v34, v[32:33], off
	s_wait_loadcnt 0x0
	v_mul_f32_e32 v34, v34, v35
	global_store_b32 v[32:33], v34, off
	v_lshlrev_b64_e32 v[32:33], 2, v[0:1]
	v_add_nc_u32_e32 v0, s0, v0
	s_delay_alu instid0(VALU_DEP_2) | instskip(SKIP_1) | instid1(VALU_DEP_3)
	v_add_co_u32 v32, vcc_lo, s6, v32
	s_wait_alu 0xfffd
	v_add_co_ci_u32_e64 v33, null, s7, v33, vcc_lo
	global_load_b32 v34, v[32:33], off
	s_wait_loadcnt 0x0
	v_mul_f32_e32 v34, v34, v35
	global_store_b32 v[32:33], v34, off
	v_lshlrev_b64_e32 v[32:33], 2, v[0:1]
	v_add_nc_u32_e32 v0, s0, v0
	s_delay_alu instid0(VALU_DEP_2) | instskip(SKIP_1) | instid1(VALU_DEP_3)
	v_add_co_u32 v32, vcc_lo, s6, v32
	s_wait_alu 0xfffd
	v_add_co_ci_u32_e64 v33, null, s7, v33, vcc_lo
	global_load_b32 v34, v[32:33], off
	s_wait_loadcnt 0x0
	v_mul_f32_e32 v34, v34, v35
	s_delay_alu instid0(VALU_DEP_1) | instskip(SKIP_3) | instid1(VALU_DEP_2)
	v_mul_f32_e32 v30, v34, v30
	global_store_b32 v[32:33], v30, off
	v_lshlrev_b64_e32 v[30:31], 2, v[0:1]
	v_add_nc_u32_e32 v0, s0, v0
	v_add_co_u32 v30, vcc_lo, s6, v30
	s_wait_alu 0xfffd
	s_delay_alu instid0(VALU_DEP_3)
	v_add_co_ci_u32_e64 v31, null, s7, v31, vcc_lo
	global_load_b32 v32, v[30:31], off
	s_wait_loadcnt 0x0
	v_mul_f32_e32 v32, v32, v35
	global_store_b32 v[30:31], v32, off
	v_lshlrev_b64_e32 v[30:31], 2, v[0:1]
	v_add_nc_u32_e32 v0, s0, v0
	s_delay_alu instid0(VALU_DEP_2) | instskip(SKIP_1) | instid1(VALU_DEP_3)
	v_add_co_u32 v30, vcc_lo, s6, v30
	s_wait_alu 0xfffd
	v_add_co_ci_u32_e64 v31, null, s7, v31, vcc_lo
	global_load_b32 v32, v[30:31], off
	s_wait_loadcnt 0x0
	v_mul_f32_e32 v32, v32, v35
	global_store_b32 v[30:31], v32, off
	v_lshlrev_b64_e32 v[30:31], 2, v[0:1]
	v_add_nc_u32_e32 v0, s0, v0
	s_delay_alu instid0(VALU_DEP_2) | instskip(SKIP_1) | instid1(VALU_DEP_3)
	v_add_co_u32 v30, vcc_lo, s6, v30
	s_wait_alu 0xfffd
	v_add_co_ci_u32_e64 v31, null, s7, v31, vcc_lo
	global_load_b32 v32, v[30:31], off
	s_wait_loadcnt 0x0
	v_mul_f32_e32 v32, v32, v35
	s_delay_alu instid0(VALU_DEP_1) | instskip(SKIP_3) | instid1(VALU_DEP_2)
	v_mul_f32_e32 v32, v35, v32
	global_store_b32 v[30:31], v32, off
	v_lshlrev_b64_e32 v[30:31], 2, v[0:1]
	v_add_nc_u32_e32 v0, s0, v0
	v_add_co_u32 v30, vcc_lo, s6, v30
	s_wait_alu 0xfffd
	s_delay_alu instid0(VALU_DEP_3) | instskip(SKIP_3) | instid1(VALU_DEP_1)
	v_add_co_ci_u32_e64 v31, null, s7, v31, vcc_lo
	global_load_b32 v32, v[30:31], off
	s_wait_loadcnt 0x0
	v_mul_f32_e32 v32, v32, v35
	v_mul_f32_e32 v32, v35, v32
	global_store_b32 v[30:31], v32, off
	v_lshlrev_b64_e32 v[30:31], 2, v[0:1]
	v_add_nc_u32_e32 v0, s0, v0
	s_delay_alu instid0(VALU_DEP_2) | instskip(SKIP_1) | instid1(VALU_DEP_3)
	v_add_co_u32 v30, vcc_lo, s6, v30
	s_wait_alu 0xfffd
	v_add_co_ci_u32_e64 v31, null, s7, v31, vcc_lo
	v_add_co_u32 v28, vcc_lo, s4, v28
	s_wait_alu 0xfffd
	v_add_co_ci_u32_e64 v29, null, s5, v29, vcc_lo
	global_load_b32 v32, v[30:31], off
	global_load_b32 v33, v[28:29], off
	s_wait_loadcnt 0x1
	v_mul_f32_e32 v32, v32, v35
	s_wait_loadcnt 0x0
	s_delay_alu instid0(VALU_DEP_1) | instskip(SKIP_3) | instid1(VALU_DEP_2)
	v_mul_f32_e32 v28, v32, v33
	global_store_b32 v[30:31], v28, off
	v_lshlrev_b64_e32 v[28:29], 2, v[0:1]
	v_add_nc_u32_e32 v0, s0, v0
	v_add_co_u32 v28, vcc_lo, s6, v28
	s_wait_alu 0xfffd
	s_delay_alu instid0(VALU_DEP_3)
	v_add_co_ci_u32_e64 v29, null, s7, v29, vcc_lo
	global_load_b32 v30, v[28:29], off
	global_load_b32 v34, v[4:5], off
	s_wait_loadcnt 0x0
	v_mul_f32_e32 v30, v30, v34
	global_store_b32 v[28:29], v30, off
	v_lshlrev_b64_e32 v[28:29], 2, v[0:1]
	v_add_nc_u32_e32 v0, s0, v0
	s_delay_alu instid0(VALU_DEP_2) | instskip(SKIP_1) | instid1(VALU_DEP_3)
	v_add_co_u32 v28, vcc_lo, s6, v28
	s_wait_alu 0xfffd
	v_add_co_ci_u32_e64 v29, null, s7, v29, vcc_lo
	global_load_b32 v30, v[28:29], off
	s_wait_loadcnt 0x0
	v_mul_f32_e32 v30, v30, v34
	global_store_b32 v[28:29], v30, off
	v_lshlrev_b64_e32 v[28:29], 2, v[0:1]
	v_add_nc_u32_e32 v0, s0, v0
	s_delay_alu instid0(VALU_DEP_2) | instskip(SKIP_1) | instid1(VALU_DEP_3)
	v_add_co_u32 v28, vcc_lo, s6, v28
	s_wait_alu 0xfffd
	v_add_co_ci_u32_e64 v29, null, s7, v29, vcc_lo
	;; [unrolled: 10-line block ×3, first 2 shown]
	global_load_b32 v30, v[28:29], off
	global_load_b32 v35, v[8:9], off
	s_wait_loadcnt 0x0
	v_mul_f32_e32 v30, v30, v35
	global_store_b32 v[28:29], v30, off
	v_lshlrev_b64_e32 v[28:29], 2, v[0:1]
	v_add_nc_u32_e32 v0, s0, v0
	s_delay_alu instid0(VALU_DEP_2) | instskip(SKIP_1) | instid1(VALU_DEP_3)
	v_add_co_u32 v28, vcc_lo, s6, v28
	s_wait_alu 0xfffd
	v_add_co_ci_u32_e64 v29, null, s7, v29, vcc_lo
	global_load_b32 v30, v[28:29], off
	global_load_b32 v36, v[6:7], off
	s_wait_loadcnt 0x0
	v_mul_f32_e32 v30, v30, v36
	global_store_b32 v[28:29], v30, off
	v_lshlrev_b64_e32 v[28:29], 2, v[0:1]
	v_add_nc_u32_e32 v0, s0, v0
	s_delay_alu instid0(VALU_DEP_2) | instskip(SKIP_1) | instid1(VALU_DEP_3)
	v_add_co_u32 v28, vcc_lo, s6, v28
	s_wait_alu 0xfffd
	v_add_co_ci_u32_e64 v29, null, s7, v29, vcc_lo
	global_load_b32 v30, v[28:29], off
	global_load_b32 v37, v[2:3], off
	s_wait_loadcnt 0x0
	v_mul_f32_e32 v30, v30, v37
	global_store_b32 v[28:29], v30, off
	v_mad_co_u64_u32 v[30:31], null, 0xffffffa4, s0, v[0:1]
	v_mov_b32_e32 v31, v1
	v_lshlrev_b64_e32 v[28:29], 2, v[0:1]
	s_delay_alu instid0(VALU_DEP_2) | instskip(NEXT) | instid1(VALU_DEP_2)
	v_lshlrev_b64_e32 v[31:32], 2, v[30:31]
	v_add_co_u32 v28, vcc_lo, s6, v28
	s_wait_alu 0xfffd
	s_delay_alu instid0(VALU_DEP_3) | instskip(NEXT) | instid1(VALU_DEP_3)
	v_add_co_ci_u32_e64 v29, null, s7, v29, vcc_lo
	v_add_co_u32 v31, vcc_lo, s4, v31
	s_wait_alu 0xfffd
	v_add_co_ci_u32_e64 v32, null, s5, v32, vcc_lo
	global_load_b32 v38, v[28:29], off
	global_load_b32 v31, v[31:32], off
	s_wait_loadcnt 0x0
	v_mul_f32_e32 v0, v38, v31
	s_delay_alu instid0(VALU_DEP_1) | instskip(SKIP_3) | instid1(VALU_DEP_1)
	v_mul_f32_e32 v0, v0, v34
	global_store_b32 v[28:29], v0, off
	v_mad_co_u64_u32 v[28:29], null, 0x5d, s0, v[30:31]
	v_mov_b32_e32 v29, v1
	v_lshlrev_b64_e32 v[29:30], 2, v[28:29]
	s_delay_alu instid0(VALU_DEP_1) | instskip(SKIP_1) | instid1(VALU_DEP_2)
	v_add_co_u32 v29, vcc_lo, s6, v29
	s_wait_alu 0xfffd
	v_add_co_ci_u32_e64 v30, null, s7, v30, vcc_lo
	global_load_b32 v0, v[29:30], off
	s_wait_loadcnt 0x0
	v_mul_f32_e32 v0, v0, v31
	s_delay_alu instid0(VALU_DEP_1) | instskip(SKIP_2) | instid1(VALU_DEP_1)
	v_mul_f32_e32 v0, v0, v35
	global_store_b32 v[29:30], v0, off
	v_add_nc_u32_e32 v0, s0, v28
	v_lshlrev_b64_e32 v[28:29], 2, v[0:1]
	v_add_nc_u32_e32 v0, s0, v0
	s_delay_alu instid0(VALU_DEP_2) | instskip(SKIP_1) | instid1(VALU_DEP_3)
	v_add_co_u32 v28, vcc_lo, s6, v28
	s_wait_alu 0xfffd
	v_add_co_ci_u32_e64 v29, null, s7, v29, vcc_lo
	global_load_b32 v30, v[28:29], off
	s_wait_loadcnt 0x0
	v_mul_f32_e32 v30, v30, v31
	s_delay_alu instid0(VALU_DEP_1) | instskip(SKIP_3) | instid1(VALU_DEP_2)
	v_mul_f32_e32 v30, v30, v36
	global_store_b32 v[28:29], v30, off
	v_lshlrev_b64_e32 v[28:29], 2, v[0:1]
	v_add_nc_u32_e32 v0, s0, v0
	v_add_co_u32 v28, vcc_lo, s6, v28
	s_wait_alu 0xfffd
	s_delay_alu instid0(VALU_DEP_3)
	v_add_co_ci_u32_e64 v29, null, s7, v29, vcc_lo
	global_load_b32 v30, v[28:29], off
	s_wait_loadcnt 0x0
	v_mul_f32_e32 v30, v30, v31
	global_store_b32 v[28:29], v30, off
	v_lshlrev_b64_e32 v[28:29], 2, v[0:1]
	v_add_nc_u32_e32 v0, s0, v0
	s_delay_alu instid0(VALU_DEP_2) | instskip(SKIP_1) | instid1(VALU_DEP_3)
	v_add_co_u32 v28, vcc_lo, s6, v28
	s_wait_alu 0xfffd
	v_add_co_ci_u32_e64 v29, null, s7, v29, vcc_lo
	global_load_b32 v30, v[28:29], off
	s_wait_loadcnt 0x0
	v_mul_f32_e32 v30, v30, v31
	global_store_b32 v[28:29], v30, off
	v_lshlrev_b64_e32 v[28:29], 2, v[0:1]
	v_add_nc_u32_e32 v0, s0, v0
	s_delay_alu instid0(VALU_DEP_2) | instskip(SKIP_1) | instid1(VALU_DEP_3)
	v_add_co_u32 v28, vcc_lo, s6, v28
	s_wait_alu 0xfffd
	;; [unrolled: 10-line block ×3, first 2 shown]
	v_add_co_ci_u32_e64 v29, null, s7, v29, vcc_lo
	global_load_b32 v30, v[28:29], off
	s_wait_loadcnt 0x0
	v_mul_f32_e32 v30, v30, v33
	s_delay_alu instid0(VALU_DEP_1) | instskip(SKIP_3) | instid1(VALU_DEP_2)
	v_mul_f32_e32 v30, v30, v34
	global_store_b32 v[28:29], v30, off
	v_lshlrev_b64_e32 v[28:29], 2, v[0:1]
	v_add_nc_u32_e32 v0, s0, v0
	v_add_co_u32 v28, vcc_lo, s6, v28
	s_wait_alu 0xfffd
	s_delay_alu instid0(VALU_DEP_3) | instskip(SKIP_3) | instid1(VALU_DEP_1)
	v_add_co_ci_u32_e64 v29, null, s7, v29, vcc_lo
	global_load_b32 v30, v[28:29], off
	s_wait_loadcnt 0x0
	v_mul_f32_e32 v30, v30, v33
	v_mul_f32_e32 v30, v30, v35
	global_store_b32 v[28:29], v30, off
	v_lshlrev_b64_e32 v[28:29], 2, v[0:1]
	v_add_nc_u32_e32 v0, s0, v0
	s_delay_alu instid0(VALU_DEP_2) | instskip(SKIP_1) | instid1(VALU_DEP_3)
	v_add_co_u32 v28, vcc_lo, s6, v28
	s_wait_alu 0xfffd
	v_add_co_ci_u32_e64 v29, null, s7, v29, vcc_lo
	global_load_b32 v30, v[28:29], off
	s_wait_loadcnt 0x0
	v_mul_f32_e32 v30, v30, v33
	s_delay_alu instid0(VALU_DEP_1) | instskip(SKIP_3) | instid1(VALU_DEP_2)
	v_mul_f32_e32 v30, v30, v37
	global_store_b32 v[28:29], v30, off
	v_lshlrev_b64_e32 v[28:29], 2, v[0:1]
	v_add_nc_u32_e32 v0, s0, v0
	v_add_co_u32 v28, vcc_lo, s6, v28
	s_wait_alu 0xfffd
	s_delay_alu instid0(VALU_DEP_3)
	v_add_co_ci_u32_e64 v29, null, s7, v29, vcc_lo
	global_load_b32 v30, v[28:29], off
	s_wait_loadcnt 0x0
	v_mul_f32_e32 v30, v30, v33
	global_store_b32 v[28:29], v30, off
	v_lshlrev_b64_e32 v[28:29], 2, v[0:1]
	v_add_nc_u32_e32 v0, s0, v0
	s_delay_alu instid0(VALU_DEP_2) | instskip(SKIP_1) | instid1(VALU_DEP_3)
	v_add_co_u32 v28, vcc_lo, s6, v28
	s_wait_alu 0xfffd
	v_add_co_ci_u32_e64 v29, null, s7, v29, vcc_lo
	global_load_b32 v30, v[28:29], off
	s_wait_loadcnt 0x0
	v_mul_f32_e32 v30, v30, v33
	global_store_b32 v[28:29], v30, off
	v_lshlrev_b64_e32 v[28:29], 2, v[0:1]
	v_add_nc_u32_e32 v0, s0, v0
	s_delay_alu instid0(VALU_DEP_2) | instskip(SKIP_1) | instid1(VALU_DEP_3)
	v_add_co_u32 v28, vcc_lo, s6, v28
	s_wait_alu 0xfffd
	v_add_co_ci_u32_e64 v29, null, s7, v29, vcc_lo
	global_load_b32 v30, v[28:29], off
	s_wait_loadcnt 0x0
	v_mul_f32_e32 v30, v30, v33
	s_delay_alu instid0(VALU_DEP_1) | instskip(SKIP_3) | instid1(VALU_DEP_2)
	v_mul_f32_e32 v30, v33, v30
	global_store_b32 v[28:29], v30, off
	v_lshlrev_b64_e32 v[28:29], 2, v[0:1]
	v_add_nc_u32_e32 v0, s1, v0
	v_add_co_u32 v28, vcc_lo, s6, v28
	s_wait_alu 0xfffd
	s_delay_alu instid0(VALU_DEP_3)
	v_add_co_ci_u32_e64 v29, null, s7, v29, vcc_lo
	v_add_co_u32 v26, vcc_lo, s4, v26
	s_wait_alu 0xfffd
	v_add_co_ci_u32_e64 v27, null, s5, v27, vcc_lo
	global_load_b32 v30, v[28:29], off
	global_load_b32 v32, v[26:27], off
	s_wait_loadcnt 0x0
	v_mul_f32_e32 v26, v30, v32
	global_store_b32 v[28:29], v26, off
	v_lshlrev_b64_e32 v[26:27], 2, v[0:1]
	v_add_nc_u32_e32 v0, s0, v0
	s_delay_alu instid0(VALU_DEP_2) | instskip(SKIP_1) | instid1(VALU_DEP_3)
	v_add_co_u32 v28, vcc_lo, s6, v26
	s_wait_alu 0xfffd
	v_add_co_ci_u32_e64 v29, null, s7, v27, vcc_lo
	global_load_b32 v27, v[8:9], off
	global_load_b32 v26, v[28:29], off
	s_wait_loadcnt 0x0
	v_mul_f32_e32 v26, v26, v32
	s_delay_alu instid0(VALU_DEP_1) | instskip(SKIP_3) | instid1(VALU_DEP_2)
	v_mul_f32_e32 v26, v26, v27
	global_store_b32 v[28:29], v26, off
	v_lshlrev_b64_e32 v[28:29], 2, v[0:1]
	v_add_nc_u32_e32 v0, s0, v0
	v_add_co_u32 v28, vcc_lo, s6, v28
	s_wait_alu 0xfffd
	s_delay_alu instid0(VALU_DEP_3) | instskip(SKIP_3) | instid1(VALU_DEP_1)
	v_add_co_ci_u32_e64 v29, null, s7, v29, vcc_lo
	global_load_b32 v26, v[28:29], off
	s_wait_loadcnt 0x0
	v_mul_f32_e32 v26, v26, v32
	v_mul_f32_e32 v26, v26, v27
	global_store_b32 v[28:29], v26, off
	v_lshlrev_b64_e32 v[28:29], 2, v[0:1]
	v_add_nc_u32_e32 v0, s0, v0
	s_delay_alu instid0(VALU_DEP_2) | instskip(SKIP_1) | instid1(VALU_DEP_3)
	v_add_co_u32 v30, vcc_lo, s6, v28
	s_wait_alu 0xfffd
	v_add_co_ci_u32_e64 v31, null, s7, v29, vcc_lo
	global_load_b32 v28, v[6:7], off
	global_load_b32 v26, v[30:31], off
	s_wait_loadcnt 0x0
	v_mul_f32_e32 v26, v26, v32
	s_delay_alu instid0(VALU_DEP_1) | instskip(SKIP_3) | instid1(VALU_DEP_2)
	v_mul_f32_e32 v26, v26, v28
	global_store_b32 v[30:31], v26, off
	v_lshlrev_b64_e32 v[29:30], 2, v[0:1]
	v_add_nc_u32_e32 v0, s0, v0
	v_add_co_u32 v29, vcc_lo, s6, v29
	s_wait_alu 0xfffd
	s_delay_alu instid0(VALU_DEP_3) | instskip(SKIP_3) | instid1(VALU_DEP_1)
	v_add_co_ci_u32_e64 v30, null, s7, v30, vcc_lo
	global_load_b32 v26, v[29:30], off
	s_wait_loadcnt 0x0
	v_mul_f32_e32 v26, v26, v32
	v_mul_f32_e32 v26, v26, v28
	global_store_b32 v[29:30], v26, off
	v_lshlrev_b64_e32 v[29:30], 2, v[0:1]
	v_add_nc_u32_e32 v0, s1, v0
	s_delay_alu instid0(VALU_DEP_2) | instskip(SKIP_1) | instid1(VALU_DEP_3)
	v_add_co_u32 v29, vcc_lo, s6, v29
	s_wait_alu 0xfffd
	v_add_co_ci_u32_e64 v30, null, s7, v30, vcc_lo
	global_load_b32 v26, v[29:30], off
	s_wait_loadcnt 0x0
	v_mul_f32_e32 v26, v26, v32
	global_store_b32 v[29:30], v26, off
	v_lshlrev_b64_e32 v[29:30], 2, v[0:1]
	v_add_nc_u32_e32 v0, s0, v0
	s_delay_alu instid0(VALU_DEP_2) | instskip(SKIP_1) | instid1(VALU_DEP_3)
	v_add_co_u32 v29, vcc_lo, s6, v29
	s_wait_alu 0xfffd
	v_add_co_ci_u32_e64 v30, null, s7, v30, vcc_lo
	global_load_b32 v26, v[29:30], off
	global_load_b32 v31, v[4:5], off
	s_wait_loadcnt 0x0
	v_mul_f32_e32 v26, v26, v31
	global_store_b32 v[29:30], v26, off
	v_lshlrev_b64_e32 v[29:30], 2, v[0:1]
	v_add_nc_u32_e32 v0, s0, v0
	s_delay_alu instid0(VALU_DEP_2) | instskip(SKIP_1) | instid1(VALU_DEP_3)
	v_add_co_u32 v29, vcc_lo, s6, v29
	s_wait_alu 0xfffd
	v_add_co_ci_u32_e64 v30, null, s7, v30, vcc_lo
	global_load_b32 v26, v[29:30], off
	s_wait_loadcnt 0x0
	v_mul_f32_e32 v26, v26, v27
	global_store_b32 v[29:30], v26, off
	v_lshlrev_b64_e32 v[29:30], 2, v[0:1]
	v_add_nc_u32_e32 v0, s0, v0
	s_delay_alu instid0(VALU_DEP_2) | instskip(SKIP_1) | instid1(VALU_DEP_3)
	v_add_co_u32 v29, vcc_lo, s6, v29
	s_wait_alu 0xfffd
	v_add_co_ci_u32_e64 v30, null, s7, v30, vcc_lo
	;; [unrolled: 10-line block ×3, first 2 shown]
	global_load_b32 v32, v[29:30], off
	global_load_b32 v26, v[2:3], off
	s_wait_loadcnt 0x0
	v_mul_f32_e32 v32, v32, v26
	global_store_b32 v[29:30], v32, off
	v_lshlrev_b64_e32 v[29:30], 2, v[0:1]
	v_add_nc_u32_e32 v0, s0, v0
	s_delay_alu instid0(VALU_DEP_2) | instskip(SKIP_1) | instid1(VALU_DEP_3)
	v_add_co_u32 v29, vcc_lo, s6, v29
	s_wait_alu 0xfffd
	v_add_co_ci_u32_e64 v30, null, s7, v30, vcc_lo
	v_add_co_u32 v24, vcc_lo, s4, v24
	s_wait_alu 0xfffd
	v_add_co_ci_u32_e64 v25, null, s5, v25, vcc_lo
	global_load_b32 v32, v[29:30], off
	global_load_b32 v33, v[24:25], off
	s_wait_loadcnt 0x0
	v_mul_f32_e32 v24, v32, v33
	s_delay_alu instid0(VALU_DEP_1) | instskip(SKIP_3) | instid1(VALU_DEP_2)
	v_mul_f32_e32 v24, v24, v31
	global_store_b32 v[29:30], v24, off
	v_lshlrev_b64_e32 v[24:25], 2, v[0:1]
	v_add_nc_u32_e32 v0, s0, v0
	v_add_co_u32 v24, vcc_lo, s6, v24
	s_wait_alu 0xfffd
	s_delay_alu instid0(VALU_DEP_3) | instskip(SKIP_3) | instid1(VALU_DEP_1)
	v_add_co_ci_u32_e64 v25, null, s7, v25, vcc_lo
	global_load_b32 v29, v[24:25], off
	s_wait_loadcnt 0x0
	v_mul_f32_e32 v29, v29, v33
	v_mul_f32_e32 v29, v29, v31
	global_store_b32 v[24:25], v29, off
	v_lshlrev_b64_e32 v[24:25], 2, v[0:1]
	v_add_nc_u32_e32 v0, s0, v0
	s_delay_alu instid0(VALU_DEP_2) | instskip(SKIP_1) | instid1(VALU_DEP_3)
	v_add_co_u32 v24, vcc_lo, s6, v24
	s_wait_alu 0xfffd
	v_add_co_ci_u32_e64 v25, null, s7, v25, vcc_lo
	global_load_b32 v29, v[24:25], off
	s_wait_loadcnt 0x0
	v_mul_f32_e32 v29, v29, v33
	s_delay_alu instid0(VALU_DEP_1) | instskip(SKIP_3) | instid1(VALU_DEP_2)
	v_mul_f32_e32 v29, v29, v31
	global_store_b32 v[24:25], v29, off
	v_lshlrev_b64_e32 v[24:25], 2, v[0:1]
	v_add_nc_u32_e32 v0, s0, v0
	v_add_co_u32 v24, vcc_lo, s6, v24
	s_wait_alu 0xfffd
	s_delay_alu instid0(VALU_DEP_3) | instskip(SKIP_3) | instid1(VALU_DEP_1)
	v_add_co_ci_u32_e64 v25, null, s7, v25, vcc_lo
	global_load_b32 v29, v[24:25], off
	s_wait_loadcnt 0x0
	v_mul_f32_e32 v29, v29, v33
	v_mul_f32_e32 v29, v29, v27
	global_store_b32 v[24:25], v29, off
	v_lshlrev_b64_e32 v[24:25], 2, v[0:1]
	v_add_nc_u32_e32 v0, s0, v0
	s_delay_alu instid0(VALU_DEP_2) | instskip(SKIP_1) | instid1(VALU_DEP_3)
	v_add_co_u32 v24, vcc_lo, s6, v24
	s_wait_alu 0xfffd
	v_add_co_ci_u32_e64 v25, null, s7, v25, vcc_lo
	;; [unrolled: 23-line block ×3, first 2 shown]
	global_load_b32 v28, v[24:25], off
	s_wait_loadcnt 0x0
	v_mul_f32_e32 v28, v28, v31
	global_store_b32 v[24:25], v28, off
	v_lshlrev_b64_e32 v[24:25], 2, v[0:1]
	v_add_nc_u32_e32 v0, s0, v0
	s_delay_alu instid0(VALU_DEP_2) | instskip(SKIP_1) | instid1(VALU_DEP_3)
	v_add_co_u32 v24, vcc_lo, s6, v24
	s_wait_alu 0xfffd
	v_add_co_ci_u32_e64 v25, null, s7, v25, vcc_lo
	global_load_b32 v28, v[24:25], off
	s_wait_loadcnt 0x0
	v_mul_f32_e32 v28, v28, v31
	global_store_b32 v[24:25], v28, off
	v_lshlrev_b64_e32 v[24:25], 2, v[0:1]
	v_add_nc_u32_e32 v0, s0, v0
	s_delay_alu instid0(VALU_DEP_2) | instskip(SKIP_1) | instid1(VALU_DEP_3)
	v_add_co_u32 v24, vcc_lo, s6, v24
	s_wait_alu 0xfffd
	v_add_co_ci_u32_e64 v25, null, s7, v25, vcc_lo
	global_load_b32 v28, v[24:25], off
	s_wait_loadcnt 0x0
	v_mul_f32_e32 v28, v28, v31
	global_store_b32 v[24:25], v28, off
	v_lshlrev_b64_e32 v[24:25], 2, v[0:1]
	v_add_nc_u32_e32 v0, s0, v0
	s_delay_alu instid0(VALU_DEP_2) | instskip(SKIP_1) | instid1(VALU_DEP_3)
	v_add_co_u32 v24, vcc_lo, s6, v24
	s_wait_alu 0xfffd
	v_add_co_ci_u32_e64 v25, null, s7, v25, vcc_lo
	global_load_b32 v28, v[24:25], off
	s_wait_loadcnt 0x0
	v_mul_f32_e32 v28, v28, v27
	global_store_b32 v[24:25], v28, off
	v_lshlrev_b64_e32 v[24:25], 2, v[0:1]
	v_add_nc_u32_e32 v0, s0, v0
	s_delay_alu instid0(VALU_DEP_2) | instskip(SKIP_1) | instid1(VALU_DEP_3)
	v_add_co_u32 v24, vcc_lo, s6, v24
	s_wait_alu 0xfffd
	v_add_co_ci_u32_e64 v25, null, s7, v25, vcc_lo
	global_load_b32 v28, v[24:25], off
	s_wait_loadcnt 0x0
	v_mul_f32_e32 v27, v28, v27
	global_store_b32 v[24:25], v27, off
	v_lshlrev_b64_e32 v[24:25], 2, v[0:1]
	v_add_nc_u32_e32 v0, s0, v0
	s_delay_alu instid0(VALU_DEP_2) | instskip(SKIP_1) | instid1(VALU_DEP_3)
	v_add_co_u32 v24, vcc_lo, s6, v24
	s_wait_alu 0xfffd
	v_add_co_ci_u32_e64 v25, null, s7, v25, vcc_lo
	global_load_b32 v27, v[24:25], off
	global_load_b32 v28, v[6:7], off
	s_wait_loadcnt 0x0
	v_mul_f32_e32 v27, v27, v28
	global_store_b32 v[24:25], v27, off
	v_lshlrev_b64_e32 v[24:25], 2, v[0:1]
	v_add_nc_u32_e32 v0, s0, v0
	s_delay_alu instid0(VALU_DEP_2) | instskip(SKIP_1) | instid1(VALU_DEP_3)
	v_add_co_u32 v24, vcc_lo, s6, v24
	s_wait_alu 0xfffd
	v_add_co_ci_u32_e64 v25, null, s7, v25, vcc_lo
	global_load_b32 v27, v[24:25], off
	s_wait_loadcnt 0x0
	v_mul_f32_e32 v27, v27, v26
	global_store_b32 v[24:25], v27, off
	v_lshlrev_b64_e32 v[24:25], 2, v[0:1]
	v_add_nc_u32_e32 v0, s0, v0
	s_delay_alu instid0(VALU_DEP_2) | instskip(SKIP_1) | instid1(VALU_DEP_3)
	v_add_co_u32 v24, vcc_lo, s6, v24
	s_wait_alu 0xfffd
	v_add_co_ci_u32_e64 v25, null, s7, v25, vcc_lo
	;; [unrolled: 10-line block ×4, first 2 shown]
	global_load_b32 v27, v[24:25], off
	global_load_b32 v29, v[10:11], off
	s_wait_loadcnt 0x0
	v_mul_f32_e32 v27, v27, v29
	global_store_b32 v[24:25], v27, off
	v_lshlrev_b64_e32 v[24:25], 2, v[0:1]
	v_add_nc_u32_e32 v0, s1, v0
	s_delay_alu instid0(VALU_DEP_2) | instskip(SKIP_1) | instid1(VALU_DEP_3)
	v_add_co_u32 v24, vcc_lo, s6, v24
	s_wait_alu 0xfffd
	v_add_co_ci_u32_e64 v25, null, s7, v25, vcc_lo
	global_load_b32 v27, v[24:25], off
	global_load_b32 v29, v[18:19], off
	s_wait_loadcnt 0x0
	v_mul_f32_e32 v27, v27, v29
	global_store_b32 v[24:25], v27, off
	v_lshlrev_b64_e32 v[24:25], 2, v[0:1]
	v_add_nc_u32_e32 v0, s0, v0
	s_delay_alu instid0(VALU_DEP_2) | instskip(SKIP_1) | instid1(VALU_DEP_3)
	v_add_co_u32 v24, vcc_lo, s6, v24
	s_wait_alu 0xfffd
	v_add_co_ci_u32_e64 v25, null, s7, v25, vcc_lo
	;; [unrolled: 11-line block ×3, first 2 shown]
	global_load_b32 v27, v[24:25], off
	s_wait_loadcnt 0x0
	v_mul_f32_e32 v27, v27, v29
	global_store_b32 v[24:25], v27, off
	v_lshlrev_b64_e32 v[24:25], 2, v[0:1]
	v_add_nc_u32_e32 v0, s1, v0
	s_delay_alu instid0(VALU_DEP_2) | instskip(SKIP_1) | instid1(VALU_DEP_3)
	v_add_co_u32 v24, vcc_lo, s6, v24
	s_wait_alu 0xfffd
	v_add_co_ci_u32_e64 v25, null, s7, v25, vcc_lo
	global_load_b32 v27, v[24:25], off
	s_wait_loadcnt 0x0
	v_mul_f32_e32 v27, v27, v29
	global_store_b32 v[24:25], v27, off
	v_lshlrev_b64_e32 v[24:25], 2, v[0:1]
	v_add_nc_u32_e32 v0, s0, v0
	s_delay_alu instid0(VALU_DEP_2) | instskip(SKIP_1) | instid1(VALU_DEP_3)
	v_add_co_u32 v24, vcc_lo, s6, v24
	s_wait_alu 0xfffd
	v_add_co_ci_u32_e64 v25, null, s7, v25, vcc_lo
	global_load_b32 v27, v[24:25], off
	global_load_b32 v29, v[4:5], off
	s_wait_loadcnt 0x0
	v_mul_f32_e32 v27, v27, v29
	global_store_b32 v[24:25], v27, off
	v_lshlrev_b64_e32 v[24:25], 2, v[0:1]
	v_add_nc_u32_e32 v0, s0, v0
	s_delay_alu instid0(VALU_DEP_2) | instskip(SKIP_1) | instid1(VALU_DEP_3)
	v_add_co_u32 v24, vcc_lo, s6, v24
	s_wait_alu 0xfffd
	v_add_co_ci_u32_e64 v25, null, s7, v25, vcc_lo
	global_load_b32 v27, v[24:25], off
	s_wait_loadcnt 0x0
	v_mul_f32_e32 v27, v27, v29
	global_store_b32 v[24:25], v27, off
	v_lshlrev_b64_e32 v[24:25], 2, v[0:1]
	v_add_nc_u32_e32 v0, s0, v0
	s_delay_alu instid0(VALU_DEP_2) | instskip(SKIP_1) | instid1(VALU_DEP_3)
	v_add_co_u32 v24, vcc_lo, s6, v24
	s_wait_alu 0xfffd
	v_add_co_ci_u32_e64 v25, null, s7, v25, vcc_lo
	global_load_b32 v27, v[24:25], off
	s_wait_loadcnt 0x0
	v_mul_f32_e32 v27, v27, v29
	global_store_b32 v[24:25], v27, off
	v_lshlrev_b64_e32 v[24:25], 2, v[0:1]
	v_add_nc_u32_e32 v0, s0, v0
	s_delay_alu instid0(VALU_DEP_2) | instskip(SKIP_1) | instid1(VALU_DEP_3)
	v_add_co_u32 v24, vcc_lo, s6, v24
	s_wait_alu 0xfffd
	v_add_co_ci_u32_e64 v25, null, s7, v25, vcc_lo
	global_load_b32 v27, v[24:25], off
	global_load_b32 v30, v[8:9], off
	s_wait_loadcnt 0x0
	v_mul_f32_e32 v27, v27, v30
	global_store_b32 v[24:25], v27, off
	v_lshlrev_b64_e32 v[24:25], 2, v[0:1]
	v_add_nc_u32_e32 v0, s0, v0
	s_delay_alu instid0(VALU_DEP_2) | instskip(SKIP_1) | instid1(VALU_DEP_3)
	v_add_co_u32 v24, vcc_lo, s6, v24
	s_wait_alu 0xfffd
	v_add_co_ci_u32_e64 v25, null, s7, v25, vcc_lo
	;; [unrolled: 31-line block ×3, first 2 shown]
	v_add_co_u32 v20, vcc_lo, s4, v20
	s_wait_alu 0xfffd
	v_add_co_ci_u32_e64 v21, null, s5, v21, vcc_lo
	global_load_b32 v26, v[24:25], off
	global_load_b32 v28, v[20:21], off
	s_wait_loadcnt 0x0
	v_mul_f32_e32 v20, v26, v28
	global_load_b32 v26, v[22:23], off
	global_store_b32 v[24:25], v20, off
	v_lshlrev_b64_e32 v[20:21], 2, v[0:1]
	v_add_nc_u32_e32 v0, s0, v0
	global_load_b32 v25, v[6:7], off
	v_add_co_u32 v20, vcc_lo, s6, v20
	s_wait_alu 0xfffd
	v_add_co_ci_u32_e64 v21, null, s7, v21, vcc_lo
	global_load_b32 v24, v[20:21], off
	s_wait_loadcnt 0x0
	v_mul_f32_e32 v24, v24, v28
	s_delay_alu instid0(VALU_DEP_1) | instskip(SKIP_3) | instid1(VALU_DEP_2)
	v_mul_f32_e32 v24, v24, v29
	global_store_b32 v[20:21], v24, off
	v_lshlrev_b64_e32 v[20:21], 2, v[0:1]
	v_add_nc_u32_e32 v0, s0, v0
	v_add_co_u32 v20, vcc_lo, s6, v20
	s_wait_alu 0xfffd
	s_delay_alu instid0(VALU_DEP_3) | instskip(SKIP_3) | instid1(VALU_DEP_1)
	v_add_co_ci_u32_e64 v21, null, s7, v21, vcc_lo
	global_load_b32 v24, v[20:21], off
	s_wait_loadcnt 0x0
	v_mul_f32_e32 v24, v24, v28
	v_mul_f32_e32 v24, v24, v29
	global_store_b32 v[20:21], v24, off
	v_lshlrev_b64_e32 v[20:21], 2, v[0:1]
	v_add_nc_u32_e32 v0, s0, v0
	s_delay_alu instid0(VALU_DEP_2) | instskip(SKIP_1) | instid1(VALU_DEP_3)
	v_add_co_u32 v20, vcc_lo, s6, v20
	s_wait_alu 0xfffd
	v_add_co_ci_u32_e64 v21, null, s7, v21, vcc_lo
	global_load_b32 v24, v[20:21], off
	s_wait_loadcnt 0x0
	v_mul_f32_e32 v24, v24, v28
	s_delay_alu instid0(VALU_DEP_1) | instskip(SKIP_3) | instid1(VALU_DEP_2)
	v_mul_f32_e32 v24, v24, v30
	global_store_b32 v[20:21], v24, off
	v_lshlrev_b64_e32 v[20:21], 2, v[0:1]
	v_add_nc_u32_e32 v0, s0, v0
	v_add_co_u32 v20, vcc_lo, s6, v20
	s_wait_alu 0xfffd
	s_delay_alu instid0(VALU_DEP_3) | instskip(SKIP_3) | instid1(VALU_DEP_1)
	v_add_co_ci_u32_e64 v21, null, s7, v21, vcc_lo
	global_load_b32 v24, v[20:21], off
	s_wait_loadcnt 0x0
	v_mul_f32_e32 v24, v24, v28
	v_mul_f32_e32 v24, v24, v30
	global_store_b32 v[20:21], v24, off
	v_lshlrev_b64_e32 v[20:21], 2, v[0:1]
	v_add_nc_u32_e32 v0, s0, v0
	s_delay_alu instid0(VALU_DEP_2) | instskip(SKIP_1) | instid1(VALU_DEP_3)
	;; [unrolled: 23-line block ×3, first 2 shown]
	v_add_co_u32 v20, vcc_lo, s6, v20
	s_wait_alu 0xfffd
	v_add_co_ci_u32_e64 v21, null, s7, v21, vcc_lo
	global_load_b32 v24, v[20:21], off
	s_wait_loadcnt 0x0
	v_mul_f32_e32 v24, v24, v28
	s_delay_alu instid0(VALU_DEP_1) | instskip(SKIP_3) | instid1(VALU_DEP_2)
	v_mul_f32_e32 v24, v24, v27
	global_store_b32 v[20:21], v24, off
	v_lshlrev_b64_e32 v[20:21], 2, v[0:1]
	v_add_nc_u32_e32 v0, s0, v0
	v_add_co_u32 v24, vcc_lo, s6, v20
	s_wait_alu 0xfffd
	s_delay_alu instid0(VALU_DEP_3)
	v_add_co_ci_u32_e64 v25, null, s7, v21, vcc_lo
	global_load_b32 v20, v[24:25], off
	s_wait_loadcnt 0x0
	v_mul_f32_e32 v21, v20, v28
	global_load_b32 v20, v[10:11], off
	s_wait_loadcnt 0x0
	v_mul_f32_e32 v21, v21, v20
	global_store_b32 v[24:25], v21, off
	v_lshlrev_b64_e32 v[24:25], 2, v[0:1]
	v_add_nc_u32_e32 v0, s0, v0
	s_delay_alu instid0(VALU_DEP_2) | instskip(SKIP_1) | instid1(VALU_DEP_3)
	v_add_co_u32 v24, vcc_lo, s6, v24
	s_wait_alu 0xfffd
	v_add_co_ci_u32_e64 v25, null, s7, v25, vcc_lo
	global_load_b32 v21, v[24:25], off
	s_wait_loadcnt 0x0
	v_mul_f32_e32 v21, v21, v28
	global_store_b32 v[24:25], v21, off
	v_lshlrev_b64_e32 v[24:25], 2, v[0:1]
	v_add_nc_u32_e32 v0, s0, v0
	s_delay_alu instid0(VALU_DEP_2) | instskip(SKIP_1) | instid1(VALU_DEP_3)
	v_add_co_u32 v24, vcc_lo, s6, v24
	s_wait_alu 0xfffd
	v_add_co_ci_u32_e64 v25, null, s7, v25, vcc_lo
	;; [unrolled: 10-line block ×5, first 2 shown]
	global_load_b32 v21, v[24:25], off
	s_wait_loadcnt 0x0
	v_mul_f32_e32 v21, v21, v28
	s_delay_alu instid0(VALU_DEP_1) | instskip(SKIP_3) | instid1(VALU_DEP_2)
	v_mul_f32_e32 v21, v21, v26
	global_store_b32 v[24:25], v21, off
	v_lshlrev_b64_e32 v[24:25], 2, v[0:1]
	v_add_nc_u32_e32 v0, s0, v0
	v_add_co_u32 v24, vcc_lo, s6, v24
	s_wait_alu 0xfffd
	s_delay_alu instid0(VALU_DEP_3) | instskip(SKIP_3) | instid1(VALU_DEP_1)
	v_add_co_ci_u32_e64 v25, null, s7, v25, vcc_lo
	global_load_b32 v21, v[24:25], off
	s_wait_loadcnt 0x0
	v_mul_f32_e32 v21, v21, v28
	v_mul_f32_e32 v21, v21, v26
	global_store_b32 v[24:25], v21, off
	v_lshlrev_b64_e32 v[24:25], 2, v[0:1]
	v_add_nc_u32_e32 v0, s0, v0
	s_delay_alu instid0(VALU_DEP_2) | instskip(SKIP_1) | instid1(VALU_DEP_3)
	v_add_co_u32 v24, vcc_lo, s6, v24
	s_wait_alu 0xfffd
	v_add_co_ci_u32_e64 v25, null, s7, v25, vcc_lo
	global_load_b32 v21, v[24:25], off
	global_load_b32 v26, v[4:5], off
	s_wait_loadcnt 0x0
	v_mul_f32_e32 v21, v21, v26
	global_store_b32 v[24:25], v21, off
	v_lshlrev_b64_e32 v[24:25], 2, v[0:1]
	v_add_nc_u32_e32 v0, s0, v0
	s_delay_alu instid0(VALU_DEP_2) | instskip(SKIP_1) | instid1(VALU_DEP_3)
	v_add_co_u32 v24, vcc_lo, s6, v24
	s_wait_alu 0xfffd
	v_add_co_ci_u32_e64 v25, null, s7, v25, vcc_lo
	global_load_b32 v21, v[24:25], off
	s_wait_loadcnt 0x0
	v_mul_f32_e32 v21, v21, v26
	global_store_b32 v[24:25], v21, off
	v_lshlrev_b64_e32 v[24:25], 2, v[0:1]
	v_add_nc_u32_e32 v0, s0, v0
	s_delay_alu instid0(VALU_DEP_2) | instskip(SKIP_1) | instid1(VALU_DEP_3)
	v_add_co_u32 v24, vcc_lo, s6, v24
	s_wait_alu 0xfffd
	v_add_co_ci_u32_e64 v25, null, s7, v25, vcc_lo
	global_load_b32 v21, v[24:25], off
	global_load_b32 v27, v[8:9], off
	s_wait_loadcnt 0x0
	v_mul_f32_e32 v21, v21, v27
	global_store_b32 v[24:25], v21, off
	v_lshlrev_b64_e32 v[24:25], 2, v[0:1]
	v_add_nc_u32_e32 v0, s0, v0
	s_delay_alu instid0(VALU_DEP_2) | instskip(SKIP_1) | instid1(VALU_DEP_3)
	v_add_co_u32 v24, vcc_lo, s6, v24
	s_wait_alu 0xfffd
	v_add_co_ci_u32_e64 v25, null, s7, v25, vcc_lo
	global_load_b32 v21, v[24:25], off
	s_wait_loadcnt 0x0
	;; [unrolled: 21-line block ×3, first 2 shown]
	v_mul_f32_e32 v21, v21, v20
	global_store_b32 v[24:25], v21, off
	v_lshlrev_b64_e32 v[24:25], 2, v[0:1]
	v_add_nc_u32_e32 v0, s0, v0
	s_delay_alu instid0(VALU_DEP_2) | instskip(SKIP_1) | instid1(VALU_DEP_3)
	v_add_co_u32 v24, vcc_lo, s6, v24
	s_wait_alu 0xfffd
	v_add_co_ci_u32_e64 v25, null, s7, v25, vcc_lo
	global_load_b32 v21, v[24:25], off
	s_wait_loadcnt 0x0
	v_mul_f32_e32 v21, v21, v20
	global_store_b32 v[24:25], v21, off
	v_lshlrev_b64_e32 v[24:25], 2, v[0:1]
	v_add_nc_u32_e32 v0, s0, v0
	s_delay_alu instid0(VALU_DEP_2) | instskip(SKIP_1) | instid1(VALU_DEP_3)
	v_add_co_u32 v24, vcc_lo, s6, v24
	s_wait_alu 0xfffd
	v_add_co_ci_u32_e64 v25, null, s7, v25, vcc_lo
	global_load_b32 v21, v[24:25], off
	s_wait_loadcnt 0x0
	v_mul_f32_e32 v21, v21, v20
	global_store_b32 v[24:25], v21, off
	v_lshlrev_b64_e32 v[24:25], 2, v[0:1]
	v_add_nc_u32_e32 v0, s1, v0
	s_delay_alu instid0(VALU_DEP_2) | instskip(SKIP_1) | instid1(VALU_DEP_3)
	v_add_co_u32 v24, vcc_lo, s6, v24
	s_wait_alu 0xfffd
	v_add_co_ci_u32_e64 v25, null, s7, v25, vcc_lo
	global_load_b32 v21, v[24:25], off
	s_clause 0x1
	global_load_b32 v18, v[18:19], off
	global_load_b32 v8, v[8:9], off
	s_wait_loadcnt 0x1
	v_mul_f32_e32 v18, v21, v18
	global_store_b32 v[24:25], v18, off
	v_lshlrev_b64_e32 v[18:19], 2, v[0:1]
	v_add_nc_u32_e32 v0, s0, v0
	s_delay_alu instid0(VALU_DEP_2) | instskip(SKIP_1) | instid1(VALU_DEP_3)
	v_add_co_u32 v18, vcc_lo, s6, v18
	s_wait_alu 0xfffd
	v_add_co_ci_u32_e64 v19, null, s7, v19, vcc_lo
	v_add_co_u32 v16, vcc_lo, s4, v16
	s_wait_alu 0xfffd
	v_add_co_ci_u32_e64 v17, null, s5, v17, vcc_lo
	global_load_b32 v21, v[18:19], off
	global_load_b32 v24, v[16:17], off
	s_wait_loadcnt 0x0
	v_mul_f32_e32 v16, v21, v24
	s_delay_alu instid0(VALU_DEP_1)
	v_mul_f32_e32 v16, v16, v26
	global_store_b32 v[18:19], v16, off
	v_lshlrev_b64_e32 v[16:17], 2, v[0:1]
	v_add_nc_u32_e32 v0, s0, v0
	global_load_b32 v19, v[6:7], off
	v_add_co_u32 v16, vcc_lo, s6, v16
	s_wait_alu 0xfffd
	v_add_co_ci_u32_e64 v17, null, s7, v17, vcc_lo
	global_load_b32 v18, v[16:17], off
	s_wait_loadcnt 0x0
	v_mul_f32_e32 v18, v18, v24
	s_delay_alu instid0(VALU_DEP_1) | instskip(SKIP_3) | instid1(VALU_DEP_2)
	v_mul_f32_e32 v18, v18, v27
	global_store_b32 v[16:17], v18, off
	v_lshlrev_b64_e32 v[16:17], 2, v[0:1]
	v_add_nc_u32_e32 v0, s0, v0
	v_add_co_u32 v16, vcc_lo, s6, v16
	s_wait_alu 0xfffd
	s_delay_alu instid0(VALU_DEP_3) | instskip(SKIP_3) | instid1(VALU_DEP_1)
	v_add_co_ci_u32_e64 v17, null, s7, v17, vcc_lo
	global_load_b32 v18, v[16:17], off
	s_wait_loadcnt 0x0
	v_mul_f32_e32 v18, v18, v24
	v_mul_f32_e32 v18, v18, v19
	global_load_b32 v19, v[22:23], off
	global_store_b32 v[16:17], v18, off
	v_lshlrev_b64_e32 v[16:17], 2, v[0:1]
	v_add_nc_u32_e32 v0, s0, v0
	s_delay_alu instid0(VALU_DEP_2) | instskip(SKIP_1) | instid1(VALU_DEP_3)
	v_add_co_u32 v16, vcc_lo, s6, v16
	s_wait_alu 0xfffd
	v_add_co_ci_u32_e64 v17, null, s7, v17, vcc_lo
	global_load_b32 v18, v[16:17], off
	s_wait_loadcnt 0x0
	v_mul_f32_e32 v18, v18, v24
	global_store_b32 v[16:17], v18, off
	v_lshlrev_b64_e32 v[16:17], 2, v[0:1]
	v_add_nc_u32_e32 v0, s0, v0
	s_delay_alu instid0(VALU_DEP_2) | instskip(SKIP_1) | instid1(VALU_DEP_3)
	v_add_co_u32 v16, vcc_lo, s6, v16
	s_wait_alu 0xfffd
	v_add_co_ci_u32_e64 v17, null, s7, v17, vcc_lo
	global_load_b32 v18, v[16:17], off
	s_wait_loadcnt 0x0
	v_mul_f32_e32 v18, v18, v24
	s_delay_alu instid0(VALU_DEP_1) | instskip(SKIP_3) | instid1(VALU_DEP_2)
	v_mul_f32_e32 v18, v18, v19
	global_store_b32 v[16:17], v18, off
	v_lshlrev_b64_e32 v[16:17], 2, v[0:1]
	v_add_nc_u32_e32 v0, s0, v0
	v_add_co_u32 v16, vcc_lo, s6, v16
	s_wait_alu 0xfffd
	s_delay_alu instid0(VALU_DEP_3)
	v_add_co_ci_u32_e64 v17, null, s7, v17, vcc_lo
	v_add_co_u32 v14, vcc_lo, s4, v14
	s_wait_alu 0xfffd
	v_add_co_ci_u32_e64 v15, null, s5, v15, vcc_lo
	global_load_b32 v18, v[16:17], off
	global_load_b32 v19, v[14:15], off
	s_wait_loadcnt 0x0
	v_mul_f32_e32 v14, v18, v19
	s_delay_alu instid0(VALU_DEP_1) | instskip(SKIP_3) | instid1(VALU_DEP_2)
	v_mul_f32_e32 v14, v14, v26
	global_store_b32 v[16:17], v14, off
	v_lshlrev_b64_e32 v[14:15], 2, v[0:1]
	v_add_nc_u32_e32 v0, s0, v0
	v_add_co_u32 v14, vcc_lo, s6, v14
	s_wait_alu 0xfffd
	s_delay_alu instid0(VALU_DEP_3) | instskip(SKIP_3) | instid1(VALU_DEP_1)
	v_add_co_ci_u32_e64 v15, null, s7, v15, vcc_lo
	global_load_b32 v16, v[14:15], off
	s_wait_loadcnt 0x0
	v_mul_f32_e32 v16, v16, v19
	v_mul_f32_e32 v16, v16, v26
	global_store_b32 v[14:15], v16, off
	v_lshlrev_b64_e32 v[14:15], 2, v[0:1]
	v_add_nc_u32_e32 v0, s0, v0
	s_delay_alu instid0(VALU_DEP_2) | instskip(SKIP_1) | instid1(VALU_DEP_3)
	v_add_co_u32 v14, vcc_lo, s6, v14
	s_wait_alu 0xfffd
	v_add_co_ci_u32_e64 v15, null, s7, v15, vcc_lo
	global_load_b32 v16, v[14:15], off
	s_wait_loadcnt 0x0
	v_mul_f32_e32 v16, v16, v19
	s_delay_alu instid0(VALU_DEP_1) | instskip(SKIP_3) | instid1(VALU_DEP_2)
	v_mul_f32_e32 v16, v16, v20
	global_store_b32 v[14:15], v16, off
	v_lshlrev_b64_e32 v[14:15], 2, v[0:1]
	v_add_nc_u32_e32 v0, s0, v0
	v_add_co_u32 v14, vcc_lo, s6, v14
	s_wait_alu 0xfffd
	s_delay_alu instid0(VALU_DEP_3) | instskip(SKIP_3) | instid1(VALU_DEP_1)
	v_add_co_ci_u32_e64 v15, null, s7, v15, vcc_lo
	global_load_b32 v16, v[14:15], off
	s_wait_loadcnt 0x0
	v_mul_f32_e32 v16, v16, v19
	v_mul_f32_e32 v16, v16, v20
	global_store_b32 v[14:15], v16, off
	v_lshlrev_b64_e32 v[14:15], 2, v[0:1]
	v_add_nc_u32_e32 v0, s0, v0
	s_delay_alu instid0(VALU_DEP_2) | instskip(SKIP_1) | instid1(VALU_DEP_3)
	v_add_co_u32 v14, vcc_lo, s6, v14
	s_wait_alu 0xfffd
	v_add_co_ci_u32_e64 v15, null, s7, v15, vcc_lo
	global_load_b32 v16, v[14:15], off
	s_wait_loadcnt 0x0
	v_mul_f32_e32 v16, v16, v19
	global_store_b32 v[14:15], v16, off
	v_lshlrev_b64_e32 v[14:15], 2, v[0:1]
	v_add_nc_u32_e32 v0, s0, v0
	s_delay_alu instid0(VALU_DEP_2) | instskip(SKIP_1) | instid1(VALU_DEP_3)
	v_add_co_u32 v14, vcc_lo, s6, v14
	s_wait_alu 0xfffd
	v_add_co_ci_u32_e64 v15, null, s7, v15, vcc_lo
	v_add_co_u32 v12, vcc_lo, s4, v12
	s_wait_alu 0xfffd
	v_add_co_ci_u32_e64 v13, null, s5, v13, vcc_lo
	global_load_b32 v16, v[14:15], off
	global_load_b32 v17, v[12:13], off
	s_wait_loadcnt 0x0
	v_mul_f32_e32 v12, v16, v17
	s_delay_alu instid0(VALU_DEP_1) | instskip(SKIP_3) | instid1(VALU_DEP_2)
	v_mul_f32_e32 v12, v12, v26
	global_store_b32 v[14:15], v12, off
	v_lshlrev_b64_e32 v[12:13], 2, v[0:1]
	v_add_nc_u32_e32 v0, s0, v0
	v_add_co_u32 v12, vcc_lo, s6, v12
	s_wait_alu 0xfffd
	s_delay_alu instid0(VALU_DEP_3) | instskip(SKIP_3) | instid1(VALU_DEP_1)
	v_add_co_ci_u32_e64 v13, null, s7, v13, vcc_lo
	global_load_b32 v14, v[12:13], off
	s_wait_loadcnt 0x0
	v_mul_f32_e32 v14, v14, v17
	v_mul_f32_e32 v14, v14, v26
	global_store_b32 v[12:13], v14, off
	v_lshlrev_b64_e32 v[12:13], 2, v[0:1]
	v_add_nc_u32_e32 v0, s0, v0
	s_delay_alu instid0(VALU_DEP_2) | instskip(SKIP_1) | instid1(VALU_DEP_3)
	v_add_co_u32 v12, vcc_lo, s6, v12
	s_wait_alu 0xfffd
	v_add_co_ci_u32_e64 v13, null, s7, v13, vcc_lo
	global_load_b32 v14, v[12:13], off
	s_wait_loadcnt 0x0
	v_mul_f32_e32 v14, v14, v17
	s_delay_alu instid0(VALU_DEP_1) | instskip(SKIP_3) | instid1(VALU_DEP_2)
	v_mul_f32_e32 v14, v14, v26
	global_store_b32 v[12:13], v14, off
	v_lshlrev_b64_e32 v[12:13], 2, v[0:1]
	v_add_nc_u32_e32 v0, s0, v0
	v_add_co_u32 v12, vcc_lo, s6, v12
	s_wait_alu 0xfffd
	s_delay_alu instid0(VALU_DEP_3) | instskip(SKIP_3) | instid1(VALU_DEP_1)
	v_add_co_ci_u32_e64 v13, null, s7, v13, vcc_lo
	global_load_b32 v14, v[12:13], off
	s_wait_loadcnt 0x0
	v_mul_f32_e32 v14, v14, v17
	v_mul_f32_e32 v9, v14, v8
	global_store_b32 v[12:13], v9, off
	v_lshlrev_b64_e32 v[12:13], 2, v[0:1]
	v_add_nc_u32_e32 v0, s0, v0
	s_delay_alu instid0(VALU_DEP_2) | instskip(SKIP_1) | instid1(VALU_DEP_3)
	v_add_co_u32 v12, vcc_lo, s6, v12
	s_wait_alu 0xfffd
	v_add_co_ci_u32_e64 v13, null, s7, v13, vcc_lo
	;; [unrolled: 23-line block ×3, first 2 shown]
	global_load_b32 v9, v[12:13], off
	s_wait_loadcnt 0x0
	v_mul_f32_e32 v14, v9, v17
	global_load_b32 v9, v[6:7], off
	s_wait_loadcnt 0x0
	v_mul_f32_e32 v6, v14, v9
	global_store_b32 v[12:13], v6, off
	v_lshlrev_b64_e32 v[6:7], 2, v[0:1]
	v_add_nc_u32_e32 v0, s0, v0
	s_delay_alu instid0(VALU_DEP_2) | instskip(SKIP_1) | instid1(VALU_DEP_3)
	v_add_co_u32 v12, vcc_lo, s6, v6
	s_wait_alu 0xfffd
	v_add_co_ci_u32_e64 v13, null, s7, v7, vcc_lo
	global_load_b32 v7, v[10:11], off
	v_lshlrev_b64_e32 v[10:11], 2, v[0:1]
	v_add_nc_u32_e32 v0, s0, v0
	global_load_b32 v6, v[12:13], off
	v_add_co_u32 v10, vcc_lo, s6, v10
	s_wait_alu 0xfffd
	v_add_co_ci_u32_e64 v11, null, s7, v11, vcc_lo
	s_wait_loadcnt 0x0
	v_mul_f32_e32 v6, v6, v17
	s_delay_alu instid0(VALU_DEP_1)
	v_mul_f32_e32 v6, v6, v7
	global_store_b32 v[12:13], v6, off
	global_load_b32 v6, v[10:11], off
	s_wait_loadcnt 0x0
	v_mul_f32_e32 v12, v6, v17
	global_load_b32 v6, v[22:23], off
	s_wait_loadcnt 0x0
	v_mul_f32_e32 v12, v12, v6
	global_store_b32 v[10:11], v12, off
	v_lshlrev_b64_e32 v[10:11], 2, v[0:1]
	v_add_nc_u32_e32 v0, s0, v0
	s_delay_alu instid0(VALU_DEP_2) | instskip(SKIP_1) | instid1(VALU_DEP_3)
	v_add_co_u32 v10, vcc_lo, s6, v10
	s_wait_alu 0xfffd
	v_add_co_ci_u32_e64 v11, null, s7, v11, vcc_lo
	global_load_b32 v12, v[10:11], off
	global_load_b32 v13, v[4:5], off
	s_wait_loadcnt 0x0
	v_mul_f32_e32 v4, v12, v13
	global_store_b32 v[10:11], v4, off
	v_lshlrev_b64_e32 v[4:5], 2, v[0:1]
	v_add_nc_u32_e32 v0, s0, v0
	s_delay_alu instid0(VALU_DEP_2) | instskip(SKIP_1) | instid1(VALU_DEP_3)
	v_add_co_u32 v4, vcc_lo, s6, v4
	s_wait_alu 0xfffd
	v_add_co_ci_u32_e64 v5, null, s7, v5, vcc_lo
	global_load_b32 v10, v[4:5], off
	s_wait_loadcnt 0x0
	v_mul_f32_e32 v10, v10, v13
	global_store_b32 v[4:5], v10, off
	v_lshlrev_b64_e32 v[4:5], 2, v[0:1]
	v_add_nc_u32_e32 v0, s0, v0
	s_delay_alu instid0(VALU_DEP_2) | instskip(SKIP_1) | instid1(VALU_DEP_3)
	v_add_co_u32 v4, vcc_lo, s6, v4
	s_wait_alu 0xfffd
	v_add_co_ci_u32_e64 v5, null, s7, v5, vcc_lo
	;; [unrolled: 10-line block ×4, first 2 shown]
	global_load_b32 v8, v[4:5], off
	global_load_b32 v2, v[2:3], off
	s_wait_loadcnt 0x0
	v_mul_f32_e32 v2, v8, v2
	global_store_b32 v[4:5], v2, off
	v_lshlrev_b64_e32 v[2:3], 2, v[0:1]
	v_add_nc_u32_e32 v0, s0, v0
	s_delay_alu instid0(VALU_DEP_2) | instskip(SKIP_1) | instid1(VALU_DEP_3)
	v_add_co_u32 v2, vcc_lo, s6, v2
	s_wait_alu 0xfffd
	v_add_co_ci_u32_e64 v3, null, s7, v3, vcc_lo
	s_delay_alu instid0(VALU_DEP_3)
	v_lshlrev_b64_e32 v[0:1], 2, v[0:1]
	global_load_b32 v4, v[2:3], off
	v_add_co_u32 v0, vcc_lo, s6, v0
	s_wait_alu 0xfffd
	v_add_co_ci_u32_e64 v1, null, s7, v1, vcc_lo
	s_wait_loadcnt 0x0
	v_mul_f32_e32 v4, v4, v7
	global_store_b32 v[2:3], v4, off
	global_load_b32 v2, v[0:1], off
	s_wait_loadcnt 0x0
	v_mul_f32_e32 v2, v2, v6
	global_store_b32 v[0:1], v2, off
	s_endpgm
	.section	.rodata,"a",@progbits
	.p2align	6, 0x0
	.amdhsa_kernel _Z12ratx2_kernelIfEvPKT_PS0_S3_
		.amdhsa_group_segment_fixed_size 0
		.amdhsa_private_segment_fixed_size 0
		.amdhsa_kernarg_size 280
		.amdhsa_user_sgpr_count 2
		.amdhsa_user_sgpr_dispatch_ptr 0
		.amdhsa_user_sgpr_queue_ptr 0
		.amdhsa_user_sgpr_kernarg_segment_ptr 1
		.amdhsa_user_sgpr_dispatch_id 0
		.amdhsa_user_sgpr_private_segment_size 0
		.amdhsa_wavefront_size32 1
		.amdhsa_uses_dynamic_stack 0
		.amdhsa_enable_private_segment 0
		.amdhsa_system_sgpr_workgroup_id_x 1
		.amdhsa_system_sgpr_workgroup_id_y 0
		.amdhsa_system_sgpr_workgroup_id_z 0
		.amdhsa_system_sgpr_workgroup_info 0
		.amdhsa_system_vgpr_workitem_id 0
		.amdhsa_next_free_vgpr 48
		.amdhsa_next_free_sgpr 8
		.amdhsa_reserve_vcc 1
		.amdhsa_float_round_mode_32 0
		.amdhsa_float_round_mode_16_64 0
		.amdhsa_float_denorm_mode_32 3
		.amdhsa_float_denorm_mode_16_64 3
		.amdhsa_fp16_overflow 0
		.amdhsa_workgroup_processor_mode 1
		.amdhsa_memory_ordered 1
		.amdhsa_forward_progress 1
		.amdhsa_inst_pref_size 113
		.amdhsa_round_robin_scheduling 0
		.amdhsa_exception_fp_ieee_invalid_op 0
		.amdhsa_exception_fp_denorm_src 0
		.amdhsa_exception_fp_ieee_div_zero 0
		.amdhsa_exception_fp_ieee_overflow 0
		.amdhsa_exception_fp_ieee_underflow 0
		.amdhsa_exception_fp_ieee_inexact 0
		.amdhsa_exception_int_div_zero 0
	.end_amdhsa_kernel
	.section	.text._Z12ratx2_kernelIfEvPKT_PS0_S3_,"axG",@progbits,_Z12ratx2_kernelIfEvPKT_PS0_S3_,comdat
.Lfunc_end14:
	.size	_Z12ratx2_kernelIfEvPKT_PS0_S3_, .Lfunc_end14-_Z12ratx2_kernelIfEvPKT_PS0_S3_
                                        ; -- End function
	.set _Z12ratx2_kernelIfEvPKT_PS0_S3_.num_vgpr, 48
	.set _Z12ratx2_kernelIfEvPKT_PS0_S3_.num_agpr, 0
	.set _Z12ratx2_kernelIfEvPKT_PS0_S3_.numbered_sgpr, 8
	.set _Z12ratx2_kernelIfEvPKT_PS0_S3_.num_named_barrier, 0
	.set _Z12ratx2_kernelIfEvPKT_PS0_S3_.private_seg_size, 0
	.set _Z12ratx2_kernelIfEvPKT_PS0_S3_.uses_vcc, 1
	.set _Z12ratx2_kernelIfEvPKT_PS0_S3_.uses_flat_scratch, 0
	.set _Z12ratx2_kernelIfEvPKT_PS0_S3_.has_dyn_sized_stack, 0
	.set _Z12ratx2_kernelIfEvPKT_PS0_S3_.has_recursion, 0
	.set _Z12ratx2_kernelIfEvPKT_PS0_S3_.has_indirect_call, 0
	.section	.AMDGPU.csdata,"",@progbits
; Kernel info:
; codeLenInByte = 14412
; TotalNumSgprs: 10
; NumVgprs: 48
; ScratchSize: 0
; MemoryBound: 0
; FloatMode: 240
; IeeeMode: 1
; LDSByteSize: 0 bytes/workgroup (compile time only)
; SGPRBlocks: 0
; VGPRBlocks: 5
; NumSGPRsForWavesPerEU: 10
; NumVGPRsForWavesPerEU: 48
; Occupancy: 16
; WaveLimiterHint : 0
; COMPUTE_PGM_RSRC2:SCRATCH_EN: 0
; COMPUTE_PGM_RSRC2:USER_SGPR: 2
; COMPUTE_PGM_RSRC2:TRAP_HANDLER: 0
; COMPUTE_PGM_RSRC2:TGID_X_EN: 1
; COMPUTE_PGM_RSRC2:TGID_Y_EN: 0
; COMPUTE_PGM_RSRC2:TGID_Z_EN: 0
; COMPUTE_PGM_RSRC2:TIDIG_COMP_CNT: 0
	.section	.text._Z12ratx4_kernelIfEvPKT_PS0_S3_,"axG",@progbits,_Z12ratx4_kernelIfEvPKT_PS0_S3_,comdat
	.protected	_Z12ratx4_kernelIfEvPKT_PS0_S3_ ; -- Begin function _Z12ratx4_kernelIfEvPKT_PS0_S3_
	.globl	_Z12ratx4_kernelIfEvPKT_PS0_S3_
	.p2align	8
	.type	_Z12ratx4_kernelIfEvPKT_PS0_S3_,@function
_Z12ratx4_kernelIfEvPKT_PS0_S3_:        ; @_Z12ratx4_kernelIfEvPKT_PS0_S3_
; %bb.0:
	s_clause 0x2
	s_load_b32 s2, s[0:1], 0x24
	s_load_b96 s[4:6], s[0:1], 0x10
	s_load_b64 s[0:1], s[0:1], 0x0
	s_wait_kmcnt 0x0
	s_and_b32 s2, s2, 0xffff
	s_delay_alu instid0(SALU_CYCLE_1)
	v_mad_co_u64_u32 v[0:1], null, ttmp9, s2, v[0:1]
	s_mul_i32 s2, s6, s2
	s_wait_alu 0xfffe
	s_lshl_b32 s3, s2, 1
	v_mov_b32_e32 v1, 0
	s_lshl_b32 s6, s2, 2
	s_wait_alu 0xfffe
	s_delay_alu instid0(VALU_DEP_1) | instskip(SKIP_2) | instid1(VALU_DEP_3)
	v_dual_mov_b32 v3, v1 :: v_dual_add_nc_u32 v2, s3, v0
	v_mov_b32_e32 v5, v1
	v_lshlrev_b64_e32 v[6:7], 2, v[0:1]
	v_add_nc_u32_e32 v4, s3, v2
	v_add_nc_u32_e32 v0, s2, v0
	v_lshlrev_b64_e32 v[8:9], 2, v[2:3]
	s_delay_alu instid0(VALU_DEP_4) | instskip(NEXT) | instid1(VALU_DEP_4)
	v_add_co_u32 v10, vcc_lo, s4, v6
	v_lshlrev_b64_e32 v[2:3], 2, v[4:5]
	v_add_co_ci_u32_e64 v11, null, s5, v7, vcc_lo
	s_delay_alu instid0(VALU_DEP_4) | instskip(SKIP_2) | instid1(VALU_DEP_4)
	v_add_co_u32 v4, vcc_lo, s0, v8
	s_wait_alu 0xfffd
	v_add_co_ci_u32_e64 v5, null, s1, v9, vcc_lo
	v_add_co_u32 v2, vcc_lo, s0, v2
	s_wait_alu 0xfffd
	v_add_co_ci_u32_e64 v3, null, s1, v3, vcc_lo
	global_load_b32 v15, v[10:11], off
	s_clause 0x1
	global_load_b32 v14, v[4:5], off
	global_load_b32 v28, v[2:3], off
	v_lshlrev_b64_e32 v[12:13], 2, v[0:1]
	s_clause 0x5
	global_load_b32 v29, v[4:5], off
	global_load_b32 v30, v[4:5], off
	;; [unrolled: 1-line block ×6, first 2 shown]
	s_wait_loadcnt 0x7
	v_mul_f32_e32 v4, v15, v14
	v_add_co_u32 v15, vcc_lo, s4, v12
	s_wait_alu 0xfffd
	v_add_co_ci_u32_e64 v16, null, s5, v13, vcc_lo
	s_wait_loadcnt 0x6
	v_mul_f32_e32 v17, v4, v28
	v_add_co_u32 v4, vcc_lo, s0, v12
	s_wait_alu 0xfffd
	v_add_co_ci_u32_e64 v5, null, s1, v13, vcc_lo
	global_store_b32 v[10:11], v17, off
	global_load_b32 v10, v[15:16], off
	s_clause 0x7
	global_load_b32 v12, v[4:5], off
	global_load_b32 v52, v[4:5], off
	;; [unrolled: 1-line block ×8, first 2 shown]
	v_add_co_u32 v8, vcc_lo, s4, v8
	s_wait_alu 0xfffd
	v_add_co_ci_u32_e64 v9, null, s5, v9, vcc_lo
	s_wait_loadcnt 0x7
	v_mul_f32_e32 v10, v10, v12
	s_delay_alu instid0(VALU_DEP_1) | instskip(NEXT) | instid1(VALU_DEP_1)
	v_dual_mul_f32 v13, v28, v10 :: v_dual_add_nc_u32 v0, s6, v0
	v_lshlrev_b64_e32 v[10:11], 2, v[0:1]
	v_subrev_nc_u32_e32 v0, s3, v0
	global_store_b32 v[15:16], v13, off
	global_load_b32 v19, v[8:9], off
	v_add_co_u32 v15, vcc_lo, s0, v10
	s_wait_alu 0xfffd
	v_add_co_ci_u32_e64 v16, null, s1, v11, vcc_lo
	v_lshlrev_b64_e32 v[17:18], 2, v[0:1]
	s_clause 0x6
	global_load_b32 v13, v[15:16], off
	global_load_b32 v58, v[15:16], off
	;; [unrolled: 1-line block ×7, first 2 shown]
	v_add_co_u32 v15, vcc_lo, s4, v17
	s_wait_alu 0xfffd
	v_add_co_ci_u32_e64 v16, null, s5, v18, vcc_lo
	v_add_co_u32 v22, vcc_lo, s0, v6
	s_wait_alu 0xfffd
	v_add_co_ci_u32_e64 v23, null, s1, v7, vcc_lo
	;; [unrolled: 3-line block ×3, first 2 shown]
	global_load_b32 v53, v[22:23], off
	s_wait_loadcnt 0x8
	v_mul_f32_e32 v19, v12, v19
	s_wait_loadcnt 0x7
	s_delay_alu instid0(VALU_DEP_1) | instskip(SKIP_4) | instid1(VALU_DEP_1)
	v_mul_f32_e32 v19, v19, v13
	global_store_b32 v[8:9], v19, off
	global_load_b32 v8, v[15:16], off
	s_wait_loadcnt 0x0
	v_mul_f32_e32 v8, v14, v8
	v_mul_f32_e32 v8, v13, v8
	global_store_b32 v[15:16], v8, off
	global_load_b32 v10, v[6:7], off
	v_mad_co_u64_u32 v[8:9], null, s2, 3, v[0:1]
	s_wait_loadcnt 0x0
	v_dual_mov_b32 v9, v1 :: v_dual_mul_f32 v0, v10, v53
	s_delay_alu instid0(VALU_DEP_1) | instskip(NEXT) | instid1(VALU_DEP_2)
	v_lshlrev_b64_e32 v[9:10], 2, v[8:9]
	v_mul_f32_e32 v0, v53, v0
	s_delay_alu instid0(VALU_DEP_2) | instskip(SKIP_1) | instid1(VALU_DEP_3)
	v_add_co_u32 v15, vcc_lo, s4, v9
	s_wait_alu 0xfffd
	v_add_co_ci_u32_e64 v16, null, s5, v10, vcc_lo
	global_store_b32 v[6:7], v0, off
	v_add_nc_u32_e32 v0, s2, v8
	global_load_b32 v6, v[15:16], off
	v_lshlrev_b64_e32 v[24:25], 2, v[0:1]
	v_add_nc_u32_e32 v0, s6, v0
	s_delay_alu instid0(VALU_DEP_2) | instskip(SKIP_1) | instid1(VALU_DEP_3)
	v_add_co_u32 v19, vcc_lo, s4, v24
	s_wait_alu 0xfffd
	v_add_co_ci_u32_e64 v20, null, s5, v25, vcc_lo
	s_wait_loadcnt 0x0
	v_mul_f32_e32 v6, v53, v6
	s_delay_alu instid0(VALU_DEP_1)
	v_mul_f32_e32 v8, v13, v6
	v_lshlrev_b64_e32 v[6:7], 2, v[0:1]
	v_add_nc_u32_e32 v0, s2, v0
	global_store_b32 v[15:16], v8, off
	global_load_b32 v11, v[19:20], off
	v_add_co_u32 v15, vcc_lo, s0, v6
	s_wait_alu 0xfffd
	v_add_co_ci_u32_e64 v16, null, s1, v7, vcc_lo
	v_lshlrev_b64_e32 v[60:61], 2, v[0:1]
	v_add_co_u32 v6, vcc_lo, s0, v9
	global_load_b32 v50, v[15:16], off
	s_wait_alu 0xfffd
	v_add_co_ci_u32_e64 v7, null, s1, v10, vcc_lo
	v_add_co_u32 v8, vcc_lo, s4, v60
	s_wait_alu 0xfffd
	v_add_co_ci_u32_e64 v9, null, s5, v61, vcc_lo
	s_clause 0x6
	global_load_b32 v55, v[6:7], off
	global_load_b32 v64, v[6:7], off
	;; [unrolled: 1-line block ×7, first 2 shown]
	s_wait_loadcnt 0x8
	v_mul_f32_e32 v10, v53, v11
	s_wait_loadcnt 0x7
	s_delay_alu instid0(VALU_DEP_1)
	v_mul_f32_e32 v15, v10, v50
	v_add_co_u32 v10, vcc_lo, s0, v17
	s_wait_alu 0xfffd
	v_add_co_ci_u32_e64 v11, null, s1, v18, vcc_lo
	global_store_b32 v[19:20], v15, off
	global_load_b32 v15, v[8:9], off
	global_load_b32 v56, v[10:11], off
	v_add_nc_u32_e32 v0, s2, v0
	s_clause 0x2
	global_load_b32 v59, v[10:11], off
	global_load_b32 v40, v[10:11], off
	;; [unrolled: 1-line block ×3, first 2 shown]
	v_lshlrev_b64_e32 v[16:17], 2, v[0:1]
	v_add_nc_u32_e32 v0, s2, v0
	s_delay_alu instid0(VALU_DEP_2) | instskip(SKIP_1) | instid1(VALU_DEP_3)
	v_add_co_u32 v10, vcc_lo, s4, v16
	s_wait_alu 0xfffd
	v_add_co_ci_u32_e64 v11, null, s5, v17, vcc_lo
	s_delay_alu instid0(VALU_DEP_3) | instskip(NEXT) | instid1(VALU_DEP_1)
	v_lshlrev_b64_e32 v[20:21], 2, v[0:1]
	v_add_co_u32 v18, vcc_lo, s4, v20
	s_wait_alu 0xfffd
	s_delay_alu instid0(VALU_DEP_2) | instskip(SKIP_3) | instid1(VALU_DEP_1)
	v_add_co_ci_u32_e64 v19, null, s5, v21, vcc_lo
	s_wait_loadcnt 0x4
	v_mul_f32_e32 v15, v15, v55
	s_wait_loadcnt 0x3
	v_mul_f32_e32 v15, v15, v56
	global_store_b32 v[8:9], v15, off
	global_load_b32 v15, v[10:11], off
	v_mad_co_u64_u32 v[8:9], null, s2, 7, v[0:1]
	v_mov_b32_e32 v9, v1
	s_delay_alu instid0(VALU_DEP_1) | instskip(SKIP_2) | instid1(VALU_DEP_3)
	v_lshlrev_b64_e32 v[67:68], 2, v[8:9]
	v_mad_co_u64_u32 v[8:9], null, s2, -6, v[8:9]
	v_mov_b32_e32 v9, v1
	v_add_co_u32 v26, vcc_lo, s0, v67
	s_wait_alu 0xfffd
	s_delay_alu instid0(VALU_DEP_4)
	v_add_co_ci_u32_e64 v27, null, s1, v68, vcc_lo
	v_add_co_u32 v24, vcc_lo, s0, v24
	s_wait_alu 0xfffd
	v_add_co_ci_u32_e64 v25, null, s1, v25, vcc_lo
	s_wait_loadcnt 0x0
	v_mul_f32_e32 v0, v55, v15
	s_delay_alu instid0(VALU_DEP_1)
	v_mul_f32_e32 v0, v13, v0
	global_store_b32 v[10:11], v0, off
	global_load_b32 v0, v[18:19], off
	global_load_b32 v15, v[26:27], off
	v_lshlrev_b64_e32 v[10:11], 2, v[8:9]
	global_load_b32 v72, v[24:25], off
	v_add_co_u32 v69, vcc_lo, s4, v10
	s_wait_alu 0xfffd
	v_add_co_ci_u32_e64 v70, null, s5, v11, vcc_lo
	s_wait_loadcnt 0x2
	v_mul_f32_e32 v0, v55, v0
	s_wait_loadcnt 0x1
	s_delay_alu instid0(VALU_DEP_1)
	v_mul_f32_e32 v0, v0, v15
	global_store_b32 v[18:19], v0, off
	global_load_b32 v15, v[69:70], off
	v_add_nc_u32_e32 v0, s2, v8
	v_add_co_u32 v8, vcc_lo, s0, v60
	s_wait_alu 0xfffd
	v_add_co_ci_u32_e64 v9, null, s1, v61, vcc_lo
	s_delay_alu instid0(VALU_DEP_3)
	v_lshlrev_b64_e32 v[74:75], 2, v[0:1]
	s_clause 0x5
	global_load_b32 v71, v[24:25], off
	global_load_b32 v48, v[24:25], off
	;; [unrolled: 1-line block ×6, first 2 shown]
	v_add_nc_u32_e32 v0, s2, v0
	v_add_co_u32 v18, vcc_lo, s4, v74
	s_wait_alu 0xfffd
	v_add_co_ci_u32_e64 v19, null, s5, v75, vcc_lo
	s_delay_alu instid0(VALU_DEP_3)
	v_lshlrev_b64_e32 v[76:77], 2, v[0:1]
	v_add_nc_u32_e32 v0, s2, v0
	s_wait_loadcnt 0x6
	v_mul_f32_e32 v15, v15, v72
	global_store_b32 v[69:70], v15, off
	global_load_b32 v15, v[18:19], off
	s_wait_loadcnt 0x0
	v_mul_f32_e32 v14, v14, v15
	s_delay_alu instid0(VALU_DEP_1)
	v_mul_f32_e32 v24, v13, v14
	v_add_co_u32 v14, vcc_lo, s4, v76
	s_wait_alu 0xfffd
	v_add_co_ci_u32_e64 v15, null, s5, v77, vcc_lo
	global_store_b32 v[18:19], v24, off
	v_lshlrev_b64_e32 v[24:25], 2, v[0:1]
	v_add_nc_u32_e32 v0, s2, v0
	global_load_b32 v18, v[14:15], off
	s_wait_loadcnt 0x0
	v_mul_f32_e32 v18, v56, v18
	s_delay_alu instid0(VALU_DEP_1)
	v_mul_f32_e32 v60, v53, v18
	v_add_co_u32 v18, vcc_lo, s4, v24
	s_wait_alu 0xfffd
	v_add_co_ci_u32_e64 v19, null, s5, v25, vcc_lo
	global_store_b32 v[14:15], v60, off
	global_load_b32 v14, v[18:19], off
	s_wait_loadcnt 0x0
	v_mul_f32_e32 v60, v28, v14
	v_lshlrev_b64_e32 v[14:15], 2, v[0:1]
	v_add_nc_u32_e32 v0, s2, v0
	s_delay_alu instid0(VALU_DEP_3) | instskip(NEXT) | instid1(VALU_DEP_3)
	v_mul_f32_e32 v69, v28, v60
	v_add_co_u32 v60, vcc_lo, s4, v14
	s_wait_alu 0xfffd
	s_delay_alu instid0(VALU_DEP_4)
	v_add_co_ci_u32_e64 v61, null, s5, v15, vcc_lo
	global_store_b32 v[18:19], v69, off
	global_load_b32 v18, v[60:61], off
	s_wait_loadcnt 0x0
	v_mul_f32_e32 v69, v28, v18
	v_lshlrev_b64_e32 v[18:19], 2, v[0:1]
	v_add_nc_u32_e32 v0, s3, v0
	s_delay_alu instid0(VALU_DEP_3) | instskip(NEXT) | instid1(VALU_DEP_3)
	v_mul_f32_e32 v78, v56, v69
	v_add_co_u32 v69, vcc_lo, s4, v18
	s_wait_alu 0xfffd
	s_delay_alu instid0(VALU_DEP_4) | instskip(SKIP_4) | instid1(VALU_DEP_1)
	v_add_co_ci_u32_e64 v70, null, s5, v19, vcc_lo
	global_store_b32 v[60:61], v78, off
	global_load_b32 v60, v[69:70], off
	s_wait_loadcnt 0x0
	v_mul_f32_e32 v60, v56, v60
	v_mul_f32_e32 v78, v13, v60
	v_add_co_u32 v60, vcc_lo, s4, v67
	s_wait_alu 0xfffd
	v_add_co_ci_u32_e64 v61, null, s5, v68, vcc_lo
	global_store_b32 v[69:70], v78, off
	global_load_b32 v67, v[60:61], off
	s_wait_loadcnt 0x0
	v_mul_f32_e32 v69, v56, v67
	v_lshlrev_b64_e32 v[67:68], 2, v[0:1]
	s_delay_alu instid0(VALU_DEP_2) | instskip(NEXT) | instid1(VALU_DEP_2)
	v_dual_mul_f32 v69, v72, v69 :: v_dual_add_nc_u32 v0, s2, v0
	v_add_co_u32 v67, vcc_lo, s4, v67
	s_wait_alu 0xfffd
	s_delay_alu instid0(VALU_DEP_3)
	v_add_co_ci_u32_e64 v68, null, s5, v68, vcc_lo
	global_store_b32 v[60:61], v69, off
	global_load_b32 v60, v[67:68], off
	s_wait_loadcnt 0x0
	v_mul_f32_e32 v56, v56, v60
	v_lshlrev_b64_e32 v[60:61], 2, v[0:1]
	v_add_nc_u32_e32 v0, s2, v0
	s_delay_alu instid0(VALU_DEP_3) | instskip(NEXT) | instid1(VALU_DEP_3)
	v_mul_f32_e32 v56, v72, v56
	v_add_co_u32 v60, vcc_lo, s4, v60
	s_wait_alu 0xfffd
	s_delay_alu instid0(VALU_DEP_4)
	v_add_co_ci_u32_e64 v61, null, s5, v61, vcc_lo
	global_store_b32 v[67:68], v56, off
	v_lshlrev_b64_e32 v[67:68], 2, v[0:1]
	v_add_nc_u32_e32 v0, s2, v0
	global_load_b32 v56, v[60:61], off
	v_add_co_u32 v67, vcc_lo, s4, v67
	s_wait_alu 0xfffd
	v_add_co_ci_u32_e64 v68, null, s5, v68, vcc_lo
	s_wait_loadcnt 0x0
	v_mul_f32_e32 v56, v55, v56
	s_delay_alu instid0(VALU_DEP_1) | instskip(SKIP_4) | instid1(VALU_DEP_2)
	v_mul_f32_e32 v53, v53, v56
	global_store_b32 v[60:61], v53, off
	global_load_b32 v53, v[67:68], off
	v_lshlrev_b64_e32 v[60:61], 2, v[0:1]
	v_add_nc_u32_e32 v0, s2, v0
	v_add_co_u32 v60, vcc_lo, s4, v60
	s_wait_alu 0xfffd
	s_delay_alu instid0(VALU_DEP_3) | instskip(SKIP_2) | instid1(VALU_DEP_1)
	v_add_co_ci_u32_e64 v61, null, s5, v61, vcc_lo
	s_wait_loadcnt 0x0
	v_mul_f32_e32 v53, v28, v53
	v_mul_f32_e32 v53, v13, v53
	global_store_b32 v[67:68], v53, off
	global_load_b32 v53, v[60:61], off
	v_lshlrev_b64_e32 v[67:68], 2, v[0:1]
	v_add_nc_u32_e32 v0, s2, v0
	s_delay_alu instid0(VALU_DEP_2) | instskip(SKIP_1) | instid1(VALU_DEP_3)
	v_add_co_u32 v67, vcc_lo, s4, v67
	s_wait_alu 0xfffd
	v_add_co_ci_u32_e64 v68, null, s5, v68, vcc_lo
	s_wait_loadcnt 0x0
	v_mul_f32_e32 v28, v28, v53
	s_delay_alu instid0(VALU_DEP_1) | instskip(SKIP_4) | instid1(VALU_DEP_2)
	v_mul_f32_e32 v28, v55, v28
	global_store_b32 v[60:61], v28, off
	global_load_b32 v28, v[67:68], off
	v_lshlrev_b64_e32 v[60:61], 2, v[0:1]
	v_add_nc_u32_e32 v0, s3, v0
	v_add_co_u32 v60, vcc_lo, s4, v60
	s_wait_alu 0xfffd
	s_delay_alu instid0(VALU_DEP_3) | instskip(SKIP_2) | instid1(VALU_DEP_1)
	v_add_co_ci_u32_e64 v61, null, s5, v61, vcc_lo
	s_wait_loadcnt 0x0
	v_mul_f32_e32 v28, v55, v28
	v_mul_f32_e32 v28, v13, v28
	global_store_b32 v[67:68], v28, off
	global_load_b32 v28, v[60:61], off
	s_wait_loadcnt 0x0
	v_mul_f32_e32 v28, v55, v28
	v_lshlrev_b64_e32 v[55:56], 2, v[0:1]
	v_add_nc_u32_e32 v0, s2, v0
	s_delay_alu instid0(VALU_DEP_3) | instskip(NEXT) | instid1(VALU_DEP_3)
	v_mul_f32_e32 v13, v13, v28
	v_add_co_u32 v55, vcc_lo, s4, v55
	s_wait_alu 0xfffd
	s_delay_alu instid0(VALU_DEP_4)
	v_add_co_ci_u32_e64 v56, null, s5, v56, vcc_lo
	global_store_b32 v[60:61], v13, off
	v_lshlrev_b64_e32 v[60:61], 2, v[0:1]
	v_add_nc_u32_e32 v0, s2, v0
	global_load_b32 v13, v[55:56], off
	s_wait_loadcnt 0x0
	v_mul_f32_e32 v13, v50, v13
	global_load_b32 v50, v[8:9], off
	v_mul_f32_e32 v28, v12, v13
	v_add_co_u32 v12, vcc_lo, s4, v60
	s_wait_alu 0xfffd
	v_add_co_ci_u32_e64 v13, null, s5, v61, vcc_lo
	global_store_b32 v[55:56], v28, off
	v_lshlrev_b64_e32 v[55:56], 2, v[0:1]
	v_add_nc_u32_e32 v0, s2, v0
	global_load_b32 v28, v[12:13], off
	v_add_co_u32 v55, vcc_lo, s4, v55
	s_wait_alu 0xfffd
	v_add_co_ci_u32_e64 v56, null, s5, v56, vcc_lo
	s_wait_loadcnt 0x0
	v_mul_f32_e32 v28, v28, v50
	global_store_b32 v[12:13], v28, off
	global_load_b32 v12, v[55:56], off
	s_wait_loadcnt 0x0
	v_mul_f32_e32 v28, v12, v65
	v_lshlrev_b64_e32 v[12:13], 2, v[0:1]
	v_add_nc_u32_e32 v0, s2, v0
	s_delay_alu instid0(VALU_DEP_3) | instskip(NEXT) | instid1(VALU_DEP_3)
	v_mul_f32_e32 v28, v28, v29
	v_add_co_u32 v12, vcc_lo, s4, v12
	s_wait_alu 0xfffd
	s_delay_alu instid0(VALU_DEP_4)
	v_add_co_ci_u32_e64 v13, null, s5, v13, vcc_lo
	global_store_b32 v[55:56], v28, off
	v_mad_co_u64_u32 v[55:56], null, 0xffffffe9, s2, v[0:1]
	global_load_b32 v28, v[12:13], off
	v_mov_b32_e32 v56, v1
	v_lshlrev_b64_e32 v[67:68], 2, v[0:1]
	s_delay_alu instid0(VALU_DEP_2) | instskip(NEXT) | instid1(VALU_DEP_1)
	v_lshlrev_b64_e32 v[60:61], 2, v[55:56]
	v_add_co_u32 v69, vcc_lo, s0, v60
	s_wait_alu 0xfffd
	s_delay_alu instid0(VALU_DEP_2) | instskip(NEXT) | instid1(VALU_DEP_4)
	v_add_co_ci_u32_e64 v70, null, s1, v61, vcc_lo
	v_add_co_u32 v78, vcc_lo, s4, v67
	s_wait_alu 0xfffd
	v_add_co_ci_u32_e64 v79, null, s5, v68, vcc_lo
	global_load_b32 v72, v[69:70], off
	s_wait_loadcnt 0x1
	v_mul_f32_e32 v0, v28, v65
	s_delay_alu instid0(VALU_DEP_1)
	v_mul_f32_e32 v0, v0, v37
	global_store_b32 v[12:13], v0, off
	global_load_b32 v0, v[78:79], off
	v_mad_co_u64_u32 v[12:13], null, s2, 24, v[55:56]
	v_mov_b32_e32 v13, v1
	s_clause 0x5
	global_load_b32 v82, v[69:70], off
	global_load_b32 v67, v[69:70], off
	;; [unrolled: 1-line block ×6, first 2 shown]
	v_lshlrev_b64_e32 v[68:69], 2, v[12:13]
	s_delay_alu instid0(VALU_DEP_1) | instskip(SKIP_1) | instid1(VALU_DEP_2)
	v_add_co_u32 v68, vcc_lo, s4, v68
	s_wait_alu 0xfffd
	v_add_co_ci_u32_e64 v69, null, s5, v69, vcc_lo
	s_wait_loadcnt 0x6
	v_mul_f32_e32 v0, v0, v72
	s_delay_alu instid0(VALU_DEP_1) | instskip(SKIP_3) | instid1(VALU_DEP_1)
	v_mul_f32_e32 v0, v0, v52
	global_store_b32 v[78:79], v0, off
	global_load_b32 v56, v[68:69], off
	v_add_nc_u32_e32 v0, s2, v12
	v_lshlrev_b64_e32 v[12:13], 2, v[0:1]
	v_add_nc_u32_e32 v0, s2, v0
	s_delay_alu instid0(VALU_DEP_2) | instskip(SKIP_1) | instid1(VALU_DEP_3)
	v_add_co_u32 v12, vcc_lo, s4, v12
	s_wait_alu 0xfffd
	v_add_co_ci_u32_e64 v13, null, s5, v13, vcc_lo
	s_wait_loadcnt 0x0
	v_mul_f32_e32 v56, v56, v52
	global_store_b32 v[68:69], v56, off
	global_load_b32 v56, v[12:13], off
	v_lshlrev_b64_e32 v[68:69], 2, v[0:1]
	v_add_nc_u32_e32 v0, s2, v0
	s_delay_alu instid0(VALU_DEP_2) | instskip(SKIP_1) | instid1(VALU_DEP_3)
	v_add_co_u32 v68, vcc_lo, s4, v68
	s_wait_alu 0xfffd
	v_add_co_ci_u32_e64 v69, null, s5, v69, vcc_lo
	s_wait_loadcnt 0x0
	v_mul_f32_e32 v56, v56, v52
	global_store_b32 v[12:13], v56, off
	global_load_b32 v12, v[68:69], off
	s_wait_loadcnt 0x0
	v_mul_f32_e32 v56, v12, v50
	v_lshlrev_b64_e32 v[12:13], 2, v[0:1]
	v_add_nc_u32_e32 v0, s2, v0
	s_delay_alu instid0(VALU_DEP_3) | instskip(NEXT) | instid1(VALU_DEP_3)
	v_mul_f32_e32 v56, v56, v52
	v_add_co_u32 v78, vcc_lo, s4, v12
	s_wait_alu 0xfffd
	s_delay_alu instid0(VALU_DEP_4)
	v_add_co_ci_u32_e64 v79, null, s5, v13, vcc_lo
	global_store_b32 v[68:69], v56, off
	v_lshlrev_b64_e32 v[68:69], 2, v[0:1]
	v_add_co_u32 v12, vcc_lo, s0, v74
	global_load_b32 v56, v[78:79], off
	s_wait_alu 0xfffd
	v_add_co_ci_u32_e64 v13, null, s1, v75, vcc_lo
	v_add_co_u32 v68, vcc_lo, s4, v68
	s_wait_alu 0xfffd
	v_add_co_ci_u32_e64 v69, null, s5, v69, vcc_lo
	v_add_nc_u32_e32 v0, s2, v0
	s_delay_alu instid0(VALU_DEP_1) | instskip(SKIP_1) | instid1(VALU_DEP_2)
	v_lshlrev_b64_e32 v[74:75], 2, v[0:1]
	v_add_nc_u32_e32 v0, s2, v0
	v_add_co_u32 v74, vcc_lo, s4, v74
	s_wait_alu 0xfffd
	s_delay_alu instid0(VALU_DEP_3)
	v_add_co_ci_u32_e64 v75, null, s5, v75, vcc_lo
	s_wait_loadcnt 0x0
	v_mul_f32_e32 v29, v56, v29
	global_load_b32 v56, v[12:13], off
	global_store_b32 v[78:79], v29, off
	global_load_b32 v29, v[68:69], off
	s_wait_loadcnt 0x0
	v_mul_f32_e32 v29, v29, v56
	global_store_b32 v[68:69], v29, off
	global_load_b32 v29, v[74:75], off
	v_lshlrev_b64_e32 v[68:69], 2, v[0:1]
	v_add_nc_u32_e32 v0, s2, v0
	s_delay_alu instid0(VALU_DEP_2) | instskip(SKIP_1) | instid1(VALU_DEP_3)
	v_add_co_u32 v68, vcc_lo, s4, v68
	s_wait_alu 0xfffd
	v_add_co_ci_u32_e64 v69, null, s5, v69, vcc_lo
	s_wait_loadcnt 0x0
	v_mul_f32_e32 v29, v29, v72
	global_store_b32 v[74:75], v29, off
	global_load_b32 v29, v[68:69], off
	v_lshlrev_b64_e32 v[74:75], 2, v[0:1]
	v_add_nc_u32_e32 v0, s2, v0
	s_delay_alu instid0(VALU_DEP_2) | instskip(SKIP_1) | instid1(VALU_DEP_3)
	v_add_co_u32 v74, vcc_lo, s4, v74
	s_wait_alu 0xfffd
	v_add_co_ci_u32_e64 v75, null, s5, v75, vcc_lo
	s_wait_loadcnt 0x0
	v_mul_f32_e32 v29, v29, v50
	global_store_b32 v[68:69], v29, off
	global_load_b32 v29, v[74:75], off
	global_load_b32 v78, v[22:23], off
	v_lshlrev_b64_e32 v[69:70], 2, v[0:1]
	s_clause 0x5
	global_load_b32 v83, v[22:23], off
	global_load_b32 v68, v[22:23], off
	;; [unrolled: 1-line block ×6, first 2 shown]
	v_add_nc_u32_e32 v0, s2, v0
	v_add_co_u32 v69, vcc_lo, s4, v69
	s_wait_alu 0xfffd
	v_add_co_ci_u32_e64 v70, null, s5, v70, vcc_lo
	s_wait_loadcnt 0x7
	v_mul_f32_e32 v29, v29, v72
	s_wait_loadcnt 0x6
	s_delay_alu instid0(VALU_DEP_1) | instskip(SKIP_4) | instid1(VALU_DEP_2)
	v_mul_f32_e32 v23, v29, v78
	global_store_b32 v[74:75], v23, off
	global_load_b32 v23, v[69:70], off
	v_lshlrev_b64_e32 v[74:75], 2, v[0:1]
	v_add_nc_u32_e32 v0, s2, v0
	v_add_co_u32 v74, vcc_lo, s4, v74
	s_wait_alu 0xfffd
	s_delay_alu instid0(VALU_DEP_3) | instskip(SKIP_2) | instid1(VALU_DEP_1)
	v_add_co_ci_u32_e64 v75, null, s5, v75, vcc_lo
	s_wait_loadcnt 0x0
	v_mul_f32_e32 v23, v23, v72
	v_mul_f32_e32 v23, v23, v37
	global_store_b32 v[69:70], v23, off
	global_load_b32 v23, v[74:75], off
	v_lshlrev_b64_e32 v[69:70], 2, v[0:1]
	v_add_nc_u32_e32 v0, s3, v0
	s_delay_alu instid0(VALU_DEP_2) | instskip(SKIP_1) | instid1(VALU_DEP_3)
	v_add_co_u32 v69, vcc_lo, s4, v69
	s_wait_alu 0xfffd
	v_add_co_ci_u32_e64 v70, null, s5, v70, vcc_lo
	s_wait_loadcnt 0x0
	v_mul_f32_e32 v23, v23, v65
	s_delay_alu instid0(VALU_DEP_1) | instskip(SKIP_4) | instid1(VALU_DEP_2)
	v_mul_f32_e32 v23, v23, v52
	global_store_b32 v[74:75], v23, off
	global_load_b32 v23, v[69:70], off
	v_lshlrev_b64_e32 v[74:75], 2, v[0:1]
	v_add_nc_u32_e32 v0, s2, v0
	v_add_co_u32 v74, vcc_lo, s4, v74
	s_wait_alu 0xfffd
	s_delay_alu instid0(VALU_DEP_3) | instskip(NEXT) | instid1(VALU_DEP_3)
	v_add_co_ci_u32_e64 v75, null, s5, v75, vcc_lo
	v_lshlrev_b64_e32 v[80:81], 2, v[0:1]
	s_wait_loadcnt 0x0
	v_mul_f32_e32 v23, v23, v72
	s_delay_alu instid0(VALU_DEP_1) | instskip(SKIP_4) | instid1(VALU_DEP_1)
	v_mul_f32_e32 v23, v23, v58
	global_store_b32 v[69:70], v23, off
	global_load_b32 v23, v[74:75], off
	v_mad_co_u64_u32 v[69:70], null, 0xffffffd9, s2, v[0:1]
	v_mov_b32_e32 v70, v1
	v_lshlrev_b64_e32 v[78:79], 2, v[69:70]
	v_mad_co_u64_u32 v[69:70], null, s2, 40, v[69:70]
	v_mov_b32_e32 v70, v1
	s_delay_alu instid0(VALU_DEP_3) | instskip(SKIP_1) | instid1(VALU_DEP_4)
	v_add_co_u32 v78, vcc_lo, s0, v78
	s_wait_alu 0xfffd
	v_add_co_ci_u32_e64 v79, null, s1, v79, vcc_lo
	v_add_co_u32 v80, vcc_lo, s4, v80
	s_wait_alu 0xfffd
	v_add_co_ci_u32_e64 v81, null, s5, v81, vcc_lo
	s_wait_loadcnt 0x0
	v_mul_f32_e32 v0, v23, v72
	global_load_b32 v72, v[78:79], off
	v_mul_f32_e32 v0, v0, v64
	global_store_b32 v[74:75], v0, off
	global_load_b32 v0, v[80:81], off
	v_lshlrev_b64_e32 v[74:75], 2, v[69:70]
	s_clause 0x6
	global_load_b32 v84, v[78:79], off
	global_load_b32 v70, v[78:79], off
	;; [unrolled: 1-line block ×7, first 2 shown]
	v_add_co_u32 v74, vcc_lo, s4, v74
	s_wait_alu 0xfffd
	v_add_co_ci_u32_e64 v75, null, s5, v75, vcc_lo
	s_wait_loadcnt 0x7
	v_mul_f32_e32 v0, v0, v72
	global_store_b32 v[80:81], v0, off
	global_load_b32 v78, v[74:75], off
	s_wait_loadcnt 0x0
	v_dual_mul_f32 v69, v78, v46 :: v_dual_add_nc_u32 v0, s2, v69
	s_delay_alu instid0(VALU_DEP_1) | instskip(SKIP_1) | instid1(VALU_DEP_3)
	v_lshlrev_b64_e32 v[78:79], 2, v[0:1]
	v_add_nc_u32_e32 v0, s2, v0
	v_mul_f32_e32 v69, v69, v72
	s_delay_alu instid0(VALU_DEP_3) | instskip(SKIP_1) | instid1(VALU_DEP_4)
	v_add_co_u32 v78, vcc_lo, s4, v78
	s_wait_alu 0xfffd
	v_add_co_ci_u32_e64 v79, null, s5, v79, vcc_lo
	global_store_b32 v[74:75], v69, off
	v_lshlrev_b64_e32 v[74:75], 2, v[0:1]
	v_add_nc_u32_e32 v0, s2, v0
	global_load_b32 v69, v[78:79], off
	v_add_co_u32 v74, vcc_lo, s4, v74
	s_wait_alu 0xfffd
	v_add_co_ci_u32_e64 v75, null, s5, v75, vcc_lo
	s_wait_loadcnt 0x0
	v_mul_f32_e32 v69, v69, v46
	global_store_b32 v[78:79], v69, off
	global_load_b32 v69, v[74:75], off
	v_lshlrev_b64_e32 v[78:79], 2, v[0:1]
	v_add_nc_u32_e32 v0, s2, v0
	s_delay_alu instid0(VALU_DEP_2) | instskip(SKIP_1) | instid1(VALU_DEP_3)
	v_add_co_u32 v78, vcc_lo, s4, v78
	s_wait_alu 0xfffd
	v_add_co_ci_u32_e64 v79, null, s5, v79, vcc_lo
	s_wait_loadcnt 0x0
	v_mul_f32_e32 v69, v69, v33
	global_store_b32 v[74:75], v69, off
	global_load_b32 v69, v[78:79], off
	v_lshlrev_b64_e32 v[74:75], 2, v[0:1]
	v_add_nc_u32_e32 v0, s2, v0
	s_delay_alu instid0(VALU_DEP_2) | instskip(SKIP_1) | instid1(VALU_DEP_3)
	v_add_co_u32 v74, vcc_lo, s4, v74
	s_wait_alu 0xfffd
	v_add_co_ci_u32_e64 v75, null, s5, v75, vcc_lo
	s_wait_loadcnt 0x0
	v_mul_f32_e32 v65, v69, v65
	s_delay_alu instid0(VALU_DEP_1) | instskip(NEXT) | instid1(VALU_DEP_1)
	v_mul_f32_e32 v65, v65, v46
	v_mul_f32_e32 v65, v46, v65
	global_store_b32 v[78:79], v65, off
	global_load_b32 v65, v[74:75], off
	v_lshlrev_b64_e32 v[78:79], 2, v[0:1]
	v_add_nc_u32_e32 v0, s2, v0
	s_delay_alu instid0(VALU_DEP_2) | instskip(SKIP_1) | instid1(VALU_DEP_3)
	v_add_co_u32 v78, vcc_lo, s4, v78
	s_wait_alu 0xfffd
	v_add_co_ci_u32_e64 v79, null, s5, v79, vcc_lo
	s_wait_loadcnt 0x0
	v_mul_f32_e32 v65, v65, v73
	s_delay_alu instid0(VALU_DEP_1) | instskip(SKIP_4) | instid1(VALU_DEP_2)
	v_mul_f32_e32 v65, v65, v46
	global_store_b32 v[74:75], v65, off
	global_load_b32 v65, v[78:79], off
	v_lshlrev_b64_e32 v[74:75], 2, v[0:1]
	v_add_nc_u32_e32 v0, s2, v0
	v_add_co_u32 v74, vcc_lo, s4, v74
	s_wait_alu 0xfffd
	s_delay_alu instid0(VALU_DEP_3)
	v_add_co_ci_u32_e64 v75, null, s5, v75, vcc_lo
	v_add_co_u32 v76, vcc_lo, s0, v76
	s_wait_alu 0xfffd
	v_add_co_ci_u32_e64 v77, null, s1, v77, vcc_lo
	global_load_b32 v80, v[76:77], off
	s_wait_loadcnt 0x1
	v_mul_f32_e32 v58, v65, v58
	global_store_b32 v[78:79], v58, off
	global_load_b32 v58, v[74:75], off
	v_lshlrev_b64_e32 v[78:79], 2, v[0:1]
	v_add_nc_u32_e32 v0, s2, v0
	s_delay_alu instid0(VALU_DEP_2) | instskip(SKIP_1) | instid1(VALU_DEP_3)
	v_add_co_u32 v78, vcc_lo, s4, v78
	s_wait_alu 0xfffd
	v_add_co_ci_u32_e64 v79, null, s5, v79, vcc_lo
	v_add_co_u32 v16, vcc_lo, s0, v16
	s_wait_alu 0xfffd
	v_add_co_ci_u32_e64 v17, null, s1, v17, vcc_lo
	s_wait_loadcnt 0x0
	v_mul_f32_e32 v58, v58, v73
	s_delay_alu instid0(VALU_DEP_1)
	v_mul_f32_e32 v33, v58, v33
	global_store_b32 v[74:75], v33, off
	global_load_b32 v81, v[78:79], off
	v_lshlrev_b64_e32 v[74:75], 2, v[0:1]
	s_clause 0x5
	global_load_b32 v72, v[16:17], off
	global_load_b32 v85, v[76:77], off
	;; [unrolled: 1-line block ×6, first 2 shown]
	v_add_nc_u32_e32 v0, s2, v0
	v_add_co_u32 v74, vcc_lo, s4, v74
	s_wait_alu 0xfffd
	v_add_co_ci_u32_e64 v75, null, s5, v75, vcc_lo
	s_wait_loadcnt 0x6
	v_mul_f32_e32 v76, v81, v80
	global_load_b32 v80, v[16:17], off
	global_store_b32 v[78:79], v76, off
	global_load_b32 v76, v[74:75], off
	global_load_b32 v79, v[26:27], off
	s_wait_loadcnt 0x1
	v_mul_f32_e32 v78, v76, v80
	v_lshlrev_b64_e32 v[76:77], 2, v[0:1]
	v_add_nc_u32_e32 v0, s2, v0
	s_delay_alu instid0(VALU_DEP_3) | instskip(NEXT) | instid1(VALU_DEP_3)
	v_mul_f32_e32 v78, v78, v46
	v_add_co_u32 v76, vcc_lo, s4, v76
	s_wait_alu 0xfffd
	s_delay_alu instid0(VALU_DEP_4)
	v_add_co_ci_u32_e64 v77, null, s5, v77, vcc_lo
	global_store_b32 v[74:75], v78, off
	global_load_b32 v74, v[76:77], off
	s_wait_loadcnt 0x0
	v_mul_f32_e32 v78, v74, v80
	v_lshlrev_b64_e32 v[74:75], 2, v[0:1]
	v_add_nc_u32_e32 v0, s2, v0
	s_delay_alu instid0(VALU_DEP_3) | instskip(NEXT) | instid1(VALU_DEP_3)
	v_mul_f32_e32 v78, v78, v83
	v_add_co_u32 v74, vcc_lo, s4, v74
	s_wait_alu 0xfffd
	s_delay_alu instid0(VALU_DEP_4)
	v_add_co_ci_u32_e64 v75, null, s5, v75, vcc_lo
	global_store_b32 v[76:77], v78, off
	v_lshlrev_b64_e32 v[26:27], 2, v[0:1]
	v_add_nc_u32_e32 v0, s2, v0
	global_load_b32 v76, v[74:75], off
	v_add_co_u32 v26, vcc_lo, s4, v26
	s_wait_alu 0xfffd
	v_add_co_ci_u32_e64 v27, null, s5, v27, vcc_lo
	s_wait_loadcnt 0x0
	v_mul_f32_e32 v76, v76, v79
	global_store_b32 v[74:75], v76, off
	global_load_b32 v76, v[26:27], off
	v_lshlrev_b64_e32 v[74:75], 2, v[0:1]
	v_add_nc_u32_e32 v0, s2, v0
	s_delay_alu instid0(VALU_DEP_2) | instskip(SKIP_1) | instid1(VALU_DEP_3)
	v_add_co_u32 v74, vcc_lo, s4, v74
	s_wait_alu 0xfffd
	v_add_co_ci_u32_e64 v75, null, s5, v75, vcc_lo
	s_wait_loadcnt 0x0
	v_mul_f32_e32 v76, v76, v83
	global_store_b32 v[26:27], v76, off
	global_load_b32 v26, v[74:75], off
	s_wait_loadcnt 0x0
	v_mul_f32_e32 v76, v26, v82
	v_lshlrev_b64_e32 v[26:27], 2, v[0:1]
	v_add_nc_u32_e32 v0, s2, v0
	s_delay_alu instid0(VALU_DEP_3) | instskip(NEXT) | instid1(VALU_DEP_3)
	v_mul_f32_e32 v76, v76, v83
	v_add_co_u32 v26, vcc_lo, s4, v26
	s_wait_alu 0xfffd
	s_delay_alu instid0(VALU_DEP_4)
	v_add_co_ci_u32_e64 v27, null, s5, v27, vcc_lo
	global_store_b32 v[74:75], v76, off
	v_lshlrev_b64_e32 v[74:75], 2, v[0:1]
	v_add_nc_u32_e32 v0, s2, v0
	global_load_b32 v76, v[26:27], off
	v_add_co_u32 v74, vcc_lo, s4, v74
	s_wait_alu 0xfffd
	v_add_co_ci_u32_e64 v75, null, s5, v75, vcc_lo
	s_wait_loadcnt 0x0
	v_mul_f32_e32 v76, v76, v46
	global_store_b32 v[26:27], v76, off
	global_load_b32 v26, v[74:75], off
	s_wait_loadcnt 0x0
	v_mul_f32_e32 v73, v26, v73
	v_lshlrev_b64_e32 v[26:27], 2, v[0:1]
	s_delay_alu instid0(VALU_DEP_2) | instskip(NEXT) | instid1(VALU_DEP_2)
	v_dual_mul_f32 v73, v73, v46 :: v_dual_add_nc_u32 v0, s2, v0
	v_add_co_u32 v26, vcc_lo, s4, v26
	s_wait_alu 0xfffd
	s_delay_alu instid0(VALU_DEP_3)
	v_add_co_ci_u32_e64 v27, null, s5, v27, vcc_lo
	global_store_b32 v[74:75], v73, off
	global_load_b32 v73, v[26:27], off
	s_wait_loadcnt 0x0
	v_mul_f32_e32 v75, v73, v84
	v_lshlrev_b64_e32 v[73:74], 2, v[0:1]
	s_delay_alu instid0(VALU_DEP_2) | instskip(NEXT) | instid1(VALU_DEP_2)
	v_dual_mul_f32 v75, v75, v46 :: v_dual_add_nc_u32 v0, s2, v0
	v_add_co_u32 v73, vcc_lo, s4, v73
	s_wait_alu 0xfffd
	s_delay_alu instid0(VALU_DEP_3) | instskip(SKIP_4) | instid1(VALU_DEP_1)
	v_add_co_ci_u32_e64 v74, null, s5, v74, vcc_lo
	global_store_b32 v[26:27], v75, off
	global_load_b32 v26, v[73:74], off
	s_wait_loadcnt 0x0
	v_mul_f32_e32 v26, v26, v46
	v_mul_f32_e32 v46, v26, v31
	v_lshlrev_b64_e32 v[26:27], 2, v[0:1]
	v_add_nc_u32_e32 v0, s2, v0
	s_delay_alu instid0(VALU_DEP_3) | instskip(NEXT) | instid1(VALU_DEP_3)
	v_mul_f32_e32 v46, v46, v82
	v_add_co_u32 v26, vcc_lo, s4, v26
	s_wait_alu 0xfffd
	s_delay_alu instid0(VALU_DEP_4)
	v_add_co_ci_u32_e64 v27, null, s5, v27, vcc_lo
	global_store_b32 v[73:74], v46, off
	v_lshlrev_b64_e32 v[73:74], 2, v[0:1]
	v_add_nc_u32_e32 v0, s2, v0
	global_load_b32 v46, v[26:27], off
	v_add_co_u32 v73, vcc_lo, s4, v73
	s_wait_alu 0xfffd
	v_add_co_ci_u32_e64 v74, null, s5, v74, vcc_lo
	s_wait_loadcnt 0x0
	v_mul_f32_e32 v46, v46, v82
	s_delay_alu instid0(VALU_DEP_1) | instskip(SKIP_4) | instid1(VALU_DEP_2)
	v_mul_f32_e32 v46, v46, v51
	global_store_b32 v[26:27], v46, off
	global_load_b32 v46, v[73:74], off
	v_lshlrev_b64_e32 v[26:27], 2, v[0:1]
	v_add_nc_u32_e32 v0, s2, v0
	v_add_co_u32 v26, vcc_lo, s4, v26
	s_wait_alu 0xfffd
	s_delay_alu instid0(VALU_DEP_3)
	v_add_co_ci_u32_e64 v27, null, s5, v27, vcc_lo
	s_wait_loadcnt 0x0
	v_mul_f32_e32 v46, v46, v51
	global_store_b32 v[73:74], v46, off
	global_load_b32 v46, v[26:27], off
	v_lshlrev_b64_e32 v[73:74], 2, v[0:1]
	v_add_nc_u32_e32 v0, s2, v0
	s_delay_alu instid0(VALU_DEP_2) | instskip(SKIP_1) | instid1(VALU_DEP_3)
	v_add_co_u32 v73, vcc_lo, s4, v73
	s_wait_alu 0xfffd
	v_add_co_ci_u32_e64 v74, null, s5, v74, vcc_lo
	s_wait_loadcnt 0x0
	v_mul_f32_e32 v46, v46, v82
	global_store_b32 v[26:27], v46, off
	global_load_b32 v46, v[73:74], off
	v_lshlrev_b64_e32 v[26:27], 2, v[0:1]
	v_add_nc_u32_e32 v0, s3, v0
	s_delay_alu instid0(VALU_DEP_2) | instskip(SKIP_1) | instid1(VALU_DEP_3)
	v_add_co_u32 v26, vcc_lo, s4, v26
	s_wait_alu 0xfffd
	;; [unrolled: 10-line block ×3, first 2 shown]
	v_add_co_ci_u32_e64 v74, null, s5, v74, vcc_lo
	s_wait_loadcnt 0x0
	v_mul_f32_e32 v46, v46, v66
	s_delay_alu instid0(VALU_DEP_1) | instskip(SKIP_4) | instid1(VALU_DEP_2)
	v_mul_f32_e32 v46, v46, v82
	global_store_b32 v[26:27], v46, off
	global_load_b32 v46, v[73:74], off
	v_lshlrev_b64_e32 v[26:27], 2, v[0:1]
	v_add_nc_u32_e32 v0, s2, v0
	v_add_co_u32 v26, vcc_lo, s4, v26
	s_wait_alu 0xfffd
	s_delay_alu instid0(VALU_DEP_3)
	v_add_co_ci_u32_e64 v27, null, s5, v27, vcc_lo
	s_wait_loadcnt 0x0
	v_mul_f32_e32 v46, v46, v83
	global_store_b32 v[73:74], v46, off
	global_load_b32 v46, v[26:27], off
	v_lshlrev_b64_e32 v[73:74], 2, v[0:1]
	v_add_nc_u32_e32 v0, s2, v0
	s_delay_alu instid0(VALU_DEP_2) | instskip(SKIP_1) | instid1(VALU_DEP_3)
	v_add_co_u32 v73, vcc_lo, s4, v73
	s_wait_alu 0xfffd
	v_add_co_ci_u32_e64 v74, null, s5, v74, vcc_lo
	s_wait_loadcnt 0x0
	v_mul_f32_e32 v31, v46, v31
	global_store_b32 v[26:27], v31, off
	global_load_b32 v31, v[73:74], off
	v_lshlrev_b64_e32 v[26:27], 2, v[0:1]
	v_add_nc_u32_e32 v0, s2, v0
	s_delay_alu instid0(VALU_DEP_2) | instskip(SKIP_1) | instid1(VALU_DEP_3)
	v_add_co_u32 v26, vcc_lo, s4, v26
	s_wait_alu 0xfffd
	;; [unrolled: 10-line block ×4, first 2 shown]
	v_add_co_ci_u32_e64 v27, null, s5, v27, vcc_lo
	s_delay_alu instid0(VALU_DEP_3)
	v_lshlrev_b64_e32 v[76:77], 2, v[0:1]
	s_wait_loadcnt 0x0
	v_mul_f32_e32 v31, v31, v71
	global_store_b32 v[73:74], v31, off
	global_load_b32 v31, v[26:27], off
	v_mad_co_u64_u32 v[73:74], null, 0xffffffbc, s2, v[0:1]
	v_mov_b32_e32 v74, v1
	s_delay_alu instid0(VALU_DEP_1) | instskip(NEXT) | instid1(VALU_DEP_1)
	v_lshlrev_b64_e32 v[74:75], 2, v[73:74]
	v_add_co_u32 v74, vcc_lo, s0, v74
	s_wait_alu 0xfffd
	s_delay_alu instid0(VALU_DEP_2)
	v_add_co_ci_u32_e64 v75, null, s1, v75, vcc_lo
	v_add_co_u32 v76, vcc_lo, s4, v76
	s_wait_alu 0xfffd
	v_add_co_ci_u32_e64 v77, null, s5, v77, vcc_lo
	global_load_b32 v71, v[74:75], off
	v_add_co_u32 v20, vcc_lo, s0, v20
	s_wait_alu 0xfffd
	v_add_co_ci_u32_e64 v21, null, s1, v21, vcc_lo
	v_add_co_u32 v78, vcc_lo, s0, v24
	s_wait_alu 0xfffd
	v_add_co_ci_u32_e64 v79, null, s1, v25, vcc_lo
	s_wait_loadcnt 0x1
	v_mul_f32_e32 v0, v31, v85
	s_delay_alu instid0(VALU_DEP_1) | instskip(SKIP_4) | instid1(VALU_DEP_1)
	v_mul_f32_e32 v0, v0, v44
	global_store_b32 v[26:27], v0, off
	global_load_b32 v0, v[76:77], off
	v_mad_co_u64_u32 v[26:27], null, 0x45, s2, v[73:74]
	v_mov_b32_e32 v27, v1
	v_lshlrev_b64_e32 v[80:81], 2, v[26:27]
	s_clause 0x4
	global_load_b32 v82, v[20:21], off
	global_load_b32 v27, v[78:79], off
	;; [unrolled: 1-line block ×5, first 2 shown]
	v_add_co_u32 v73, vcc_lo, s4, v80
	s_wait_alu 0xfffd
	v_add_co_ci_u32_e64 v74, null, s5, v81, vcc_lo
	s_wait_loadcnt 0x5
	v_mul_f32_e32 v0, v0, v71
	global_store_b32 v[76:77], v0, off
	global_load_b32 v25, v[73:74], off
	v_add_nc_u32_e32 v0, s2, v26
	s_wait_loadcnt 0x0
	v_mul_f32_e32 v46, v25, v66
	s_delay_alu instid0(VALU_DEP_2) | instskip(SKIP_1) | instid1(VALU_DEP_3)
	v_lshlrev_b64_e32 v[25:26], 2, v[0:1]
	v_add_nc_u32_e32 v0, s2, v0
	v_mul_f32_e32 v46, v46, v44
	s_delay_alu instid0(VALU_DEP_3) | instskip(SKIP_1) | instid1(VALU_DEP_4)
	v_add_co_u32 v25, vcc_lo, s4, v25
	s_wait_alu 0xfffd
	v_add_co_ci_u32_e64 v26, null, s5, v26, vcc_lo
	global_store_b32 v[73:74], v46, off
	v_lshlrev_b64_e32 v[73:74], 2, v[0:1]
	v_add_nc_u32_e32 v0, s2, v0
	global_load_b32 v46, v[25:26], off
	v_add_co_u32 v73, vcc_lo, s4, v73
	s_wait_alu 0xfffd
	v_add_co_ci_u32_e64 v74, null, s5, v74, vcc_lo
	s_wait_loadcnt 0x0
	v_mul_f32_e32 v46, v46, v51
	global_store_b32 v[25:26], v46, off
	global_load_b32 v46, v[73:74], off
	v_lshlrev_b64_e32 v[25:26], 2, v[0:1]
	v_add_nc_u32_e32 v0, s2, v0
	s_delay_alu instid0(VALU_DEP_2) | instskip(SKIP_1) | instid1(VALU_DEP_3)
	v_add_co_u32 v25, vcc_lo, s4, v25
	s_wait_alu 0xfffd
	v_add_co_ci_u32_e64 v26, null, s5, v26, vcc_lo
	s_wait_loadcnt 0x0
	v_mul_f32_e32 v46, v46, v51
	global_load_b32 v51, v[2:3], off
	global_store_b32 v[73:74], v46, off
	global_load_b32 v46, v[25:26], off
	v_lshlrev_b64_e32 v[73:74], 2, v[0:1]
	v_add_nc_u32_e32 v0, s2, v0
	s_delay_alu instid0(VALU_DEP_2) | instskip(SKIP_1) | instid1(VALU_DEP_3)
	v_add_co_u32 v73, vcc_lo, s4, v73
	s_wait_alu 0xfffd
	v_add_co_ci_u32_e64 v74, null, s5, v74, vcc_lo
	s_wait_loadcnt 0x0
	v_mul_f32_e32 v30, v46, v30
	global_store_b32 v[25:26], v30, off
	global_load_b32 v75, v[73:74], off
	s_clause 0x4
	global_load_b32 v80, v[2:3], off
	global_load_b32 v46, v[2:3], off
	;; [unrolled: 1-line block ×5, first 2 shown]
	v_lshlrev_b64_e32 v[2:3], 2, v[0:1]
	v_add_nc_u32_e32 v0, s2, v0
	s_delay_alu instid0(VALU_DEP_2) | instskip(SKIP_1) | instid1(VALU_DEP_3)
	v_add_co_u32 v2, vcc_lo, s4, v2
	s_wait_alu 0xfffd
	v_add_co_ci_u32_e64 v3, null, s5, v3, vcc_lo
	s_wait_loadcnt 0x5
	v_mul_f32_e32 v75, v75, v51
	s_delay_alu instid0(VALU_DEP_1) | instskip(SKIP_4) | instid1(VALU_DEP_2)
	v_mul_f32_e32 v66, v75, v66
	global_store_b32 v[73:74], v66, off
	global_load_b32 v66, v[2:3], off
	v_lshlrev_b64_e32 v[73:74], 2, v[0:1]
	v_add_nc_u32_e32 v0, s2, v0
	v_add_co_u32 v73, vcc_lo, s4, v73
	s_wait_alu 0xfffd
	s_delay_alu instid0(VALU_DEP_3) | instskip(SKIP_2) | instid1(VALU_DEP_1)
	v_add_co_ci_u32_e64 v74, null, s5, v74, vcc_lo
	s_wait_loadcnt 0x0
	v_mul_f32_e32 v66, v66, v71
	v_mul_f32_e32 v59, v66, v59
	global_store_b32 v[2:3], v59, off
	global_load_b32 v59, v[73:74], off
	v_lshlrev_b64_e32 v[2:3], 2, v[0:1]
	v_add_nc_u32_e32 v0, s2, v0
	s_delay_alu instid0(VALU_DEP_2) | instskip(SKIP_1) | instid1(VALU_DEP_3)
	v_add_co_u32 v2, vcc_lo, s4, v2
	s_wait_alu 0xfffd
	v_add_co_ci_u32_e64 v3, null, s5, v3, vcc_lo
	s_wait_loadcnt 0x0
	v_mul_f32_e32 v51, v59, v51
	global_store_b32 v[73:74], v51, off
	global_load_b32 v51, v[2:3], off
	v_lshlrev_b64_e32 v[73:74], 2, v[0:1]
	v_add_nc_u32_e32 v0, s2, v0
	s_delay_alu instid0(VALU_DEP_2) | instskip(SKIP_1) | instid1(VALU_DEP_3)
	v_add_co_u32 v73, vcc_lo, s4, v73
	s_wait_alu 0xfffd
	v_add_co_ci_u32_e64 v74, null, s5, v74, vcc_lo
	s_wait_loadcnt 0x0
	v_mul_f32_e32 v51, v51, v71
	s_delay_alu instid0(VALU_DEP_1) | instskip(SKIP_4) | instid1(VALU_DEP_2)
	v_mul_f32_e32 v51, v51, v57
	global_store_b32 v[2:3], v51, off
	global_load_b32 v51, v[73:74], off
	v_lshlrev_b64_e32 v[2:3], 2, v[0:1]
	v_add_nc_u32_e32 v0, s2, v0
	v_add_co_u32 v2, vcc_lo, s4, v2
	s_wait_alu 0xfffd
	s_delay_alu instid0(VALU_DEP_3)
	v_add_co_ci_u32_e64 v3, null, s5, v3, vcc_lo
	s_wait_loadcnt 0x0
	v_mul_f32_e32 v44, v51, v44
	global_load_b32 v51, v[78:79], off
	global_store_b32 v[73:74], v44, off
	global_load_b32 v44, v[2:3], off
	v_lshlrev_b64_e32 v[73:74], 2, v[0:1]
	v_add_nc_u32_e32 v0, s2, v0
	s_delay_alu instid0(VALU_DEP_2) | instskip(SKIP_1) | instid1(VALU_DEP_3)
	v_add_co_u32 v73, vcc_lo, s4, v73
	s_wait_alu 0xfffd
	v_add_co_ci_u32_e64 v74, null, s5, v74, vcc_lo
	s_wait_loadcnt 0x0
	v_mul_f32_e32 v44, v44, v71
	s_delay_alu instid0(VALU_DEP_1) | instskip(SKIP_4) | instid1(VALU_DEP_2)
	v_mul_f32_e32 v44, v44, v67
	global_store_b32 v[2:3], v44, off
	global_load_b32 v44, v[73:74], off
	v_lshlrev_b64_e32 v[2:3], 2, v[0:1]
	v_add_nc_u32_e32 v0, s2, v0
	v_add_co_u32 v2, vcc_lo, s4, v2
	s_wait_alu 0xfffd
	s_delay_alu instid0(VALU_DEP_3)
	v_add_co_ci_u32_e64 v3, null, s5, v3, vcc_lo
	s_wait_loadcnt 0x0
	v_mul_f32_e32 v44, v44, v51
	global_load_b32 v51, v[20:21], off
	global_store_b32 v[73:74], v44, off
	global_load_b32 v44, v[2:3], off
	v_lshlrev_b64_e32 v[73:74], 2, v[0:1]
	v_add_nc_u32_e32 v0, s2, v0
	s_delay_alu instid0(VALU_DEP_2) | instskip(SKIP_1) | instid1(VALU_DEP_3)
	v_add_co_u32 v73, vcc_lo, s4, v73
	s_wait_alu 0xfffd
	v_add_co_ci_u32_e64 v74, null, s5, v74, vcc_lo
	s_wait_loadcnt 0x0
	v_mul_f32_e32 v44, v44, v71
	global_store_b32 v[2:3], v44, off
	global_load_b32 v2, v[73:74], off
	s_wait_loadcnt 0x0
	v_mul_f32_e32 v44, v2, v51
	v_lshlrev_b64_e32 v[2:3], 2, v[0:1]
	v_add_nc_u32_e32 v0, s2, v0
	s_delay_alu instid0(VALU_DEP_3) | instskip(NEXT) | instid1(VALU_DEP_3)
	v_mul_f32_e32 v44, v44, v41
	v_add_co_u32 v2, vcc_lo, s4, v2
	s_wait_alu 0xfffd
	s_delay_alu instid0(VALU_DEP_4)
	v_add_co_ci_u32_e64 v3, null, s5, v3, vcc_lo
	global_store_b32 v[73:74], v44, off
	v_lshlrev_b64_e32 v[73:74], 2, v[0:1]
	v_add_co_u32 v75, vcc_lo, s0, v10
	global_load_b32 v44, v[2:3], off
	s_wait_alu 0xfffd
	v_add_co_ci_u32_e64 v76, null, s1, v11, vcc_lo
	v_add_co_u32 v73, vcc_lo, s4, v73
	s_wait_alu 0xfffd
	v_add_co_ci_u32_e64 v74, null, s5, v74, vcc_lo
	v_add_nc_u32_e32 v0, s2, v0
	s_delay_alu instid0(VALU_DEP_1) | instskip(SKIP_3) | instid1(VALU_DEP_1)
	v_lshlrev_b64_e32 v[77:78], 2, v[0:1]
	v_add_nc_u32_e32 v0, s2, v0
	s_wait_loadcnt 0x0
	v_mul_f32_e32 v44, v44, v51
	v_mul_f32_e32 v10, v44, v41
	global_load_b32 v44, v[75:76], off
	global_store_b32 v[2:3], v10, off
	global_load_b32 v57, v[73:74], off
	v_add_co_u32 v2, vcc_lo, s0, v14
	s_wait_alu 0xfffd
	v_add_co_ci_u32_e64 v3, null, s1, v15, vcc_lo
	v_add_co_u32 v10, vcc_lo, s0, v18
	s_wait_alu 0xfffd
	v_add_co_ci_u32_e64 v11, null, s1, v19, vcc_lo
	s_clause 0x3
	global_load_b32 v19, v[2:3], off
	global_load_b32 v14, v[2:3], off
	;; [unrolled: 1-line block ×4, first 2 shown]
	v_add_co_u32 v75, vcc_lo, s4, v77
	s_wait_alu 0xfffd
	v_add_co_ci_u32_e64 v76, null, s5, v78, vcc_lo
	s_wait_loadcnt 0x4
	v_mul_f32_e32 v44, v57, v44
	global_store_b32 v[73:74], v44, off
	global_load_b32 v44, v[75:76], off
	v_lshlrev_b64_e32 v[73:74], 2, v[0:1]
	v_add_nc_u32_e32 v0, s2, v0
	s_delay_alu instid0(VALU_DEP_2) | instskip(SKIP_1) | instid1(VALU_DEP_3)
	v_add_co_u32 v73, vcc_lo, s4, v73
	s_wait_alu 0xfffd
	v_add_co_ci_u32_e64 v74, null, s5, v74, vcc_lo
	s_wait_loadcnt 0x0
	v_mul_f32_e32 v41, v44, v41
	global_load_b32 v44, v[12:13], off
	global_store_b32 v[75:76], v41, off
	global_load_b32 v41, v[73:74], off
	v_lshlrev_b64_e32 v[75:76], 2, v[0:1]
	v_add_nc_u32_e32 v0, s2, v0
	s_delay_alu instid0(VALU_DEP_2) | instskip(SKIP_2) | instid1(VALU_DEP_1)
	v_add_co_u32 v66, vcc_lo, s4, v75
	s_wait_loadcnt 0x0
	v_mul_f32_e32 v41, v41, v51
	v_mul_f32_e32 v41, v41, v67
	s_wait_alu 0xfffd
	v_add_co_ci_u32_e64 v67, null, s5, v76, vcc_lo
	global_store_b32 v[73:74], v41, off
	global_load_b32 v41, v[66:67], off
	v_lshlrev_b64_e32 v[73:74], 2, v[0:1]
	v_add_nc_u32_e32 v0, s2, v0
	s_delay_alu instid0(VALU_DEP_2) | instskip(SKIP_1) | instid1(VALU_DEP_3)
	v_add_co_u32 v73, vcc_lo, s4, v73
	s_wait_alu 0xfffd
	v_add_co_ci_u32_e64 v74, null, s5, v74, vcc_lo
	s_wait_loadcnt 0x0
	v_mul_f32_e32 v41, v41, v63
	s_delay_alu instid0(VALU_DEP_1) | instskip(SKIP_4) | instid1(VALU_DEP_2)
	v_mul_f32_e32 v41, v41, v68
	global_store_b32 v[66:67], v41, off
	global_load_b32 v41, v[73:74], off
	v_lshlrev_b64_e32 v[66:67], 2, v[0:1]
	v_add_nc_u32_e32 v0, s2, v0
	v_add_co_u32 v66, vcc_lo, s4, v66
	s_wait_alu 0xfffd
	s_delay_alu instid0(VALU_DEP_3) | instskip(SKIP_2) | instid1(VALU_DEP_1)
	v_add_co_ci_u32_e64 v67, null, s5, v67, vcc_lo
	s_wait_loadcnt 0x0
	v_mul_f32_e32 v41, v41, v70
	v_mul_f32_e32 v41, v41, v80
	global_store_b32 v[73:74], v41, off
	global_load_b32 v41, v[66:67], off
	v_lshlrev_b64_e32 v[73:74], 2, v[0:1]
	v_add_nc_u32_e32 v0, s2, v0
	s_delay_alu instid0(VALU_DEP_2) | instskip(SKIP_1) | instid1(VALU_DEP_3)
	v_add_co_u32 v73, vcc_lo, s4, v73
	s_wait_alu 0xfffd
	v_add_co_ci_u32_e64 v74, null, s5, v74, vcc_lo
	s_wait_loadcnt 0x0
	v_mul_f32_e32 v41, v41, v47
	global_store_b32 v[66:67], v41, off
	global_load_b32 v41, v[73:74], off
	v_lshlrev_b64_e32 v[66:67], 2, v[0:1]
	v_add_nc_u32_e32 v0, s2, v0
	s_delay_alu instid0(VALU_DEP_2) | instskip(SKIP_1) | instid1(VALU_DEP_3)
	v_add_co_u32 v66, vcc_lo, s4, v66
	s_wait_alu 0xfffd
	v_add_co_ci_u32_e64 v67, null, s5, v67, vcc_lo
	s_wait_loadcnt 0x0
	v_mul_f32_e32 v41, v41, v63
	s_delay_alu instid0(VALU_DEP_1) | instskip(SKIP_4) | instid1(VALU_DEP_2)
	v_mul_f32_e32 v41, v41, v80
	global_store_b32 v[73:74], v41, off
	global_load_b32 v41, v[66:67], off
	v_lshlrev_b64_e32 v[73:74], 2, v[0:1]
	v_add_nc_u32_e32 v0, s2, v0
	v_add_co_u32 v73, vcc_lo, s4, v73
	s_wait_alu 0xfffd
	s_delay_alu instid0(VALU_DEP_3) | instskip(SKIP_2) | instid1(VALU_DEP_1)
	v_add_co_ci_u32_e64 v74, null, s5, v74, vcc_lo
	s_wait_loadcnt 0x0
	v_mul_f32_e32 v41, v41, v63
	v_mul_f32_e32 v41, v41, v47
	global_store_b32 v[66:67], v41, off
	global_load_b32 v41, v[73:74], off
	v_lshlrev_b64_e32 v[66:67], 2, v[0:1]
	v_add_nc_u32_e32 v0, s2, v0
	s_delay_alu instid0(VALU_DEP_2) | instskip(SKIP_1) | instid1(VALU_DEP_3)
	v_add_co_u32 v66, vcc_lo, s4, v66
	s_wait_alu 0xfffd
	v_add_co_ci_u32_e64 v67, null, s5, v67, vcc_lo
	s_wait_loadcnt 0x0
	v_mul_f32_e32 v41, v41, v63
	s_delay_alu instid0(VALU_DEP_1) | instskip(SKIP_4) | instid1(VALU_DEP_2)
	v_mul_f32_e32 v41, v41, v54
	global_store_b32 v[73:74], v41, off
	global_load_b32 v41, v[66:67], off
	v_lshlrev_b64_e32 v[73:74], 2, v[0:1]
	v_add_nc_u32_e32 v0, s2, v0
	v_add_co_u32 v73, vcc_lo, s4, v73
	s_wait_alu 0xfffd
	s_delay_alu instid0(VALU_DEP_3) | instskip(SKIP_2) | instid1(VALU_DEP_1)
	v_add_co_ci_u32_e64 v74, null, s5, v74, vcc_lo
	s_wait_loadcnt 0x0
	v_mul_f32_e32 v41, v41, v70
	;; [unrolled: 23-line block ×4, first 2 shown]
	v_mul_f32_e32 v41, v70, v41
	global_store_b32 v[66:67], v41, off
	global_load_b32 v41, v[73:74], off
	v_lshlrev_b64_e32 v[66:67], 2, v[0:1]
	v_add_nc_u32_e32 v0, s2, v0
	s_delay_alu instid0(VALU_DEP_2) | instskip(SKIP_1) | instid1(VALU_DEP_3)
	v_add_co_u32 v66, vcc_lo, s4, v66
	s_wait_alu 0xfffd
	v_add_co_ci_u32_e64 v67, null, s5, v67, vcc_lo
	s_wait_loadcnt 0x0
	v_mul_f32_e32 v41, v41, v70
	s_delay_alu instid0(VALU_DEP_1)
	v_mul_f32_e32 v41, v70, v41
	v_lshlrev_b64_e32 v[70:71], 2, v[0:1]
	v_add_nc_u32_e32 v0, s2, v0
	global_store_b32 v[73:74], v41, off
	global_load_b32 v41, v[66:67], off
	v_add_co_u32 v70, vcc_lo, s4, v70
	s_wait_alu 0xfffd
	v_add_co_ci_u32_e64 v71, null, s5, v71, vcc_lo
	s_wait_loadcnt 0x0
	v_mul_f32_e32 v41, v41, v60
	global_store_b32 v[66:67], v41, off
	global_load_b32 v41, v[70:71], off
	v_lshlrev_b64_e32 v[66:67], 2, v[0:1]
	v_add_nc_u32_e32 v0, s2, v0
	s_delay_alu instid0(VALU_DEP_2) | instskip(SKIP_1) | instid1(VALU_DEP_3)
	v_add_co_u32 v66, vcc_lo, s4, v66
	s_wait_alu 0xfffd
	v_add_co_ci_u32_e64 v67, null, s5, v67, vcc_lo
	s_wait_loadcnt 0x0
	v_mul_f32_e32 v41, v41, v38
	s_delay_alu instid0(VALU_DEP_1) | instskip(NEXT) | instid1(VALU_DEP_1)
	v_mul_f32_e32 v41, v41, v60
	v_mul_f32_e32 v41, v60, v41
	global_store_b32 v[70:71], v41, off
	global_load_b32 v41, v[66:67], off
	v_lshlrev_b64_e32 v[70:71], 2, v[0:1]
	v_add_nc_u32_e32 v0, s2, v0
	s_delay_alu instid0(VALU_DEP_2) | instskip(SKIP_1) | instid1(VALU_DEP_3)
	v_add_co_u32 v70, vcc_lo, s4, v70
	s_wait_alu 0xfffd
	v_add_co_ci_u32_e64 v71, null, s5, v71, vcc_lo
	s_wait_loadcnt 0x0
	v_mul_f32_e32 v41, v41, v80
	s_delay_alu instid0(VALU_DEP_1) | instskip(NEXT) | instid1(VALU_DEP_1)
	v_mul_f32_e32 v41, v41, v60
	v_mul_f32_e32 v41, v60, v41
	global_store_b32 v[66:67], v41, off
	global_load_b32 v41, v[70:71], off
	v_lshlrev_b64_e32 v[66:67], 2, v[0:1]
	v_add_nc_u32_e32 v0, s2, v0
	s_delay_alu instid0(VALU_DEP_2) | instskip(SKIP_1) | instid1(VALU_DEP_3)
	v_add_co_u32 v66, vcc_lo, s4, v66
	s_wait_alu 0xfffd
	v_add_co_ci_u32_e64 v67, null, s5, v67, vcc_lo
	s_wait_loadcnt 0x0
	v_mul_f32_e32 v41, v41, v72
	s_delay_alu instid0(VALU_DEP_1) | instskip(SKIP_4) | instid1(VALU_DEP_2)
	v_mul_f32_e32 v41, v41, v60
	global_store_b32 v[70:71], v41, off
	global_load_b32 v41, v[66:67], off
	v_lshlrev_b64_e32 v[70:71], 2, v[0:1]
	v_add_nc_u32_e32 v0, s3, v0
	v_add_co_u32 v70, vcc_lo, s4, v70
	s_wait_alu 0xfffd
	s_delay_alu instid0(VALU_DEP_3)
	v_add_co_ci_u32_e64 v71, null, s5, v71, vcc_lo
	s_wait_loadcnt 0x0
	v_mul_f32_e32 v41, v41, v60
	global_store_b32 v[66:67], v41, off
	global_load_b32 v41, v[70:71], off
	v_lshlrev_b64_e32 v[66:67], 2, v[0:1]
	v_add_nc_u32_e32 v0, s2, v0
	s_delay_alu instid0(VALU_DEP_2) | instskip(SKIP_1) | instid1(VALU_DEP_3)
	v_add_co_u32 v66, vcc_lo, s4, v66
	s_wait_alu 0xfffd
	v_add_co_ci_u32_e64 v67, null, s5, v67, vcc_lo
	s_wait_loadcnt 0x0
	v_mul_f32_e32 v41, v41, v72
	s_delay_alu instid0(VALU_DEP_1) | instskip(NEXT) | instid1(VALU_DEP_1)
	v_mul_f32_e32 v41, v41, v60
	v_mul_f32_e32 v41, v60, v41
	global_store_b32 v[70:71], v41, off
	global_load_b32 v41, v[66:67], off
	v_lshlrev_b64_e32 v[70:71], 2, v[0:1]
	v_add_nc_u32_e32 v0, s2, v0
	s_delay_alu instid0(VALU_DEP_2) | instskip(SKIP_1) | instid1(VALU_DEP_3)
	v_add_co_u32 v70, vcc_lo, s4, v70
	s_wait_alu 0xfffd
	v_add_co_ci_u32_e64 v71, null, s5, v71, vcc_lo
	s_wait_loadcnt 0x0
	v_mul_f32_e32 v41, v41, v72
	s_delay_alu instid0(VALU_DEP_1)
	v_mul_f32_e32 v41, v41, v38
	global_store_b32 v[66:67], v41, off
	global_load_b32 v12, v[70:71], off
	s_wait_loadcnt 0x0
	v_mul_f32_e32 v41, v12, v44
	v_lshlrev_b64_e32 v[12:13], 2, v[0:1]
	s_delay_alu instid0(VALU_DEP_2) | instskip(NEXT) | instid1(VALU_DEP_2)
	v_dual_mul_f32 v41, v41, v38 :: v_dual_add_nc_u32 v0, s2, v0
	v_add_co_u32 v12, vcc_lo, s4, v12
	s_wait_alu 0xfffd
	s_delay_alu instid0(VALU_DEP_3)
	v_add_co_ci_u32_e64 v13, null, s5, v13, vcc_lo
	global_store_b32 v[70:71], v41, off
	v_lshlrev_b64_e32 v[66:67], 2, v[0:1]
	v_add_nc_u32_e32 v0, s2, v0
	global_load_b32 v41, v[12:13], off
	v_add_co_u32 v66, vcc_lo, s4, v66
	s_wait_alu 0xfffd
	v_add_co_ci_u32_e64 v67, null, s5, v67, vcc_lo
	s_wait_loadcnt 0x0
	v_mul_f32_e32 v41, v41, v60
	global_store_b32 v[12:13], v41, off
	global_load_b32 v12, v[66:67], off
	s_wait_loadcnt 0x0
	v_mul_f32_e32 v41, v12, v69
	v_lshlrev_b64_e32 v[12:13], 2, v[0:1]
	s_delay_alu instid0(VALU_DEP_2) | instskip(NEXT) | instid1(VALU_DEP_2)
	v_dual_mul_f32 v41, v41, v38 :: v_dual_add_nc_u32 v0, s2, v0
	v_add_co_u32 v12, vcc_lo, s4, v12
	s_wait_alu 0xfffd
	s_delay_alu instid0(VALU_DEP_3)
	v_add_co_ci_u32_e64 v13, null, s5, v13, vcc_lo
	global_store_b32 v[66:67], v41, off
	v_lshlrev_b64_e32 v[66:67], 2, v[0:1]
	v_add_nc_u32_e32 v0, s3, v0
	global_load_b32 v41, v[12:13], off
	v_add_co_u32 v66, vcc_lo, s4, v66
	s_wait_alu 0xfffd
	v_add_co_ci_u32_e64 v67, null, s5, v67, vcc_lo
	s_wait_loadcnt 0x0
	v_mul_f32_e32 v41, v41, v64
	s_delay_alu instid0(VALU_DEP_1) | instskip(SKIP_4) | instid1(VALU_DEP_2)
	v_mul_f32_e32 v41, v41, v60
	global_store_b32 v[12:13], v41, off
	global_load_b32 v41, v[66:67], off
	v_lshlrev_b64_e32 v[12:13], 2, v[0:1]
	v_add_nc_u32_e32 v0, s2, v0
	v_add_co_u32 v12, vcc_lo, s4, v12
	s_wait_alu 0xfffd
	s_delay_alu instid0(VALU_DEP_3)
	v_add_co_ci_u32_e64 v13, null, s5, v13, vcc_lo
	s_wait_loadcnt 0x0
	v_mul_f32_e32 v41, v41, v60
	global_store_b32 v[66:67], v41, off
	global_load_b32 v41, v[12:13], off
	v_lshlrev_b64_e32 v[66:67], 2, v[0:1]
	v_add_nc_u32_e32 v0, s2, v0
	s_delay_alu instid0(VALU_DEP_2) | instskip(SKIP_1) | instid1(VALU_DEP_3)
	v_add_co_u32 v66, vcc_lo, s4, v66
	s_wait_alu 0xfffd
	v_add_co_ci_u32_e64 v67, null, s5, v67, vcc_lo
	s_wait_loadcnt 0x0
	v_mul_f32_e32 v41, v41, v72
	s_delay_alu instid0(VALU_DEP_1) | instskip(SKIP_4) | instid1(VALU_DEP_2)
	v_mul_f32_e32 v41, v41, v38
	global_store_b32 v[12:13], v41, off
	global_load_b32 v41, v[66:67], off
	v_lshlrev_b64_e32 v[12:13], 2, v[0:1]
	v_add_nc_u32_e32 v0, s2, v0
	v_add_co_u32 v12, vcc_lo, s4, v12
	s_wait_alu 0xfffd
	s_delay_alu instid0(VALU_DEP_3)
	v_add_co_ci_u32_e64 v13, null, s5, v13, vcc_lo
	s_wait_loadcnt 0x0
	v_mul_f32_e32 v41, v41, v60
	global_store_b32 v[66:67], v41, off
	global_load_b32 v41, v[12:13], off
	v_lshlrev_b64_e32 v[66:67], 2, v[0:1]
	v_add_nc_u32_e32 v0, s3, v0
	s_delay_alu instid0(VALU_DEP_2) | instskip(SKIP_1) | instid1(VALU_DEP_3)
	v_add_co_u32 v66, vcc_lo, s4, v66
	s_wait_alu 0xfffd
	v_add_co_ci_u32_e64 v67, null, s5, v67, vcc_lo
	s_wait_loadcnt 0x0
	v_mul_f32_e32 v41, v41, v69
	s_delay_alu instid0(VALU_DEP_1)
	v_mul_f32_e32 v38, v41, v38
	global_load_b32 v41, v[20:21], off
	global_store_b32 v[12:13], v38, off
	global_load_b32 v38, v[66:67], off
	v_lshlrev_b64_e32 v[12:13], 2, v[0:1]
	v_add_nc_u32_e32 v0, s2, v0
	s_delay_alu instid0(VALU_DEP_2) | instskip(SKIP_1) | instid1(VALU_DEP_3)
	v_add_co_u32 v12, vcc_lo, s4, v12
	s_wait_alu 0xfffd
	v_add_co_ci_u32_e64 v13, null, s5, v13, vcc_lo
	s_wait_loadcnt 0x0
	v_mul_f32_e32 v38, v38, v49
	global_store_b32 v[66:67], v38, off
	global_load_b32 v38, v[12:13], off
	v_lshlrev_b64_e32 v[66:67], 2, v[0:1]
	v_add_nc_u32_e32 v0, s2, v0
	s_delay_alu instid0(VALU_DEP_2) | instskip(SKIP_1) | instid1(VALU_DEP_3)
	v_add_co_u32 v66, vcc_lo, s4, v66
	s_wait_alu 0xfffd
	v_add_co_ci_u32_e64 v67, null, s5, v67, vcc_lo
	s_wait_loadcnt 0x0
	v_mul_f32_e32 v38, v38, v44
	s_delay_alu instid0(VALU_DEP_1)
	v_mul_f32_e32 v38, v38, v61
	global_store_b32 v[12:13], v38, off
	global_load_b32 v12, v[66:67], off
	s_wait_loadcnt 0x0
	v_mul_f32_e32 v38, v12, v64
	v_lshlrev_b64_e32 v[12:13], 2, v[0:1]
	v_add_nc_u32_e32 v0, s2, v0
	s_delay_alu instid0(VALU_DEP_3) | instskip(NEXT) | instid1(VALU_DEP_3)
	v_mul_f32_e32 v38, v38, v60
	v_add_co_u32 v12, vcc_lo, s4, v12
	s_wait_alu 0xfffd
	s_delay_alu instid0(VALU_DEP_4)
	v_add_co_ci_u32_e64 v13, null, s5, v13, vcc_lo
	global_store_b32 v[66:67], v38, off
	v_lshlrev_b64_e32 v[59:60], 2, v[0:1]
	v_add_nc_u32_e32 v0, s2, v0
	global_load_b32 v38, v[12:13], off
	v_add_co_u32 v59, vcc_lo, s4, v59
	s_wait_alu 0xfffd
	v_add_co_ci_u32_e64 v60, null, s5, v60, vcc_lo
	s_wait_loadcnt 0x0
	v_mul_f32_e32 v38, v38, v44
	s_delay_alu instid0(VALU_DEP_1) | instskip(SKIP_4) | instid1(VALU_DEP_2)
	v_mul_f32_e32 v38, v38, v46
	global_store_b32 v[12:13], v38, off
	global_load_b32 v38, v[59:60], off
	v_lshlrev_b64_e32 v[12:13], 2, v[0:1]
	v_add_nc_u32_e32 v0, s2, v0
	v_add_co_u32 v12, vcc_lo, s4, v12
	s_wait_alu 0xfffd
	s_delay_alu instid0(VALU_DEP_3)
	v_add_co_ci_u32_e64 v13, null, s5, v13, vcc_lo
	s_wait_loadcnt 0x0
	v_mul_f32_e32 v38, v38, v49
	global_store_b32 v[59:60], v38, off
	global_load_b32 v38, v[12:13], off
	v_lshlrev_b64_e32 v[59:60], 2, v[0:1]
	v_add_nc_u32_e32 v0, s2, v0
	s_delay_alu instid0(VALU_DEP_2) | instskip(SKIP_1) | instid1(VALU_DEP_3)
	v_add_co_u32 v59, vcc_lo, s4, v59
	s_wait_alu 0xfffd
	v_add_co_ci_u32_e64 v60, null, s5, v60, vcc_lo
	s_delay_alu instid0(VALU_DEP_3) | instskip(SKIP_3) | instid1(VALU_DEP_1)
	v_lshlrev_b64_e32 v[63:64], 2, v[0:1]
	v_add_nc_u32_e32 v0, s2, v0
	s_wait_loadcnt 0x0
	v_mul_f32_e32 v38, v38, v44
	v_mul_f32_e32 v38, v38, v42
	global_store_b32 v[12:13], v38, off
	global_load_b32 v13, v[59:60], off
	s_clause 0x1
	global_load_b32 v38, v[20:21], off
	global_load_b32 v12, v[20:21], off
	v_add_co_u32 v20, vcc_lo, s4, v63
	s_wait_alu 0xfffd
	v_add_co_ci_u32_e64 v21, null, s5, v64, vcc_lo
	global_load_b32 v44, v[16:17], off
	v_lshlrev_b64_e32 v[16:17], 2, v[0:1]
	v_add_nc_u32_e32 v0, s2, v0
	s_delay_alu instid0(VALU_DEP_2) | instskip(SKIP_1) | instid1(VALU_DEP_3)
	v_add_co_u32 v16, vcc_lo, s4, v16
	s_wait_alu 0xfffd
	v_add_co_ci_u32_e64 v17, null, s5, v17, vcc_lo
	s_wait_loadcnt 0x3
	v_mul_f32_e32 v13, v13, v41
	global_store_b32 v[59:60], v13, off
	global_load_b32 v13, v[20:21], off
	s_wait_loadcnt 0x0
	v_mul_f32_e32 v13, v13, v44
	s_delay_alu instid0(VALU_DEP_1) | instskip(SKIP_4) | instid1(VALU_DEP_2)
	v_mul_f32_e32 v13, v13, v61
	global_store_b32 v[20:21], v13, off
	global_load_b32 v13, v[16:17], off
	v_lshlrev_b64_e32 v[20:21], 2, v[0:1]
	v_add_nc_u32_e32 v0, s2, v0
	v_add_co_u32 v20, vcc_lo, s4, v20
	s_wait_alu 0xfffd
	s_delay_alu instid0(VALU_DEP_3)
	v_add_co_ci_u32_e64 v21, null, s5, v21, vcc_lo
	s_wait_loadcnt 0x0
	v_mul_f32_e32 v13, v13, v61
	global_store_b32 v[16:17], v13, off
	global_load_b32 v13, v[20:21], off
	v_lshlrev_b64_e32 v[16:17], 2, v[0:1]
	v_add_nc_u32_e32 v0, s2, v0
	s_delay_alu instid0(VALU_DEP_2) | instskip(SKIP_1) | instid1(VALU_DEP_3)
	v_add_co_u32 v16, vcc_lo, s4, v16
	s_wait_alu 0xfffd
	v_add_co_ci_u32_e64 v17, null, s5, v17, vcc_lo
	s_wait_loadcnt 0x0
	v_mul_f32_e32 v13, v13, v65
	s_delay_alu instid0(VALU_DEP_1) | instskip(SKIP_4) | instid1(VALU_DEP_2)
	v_mul_f32_e32 v13, v13, v32
	global_store_b32 v[20:21], v13, off
	global_load_b32 v13, v[16:17], off
	v_lshlrev_b64_e32 v[20:21], 2, v[0:1]
	v_add_nc_u32_e32 v0, s2, v0
	v_add_co_u32 v20, vcc_lo, s4, v20
	s_wait_alu 0xfffd
	s_delay_alu instid0(VALU_DEP_3) | instskip(SKIP_2) | instid1(VALU_DEP_1)
	v_add_co_ci_u32_e64 v21, null, s5, v21, vcc_lo
	s_wait_loadcnt 0x0
	v_mul_f32_e32 v13, v13, v52
	v_mul_f32_e32 v13, v13, v55
	global_store_b32 v[16:17], v13, off
	global_load_b32 v13, v[20:21], off
	v_lshlrev_b64_e32 v[16:17], 2, v[0:1]
	v_add_nc_u32_e32 v0, s2, v0
	s_delay_alu instid0(VALU_DEP_2) | instskip(SKIP_1) | instid1(VALU_DEP_3)
	v_add_co_u32 v16, vcc_lo, s4, v16
	s_wait_alu 0xfffd
	v_add_co_ci_u32_e64 v17, null, s5, v17, vcc_lo
	s_wait_loadcnt 0x0
	v_mul_f32_e32 v13, v13, v44
	s_delay_alu instid0(VALU_DEP_1)
	v_mul_f32_e32 v13, v13, v42
	global_store_b32 v[20:21], v13, off
	global_load_b32 v13, v[16:17], off
	global_load_b32 v42, v[6:7], off
	v_lshlrev_b64_e32 v[20:21], 2, v[0:1]
	s_clause 0x1
	global_load_b32 v47, v[6:7], off
	global_load_b32 v49, v[6:7], off
	v_add_nc_u32_e32 v0, s2, v0
	v_add_co_u32 v6, vcc_lo, s4, v20
	s_wait_alu 0xfffd
	v_add_co_ci_u32_e64 v7, null, s5, v21, vcc_lo
	s_wait_loadcnt 0x3
	v_mul_f32_e32 v13, v13, v44
	s_wait_loadcnt 0x2
	s_delay_alu instid0(VALU_DEP_1) | instskip(SKIP_4) | instid1(VALU_DEP_2)
	v_mul_f32_e32 v13, v13, v42
	global_store_b32 v[16:17], v13, off
	global_load_b32 v13, v[6:7], off
	v_lshlrev_b64_e32 v[16:17], 2, v[0:1]
	v_add_nc_u32_e32 v0, s2, v0
	v_add_co_u32 v16, vcc_lo, s4, v16
	s_wait_alu 0xfffd
	s_delay_alu instid0(VALU_DEP_3) | instskip(NEXT) | instid1(VALU_DEP_3)
	v_add_co_ci_u32_e64 v17, null, s5, v17, vcc_lo
	v_lshlrev_b64_e32 v[20:21], 2, v[0:1]
	s_wait_loadcnt 0x0
	v_dual_mul_f32 v13, v13, v34 :: v_dual_add_nc_u32 v0, s2, v0
	global_load_b32 v34, v[8:9], off
	global_store_b32 v[6:7], v13, off
	global_load_b32 v13, v[16:17], off
	s_clause 0x3
	global_load_b32 v51, v[8:9], off
	global_load_b32 v54, v[8:9], off
	;; [unrolled: 1-line block ×4, first 2 shown]
	v_add_co_u32 v8, vcc_lo, s4, v20
	s_wait_alu 0xfffd
	v_add_co_ci_u32_e64 v9, null, s5, v21, vcc_lo
	s_clause 0x1
	global_load_b32 v20, v[10:11], off
	global_load_b32 v2, v[2:3], off
	s_wait_loadcnt 0x6
	v_mul_f32_e32 v13, v13, v34
	global_store_b32 v[16:17], v13, off
	global_load_b32 v13, v[8:9], off
	v_lshlrev_b64_e32 v[16:17], 2, v[0:1]
	v_add_nc_u32_e32 v0, s2, v0
	s_delay_alu instid0(VALU_DEP_2) | instskip(SKIP_1) | instid1(VALU_DEP_3)
	v_add_co_u32 v16, vcc_lo, s4, v16
	s_wait_alu 0xfffd
	v_add_co_ci_u32_e64 v17, null, s5, v17, vcc_lo
	s_wait_loadcnt 0x0
	v_mul_f32_e32 v13, v13, v46
	global_store_b32 v[8:9], v13, off
	global_load_b32 v8, v[16:17], off
	s_wait_loadcnt 0x0
	v_mul_f32_e32 v13, v8, v41
	v_lshlrev_b64_e32 v[8:9], 2, v[0:1]
	s_delay_alu instid0(VALU_DEP_2) | instskip(NEXT) | instid1(VALU_DEP_2)
	v_dual_mul_f32 v13, v13, v42 :: v_dual_add_nc_u32 v0, s2, v0
	v_add_co_u32 v8, vcc_lo, s4, v8
	s_wait_alu 0xfffd
	s_delay_alu instid0(VALU_DEP_3)
	v_add_co_ci_u32_e64 v9, null, s5, v9, vcc_lo
	global_store_b32 v[16:17], v13, off
	v_lshlrev_b64_e32 v[16:17], 2, v[0:1]
	v_add_nc_u32_e32 v0, s2, v0
	global_load_b32 v13, v[8:9], off
	v_add_co_u32 v16, vcc_lo, s4, v16
	s_wait_alu 0xfffd
	v_add_co_ci_u32_e64 v17, null, s5, v17, vcc_lo
	s_wait_loadcnt 0x0
	v_mul_f32_e32 v13, v13, v41
	s_delay_alu instid0(VALU_DEP_1)
	v_mul_f32_e32 v13, v13, v55
	global_store_b32 v[8:9], v13, off
	global_load_b32 v8, v[16:17], off
	s_wait_loadcnt 0x0
	v_mul_f32_e32 v13, v8, v44
	v_lshlrev_b64_e32 v[8:9], 2, v[0:1]
	s_delay_alu instid0(VALU_DEP_2) | instskip(NEXT) | instid1(VALU_DEP_2)
	v_dual_mul_f32 v13, v13, v62 :: v_dual_add_nc_u32 v0, s2, v0
	v_add_co_u32 v8, vcc_lo, s4, v8
	s_wait_alu 0xfffd
	s_delay_alu instid0(VALU_DEP_3)
	v_add_co_ci_u32_e64 v9, null, s5, v9, vcc_lo
	global_store_b32 v[16:17], v13, off
	v_lshlrev_b64_e32 v[10:11], 2, v[0:1]
	v_add_nc_u32_e32 v0, s2, v0
	global_load_b32 v13, v[8:9], off
	v_add_co_u32 v10, vcc_lo, s4, v10
	s_wait_alu 0xfffd
	v_add_co_ci_u32_e64 v11, null, s5, v11, vcc_lo
	s_wait_loadcnt 0x0
	v_mul_f32_e32 v13, v13, v20
	global_store_b32 v[8:9], v13, off
	global_load_b32 v3, v[10:11], off
	s_wait_loadcnt 0x0
	v_mul_f32_e32 v8, v3, v2
	v_lshlrev_b64_e32 v[2:3], 2, v[0:1]
	v_add_nc_u32_e32 v0, s2, v0
	s_delay_alu instid0(VALU_DEP_3) | instskip(NEXT) | instid1(VALU_DEP_3)
	v_mul_f32_e32 v8, v8, v32
	v_add_co_u32 v2, vcc_lo, s4, v2
	s_wait_alu 0xfffd
	s_delay_alu instid0(VALU_DEP_4)
	v_add_co_ci_u32_e64 v3, null, s5, v3, vcc_lo
	global_store_b32 v[10:11], v8, off
	global_load_b32 v8, v[2:3], off
	s_wait_loadcnt 0x0
	v_mul_f32_e32 v10, v8, v52
	v_lshlrev_b64_e32 v[8:9], 2, v[0:1]
	v_add_nc_u32_e32 v0, s2, v0
	s_delay_alu instid0(VALU_DEP_3) | instskip(NEXT) | instid1(VALU_DEP_3)
	v_mul_f32_e32 v10, v10, v55
	v_add_co_u32 v8, vcc_lo, s4, v8
	s_wait_alu 0xfffd
	s_delay_alu instid0(VALU_DEP_4)
	v_add_co_ci_u32_e64 v9, null, s5, v9, vcc_lo
	global_store_b32 v[2:3], v10, off
	v_lshlrev_b64_e32 v[2:3], 2, v[0:1]
	v_add_nc_u32_e32 v0, s2, v0
	global_load_b32 v10, v[8:9], off
	v_add_co_u32 v2, vcc_lo, s4, v2
	s_wait_alu 0xfffd
	v_add_co_ci_u32_e64 v3, null, s5, v3, vcc_lo
	s_wait_loadcnt 0x0
	v_mul_f32_e32 v10, v10, v27
	global_store_b32 v[8:9], v10, off
	global_load_b32 v10, v[2:3], off
	v_lshlrev_b64_e32 v[8:9], 2, v[0:1]
	v_add_nc_u32_e32 v0, s2, v0
	s_delay_alu instid0(VALU_DEP_2) | instskip(SKIP_1) | instid1(VALU_DEP_3)
	v_add_co_u32 v8, vcc_lo, s4, v8
	s_wait_alu 0xfffd
	v_add_co_ci_u32_e64 v9, null, s5, v9, vcc_lo
	s_wait_loadcnt 0x0
	v_mul_f32_e32 v10, v10, v52
	global_store_b32 v[2:3], v10, off
	global_load_b32 v2, v[8:9], off
	s_wait_loadcnt 0x0
	v_mul_f32_e32 v10, v2, v58
	v_lshlrev_b64_e32 v[2:3], 2, v[0:1]
	v_add_nc_u32_e32 v0, s2, v0
	s_delay_alu instid0(VALU_DEP_3) | instskip(NEXT) | instid1(VALU_DEP_3)
	v_mul_f32_e32 v10, v10, v56
	v_add_co_u32 v2, vcc_lo, s4, v2
	s_wait_alu 0xfffd
	s_delay_alu instid0(VALU_DEP_4)
	v_add_co_ci_u32_e64 v3, null, s5, v3, vcc_lo
	global_store_b32 v[8:9], v10, off
	global_load_b32 v8, v[2:3], off
	s_wait_loadcnt 0x0
	v_mul_f32_e32 v10, v8, v58
	v_lshlrev_b64_e32 v[8:9], 2, v[0:1]
	v_add_nc_u32_e32 v0, s2, v0
	s_delay_alu instid0(VALU_DEP_3) | instskip(NEXT) | instid1(VALU_DEP_3)
	v_mul_f32_e32 v10, v10, v46
	v_add_co_u32 v8, vcc_lo, s4, v8
	s_wait_alu 0xfffd
	s_delay_alu instid0(VALU_DEP_4)
	v_add_co_ci_u32_e64 v9, null, s5, v9, vcc_lo
	;; [unrolled: 12-line block ×3, first 2 shown]
	global_store_b32 v[8:9], v10, off
	global_load_b32 v8, v[2:3], off
	s_wait_loadcnt 0x0
	v_mul_f32_e32 v10, v8, v58
	v_lshlrev_b64_e32 v[8:9], 2, v[0:1]
	v_add_nc_u32_e32 v0, s2, v0
	s_delay_alu instid0(VALU_DEP_3) | instskip(NEXT) | instid1(VALU_DEP_3)
	v_mul_f32_e32 v10, v10, v47
	v_add_co_u32 v8, vcc_lo, s4, v8
	s_wait_alu 0xfffd
	s_delay_alu instid0(VALU_DEP_4) | instskip(SKIP_4) | instid1(VALU_DEP_1)
	v_add_co_ci_u32_e64 v9, null, s5, v9, vcc_lo
	global_store_b32 v[2:3], v10, off
	global_load_b32 v2, v[8:9], off
	s_wait_loadcnt 0x0
	v_mul_f32_e32 v2, v2, v51
	v_mul_f32_e32 v10, v2, v53
	v_lshlrev_b64_e32 v[2:3], 2, v[0:1]
	v_add_nc_u32_e32 v0, s3, v0
	s_delay_alu instid0(VALU_DEP_3) | instskip(NEXT) | instid1(VALU_DEP_3)
	v_mul_f32_e32 v10, v10, v30
	v_add_co_u32 v2, vcc_lo, s4, v2
	s_wait_alu 0xfffd
	s_delay_alu instid0(VALU_DEP_4)
	v_add_co_ci_u32_e64 v3, null, s5, v3, vcc_lo
	global_store_b32 v[8:9], v10, off
	v_lshlrev_b64_e32 v[8:9], 2, v[0:1]
	v_add_nc_u32_e32 v0, s2, v0
	global_load_b32 v10, v[2:3], off
	v_add_co_u32 v8, vcc_lo, s4, v8
	s_wait_alu 0xfffd
	v_add_co_ci_u32_e64 v9, null, s5, v9, vcc_lo
	s_wait_loadcnt 0x0
	v_mul_f32_e32 v10, v10, v56
	global_store_b32 v[2:3], v10, off
	global_load_b32 v10, v[8:9], off
	v_lshlrev_b64_e32 v[2:3], 2, v[0:1]
	v_add_nc_u32_e32 v0, s2, v0
	s_delay_alu instid0(VALU_DEP_2) | instskip(SKIP_1) | instid1(VALU_DEP_3)
	v_add_co_u32 v2, vcc_lo, s4, v2
	s_wait_alu 0xfffd
	v_add_co_ci_u32_e64 v3, null, s5, v3, vcc_lo
	s_wait_loadcnt 0x0
	v_mul_f32_e32 v10, v10, v56
	global_store_b32 v[8:9], v10, off
	global_load_b32 v10, v[2:3], off
	v_lshlrev_b64_e32 v[8:9], 2, v[0:1]
	v_add_nc_u32_e32 v0, s2, v0
	s_delay_alu instid0(VALU_DEP_2) | instskip(SKIP_1) | instid1(VALU_DEP_3)
	;; [unrolled: 10-line block ×6, first 2 shown]
	v_add_co_u32 v8, vcc_lo, s4, v8
	s_wait_alu 0xfffd
	v_add_co_ci_u32_e64 v9, null, s5, v9, vcc_lo
	s_wait_loadcnt 0x0
	v_mul_f32_e32 v10, v10, v47
	global_store_b32 v[2:3], v10, off
	global_load_b32 v2, v[8:9], off
	s_wait_loadcnt 0x0
	v_mul_f32_e32 v10, v2, v27
	v_lshlrev_b64_e32 v[2:3], 2, v[0:1]
	v_add_nc_u32_e32 v0, s2, v0
	s_delay_alu instid0(VALU_DEP_3) | instskip(NEXT) | instid1(VALU_DEP_3)
	v_mul_f32_e32 v10, v10, v30
	v_add_co_u32 v2, vcc_lo, s4, v2
	s_wait_alu 0xfffd
	s_delay_alu instid0(VALU_DEP_4)
	v_add_co_ci_u32_e64 v3, null, s5, v3, vcc_lo
	global_store_b32 v[8:9], v10, off
	v_lshlrev_b64_e32 v[8:9], 2, v[0:1]
	v_add_nc_u32_e32 v0, s2, v0
	global_load_b32 v10, v[2:3], off
	v_add_co_u32 v8, vcc_lo, s4, v8
	s_wait_alu 0xfffd
	v_add_co_ci_u32_e64 v9, null, s5, v9, vcc_lo
	s_wait_loadcnt 0x0
	v_mul_f32_e32 v10, v10, v53
	global_store_b32 v[2:3], v10, off
	global_load_b32 v2, v[8:9], off
	s_wait_loadcnt 0x0
	v_mul_f32_e32 v10, v2, v19
	v_lshlrev_b64_e32 v[2:3], 2, v[0:1]
	v_add_nc_u32_e32 v0, s2, v0
	s_delay_alu instid0(VALU_DEP_3) | instskip(NEXT) | instid1(VALU_DEP_3)
	v_mul_f32_e32 v10, v10, v35
	v_add_co_u32 v2, vcc_lo, s4, v2
	s_wait_alu 0xfffd
	s_delay_alu instid0(VALU_DEP_4)
	v_add_co_ci_u32_e64 v3, null, s5, v3, vcc_lo
	global_store_b32 v[8:9], v10, off
	v_lshlrev_b64_e32 v[8:9], 2, v[0:1]
	v_add_nc_u32_e32 v0, s2, v0
	global_load_b32 v10, v[2:3], off
	;; [unrolled: 21-line block ×3, first 2 shown]
	v_add_co_u32 v8, vcc_lo, s4, v8
	s_wait_alu 0xfffd
	v_add_co_ci_u32_e64 v9, null, s5, v9, vcc_lo
	s_wait_loadcnt 0x0
	v_mul_f32_e32 v10, v10, v31
	global_store_b32 v[2:3], v10, off
	global_load_b32 v10, v[8:9], off
	v_lshlrev_b64_e32 v[2:3], 2, v[0:1]
	v_add_nc_u32_e32 v0, s2, v0
	s_delay_alu instid0(VALU_DEP_2) | instskip(SKIP_1) | instid1(VALU_DEP_3)
	v_add_co_u32 v2, vcc_lo, s4, v2
	s_wait_alu 0xfffd
	v_add_co_ci_u32_e64 v3, null, s5, v3, vcc_lo
	s_wait_loadcnt 0x0
	v_mul_f32_e32 v10, v10, v18
	global_store_b32 v[8:9], v10, off
	global_load_b32 v8, v[2:3], off
	s_wait_loadcnt 0x0
	v_mul_f32_e32 v10, v8, v38
	v_lshlrev_b64_e32 v[8:9], 2, v[0:1]
	v_add_nc_u32_e32 v0, s2, v0
	s_delay_alu instid0(VALU_DEP_3) | instskip(NEXT) | instid1(VALU_DEP_3)
	v_mul_f32_e32 v10, v10, v50
	v_add_co_u32 v8, vcc_lo, s4, v8
	s_wait_alu 0xfffd
	s_delay_alu instid0(VALU_DEP_4)
	v_add_co_ci_u32_e64 v9, null, s5, v9, vcc_lo
	global_store_b32 v[2:3], v10, off
	global_load_b32 v2, v[8:9], off
	s_wait_loadcnt 0x0
	v_mul_f32_e32 v10, v2, v37
	v_lshlrev_b64_e32 v[2:3], 2, v[0:1]
	v_add_nc_u32_e32 v0, s2, v0
	s_delay_alu instid0(VALU_DEP_3) | instskip(NEXT) | instid1(VALU_DEP_3)
	v_mul_f32_e32 v10, v10, v54
	v_add_co_u32 v2, vcc_lo, s4, v2
	s_wait_alu 0xfffd
	s_delay_alu instid0(VALU_DEP_4)
	v_add_co_ci_u32_e64 v3, null, s5, v3, vcc_lo
	;; [unrolled: 12-line block ×5, first 2 shown]
	global_store_b32 v[2:3], v10, off
	global_load_b32 v2, v[8:9], off
	s_wait_loadcnt 0x0
	v_mul_f32_e32 v10, v2, v38
	v_lshlrev_b64_e32 v[2:3], 2, v[0:1]
	v_add_nc_u32_e32 v0, s2, v0
	s_delay_alu instid0(VALU_DEP_3) | instskip(NEXT) | instid1(VALU_DEP_3)
	v_mul_f32_e32 v10, v10, v48
	v_add_co_u32 v2, vcc_lo, s4, v2
	s_wait_alu 0xfffd
	s_delay_alu instid0(VALU_DEP_4) | instskip(SKIP_4) | instid1(VALU_DEP_1)
	v_add_co_ci_u32_e64 v3, null, s5, v3, vcc_lo
	global_store_b32 v[8:9], v10, off
	global_load_b32 v8, v[2:3], off
	s_wait_loadcnt 0x0
	v_mul_f32_e32 v8, v8, v37
	v_mul_f32_e32 v10, v8, v54
	v_lshlrev_b64_e32 v[8:9], 2, v[0:1]
	v_add_nc_u32_e32 v0, s2, v0
	s_delay_alu instid0(VALU_DEP_3) | instskip(NEXT) | instid1(VALU_DEP_3)
	v_mul_f32_e32 v10, v10, v26
	v_add_co_u32 v8, vcc_lo, s4, v8
	s_wait_alu 0xfffd
	s_delay_alu instid0(VALU_DEP_4)
	v_add_co_ci_u32_e64 v9, null, s5, v9, vcc_lo
	global_store_b32 v[2:3], v10, off
	global_load_b32 v2, v[8:9], off
	s_wait_loadcnt 0x0
	v_mul_f32_e32 v10, v2, v18
	v_lshlrev_b64_e32 v[2:3], 2, v[0:1]
	v_add_nc_u32_e32 v0, s2, v0
	s_delay_alu instid0(VALU_DEP_3) | instskip(NEXT) | instid1(VALU_DEP_3)
	v_mul_f32_e32 v10, v10, v49
	v_add_co_u32 v2, vcc_lo, s4, v2
	s_wait_alu 0xfffd
	s_delay_alu instid0(VALU_DEP_4)
	v_add_co_ci_u32_e64 v3, null, s5, v3, vcc_lo
	global_store_b32 v[8:9], v10, off
	global_load_b32 v8, v[2:3], off
	s_wait_loadcnt 0x0
	v_mul_f32_e32 v10, v8, v18
	v_lshlrev_b64_e32 v[8:9], 2, v[0:1]
	v_add_nc_u32_e32 v0, s2, v0
	s_delay_alu instid0(VALU_DEP_3) | instskip(NEXT) | instid1(VALU_DEP_3)
	v_mul_f32_e32 v10, v10, v28
	v_add_co_u32 v8, vcc_lo, s4, v8
	s_wait_alu 0xfffd
	s_delay_alu instid0(VALU_DEP_4)
	v_add_co_ci_u32_e64 v9, null, s5, v9, vcc_lo
	global_store_b32 v[2:3], v10, off
	v_lshlrev_b64_e32 v[2:3], 2, v[0:1]
	v_add_nc_u32_e32 v0, s2, v0
	global_load_b32 v10, v[8:9], off
	v_add_co_u32 v2, vcc_lo, s4, v2
	s_wait_alu 0xfffd
	v_add_co_ci_u32_e64 v3, null, s5, v3, vcc_lo
	s_wait_loadcnt 0x0
	v_mul_f32_e32 v10, v10, v50
	global_store_b32 v[8:9], v10, off
	global_load_b32 v10, v[2:3], off
	v_lshlrev_b64_e32 v[8:9], 2, v[0:1]
	v_add_nc_u32_e32 v0, s2, v0
	s_delay_alu instid0(VALU_DEP_2) | instskip(SKIP_1) | instid1(VALU_DEP_3)
	v_add_co_u32 v8, vcc_lo, s4, v8
	s_wait_alu 0xfffd
	v_add_co_ci_u32_e64 v9, null, s5, v9, vcc_lo
	s_wait_loadcnt 0x0
	v_mul_f32_e32 v10, v10, v26
	global_store_b32 v[2:3], v10, off
	global_load_b32 v10, v[8:9], off
	v_lshlrev_b64_e32 v[2:3], 2, v[0:1]
	v_add_nc_u32_e32 v0, s2, v0
	s_delay_alu instid0(VALU_DEP_2) | instskip(SKIP_1) | instid1(VALU_DEP_3)
	;; [unrolled: 10-line block ×6, first 2 shown]
	v_add_co_u32 v2, vcc_lo, s4, v2
	s_wait_alu 0xfffd
	v_add_co_ci_u32_e64 v3, null, s5, v3, vcc_lo
	s_wait_loadcnt 0x0
	v_mul_f32_e32 v10, v10, v24
	global_store_b32 v[8:9], v10, off
	global_load_b32 v8, v[2:3], off
	s_wait_loadcnt 0x0
	v_mul_f32_e32 v10, v8, v15
	v_lshlrev_b64_e32 v[8:9], 2, v[0:1]
	v_add_nc_u32_e32 v0, s2, v0
	s_delay_alu instid0(VALU_DEP_3) | instskip(NEXT) | instid1(VALU_DEP_3)
	v_mul_f32_e32 v10, v10, v40
	v_add_co_u32 v8, vcc_lo, s4, v8
	s_wait_alu 0xfffd
	s_delay_alu instid0(VALU_DEP_4)
	v_add_co_ci_u32_e64 v9, null, s5, v9, vcc_lo
	global_store_b32 v[2:3], v10, off
	global_load_b32 v2, v[8:9], off
	s_wait_loadcnt 0x0
	v_mul_f32_e32 v10, v2, v26
	v_lshlrev_b64_e32 v[2:3], 2, v[0:1]
	v_add_nc_u32_e32 v0, s3, v0
	s_delay_alu instid0(VALU_DEP_3) | instskip(NEXT) | instid1(VALU_DEP_3)
	v_mul_f32_e32 v10, v10, v7
	v_add_co_u32 v2, vcc_lo, s4, v2
	s_wait_alu 0xfffd
	s_delay_alu instid0(VALU_DEP_4)
	v_add_co_ci_u32_e64 v3, null, s5, v3, vcc_lo
	;; [unrolled: 12-line block ×5, first 2 shown]
	global_store_b32 v[2:3], v10, off
	global_load_b32 v2, v[8:9], off
	global_load_b32 v4, v[4:5], off
	s_wait_loadcnt 0x1
	v_mul_f32_e32 v2, v2, v33
	s_delay_alu instid0(VALU_DEP_1) | instskip(SKIP_3) | instid1(VALU_DEP_3)
	v_mul_f32_e32 v5, v2, v29
	v_lshlrev_b64_e32 v[2:3], 2, v[0:1]
	v_add_nc_u32_e32 v0, s2, v0
	s_wait_loadcnt 0x0
	v_mul_f32_e32 v4, v5, v4
	s_delay_alu instid0(VALU_DEP_3)
	v_add_co_u32 v2, vcc_lo, s4, v2
	s_wait_alu 0xfffd
	v_add_co_ci_u32_e64 v3, null, s5, v3, vcc_lo
	global_store_b32 v[8:9], v4, off
	global_load_b32 v4, v[2:3], off
	s_wait_loadcnt 0x0
	v_mul_f32_e32 v8, v4, v14
	v_lshlrev_b64_e32 v[4:5], 2, v[0:1]
	v_add_nc_u32_e32 v0, s2, v0
	s_delay_alu instid0(VALU_DEP_3) | instskip(NEXT) | instid1(VALU_DEP_3)
	v_mul_f32_e32 v8, v8, v25
	v_add_co_u32 v4, vcc_lo, s4, v4
	s_wait_alu 0xfffd
	s_delay_alu instid0(VALU_DEP_4)
	v_add_co_ci_u32_e64 v5, null, s5, v5, vcc_lo
	global_store_b32 v[2:3], v8, off
	global_load_b32 v2, v[4:5], off
	s_wait_loadcnt 0x0
	v_mul_f32_e32 v8, v2, v14
	v_lshlrev_b64_e32 v[2:3], 2, v[0:1]
	v_add_nc_u32_e32 v0, s2, v0
	s_delay_alu instid0(VALU_DEP_3) | instskip(NEXT) | instid1(VALU_DEP_3)
	v_mul_f32_e32 v8, v8, v36
	v_add_co_u32 v2, vcc_lo, s4, v2
	s_wait_alu 0xfffd
	s_delay_alu instid0(VALU_DEP_4)
	;; [unrolled: 12-line block ×4, first 2 shown]
	v_add_co_ci_u32_e64 v3, null, s5, v3, vcc_lo
	global_store_b32 v[4:5], v8, off
	v_lshlrev_b64_e32 v[4:5], 2, v[0:1]
	v_add_nc_u32_e32 v0, s2, v0
	global_load_b32 v8, v[2:3], off
	v_add_co_u32 v4, vcc_lo, s4, v4
	s_wait_alu 0xfffd
	v_add_co_ci_u32_e64 v5, null, s5, v5, vcc_lo
	s_wait_loadcnt 0x0
	v_mul_f32_e32 v8, v8, v29
	global_store_b32 v[2:3], v8, off
	global_load_b32 v2, v[4:5], off
	s_wait_loadcnt 0x0
	v_mul_f32_e32 v8, v2, v15
	v_lshlrev_b64_e32 v[2:3], 2, v[0:1]
	v_add_nc_u32_e32 v0, s2, v0
	s_delay_alu instid0(VALU_DEP_3) | instskip(NEXT) | instid1(VALU_DEP_3)
	v_mul_f32_e32 v8, v8, v22
	v_add_co_u32 v2, vcc_lo, s4, v2
	s_wait_alu 0xfffd
	s_delay_alu instid0(VALU_DEP_4)
	v_add_co_ci_u32_e64 v3, null, s5, v3, vcc_lo
	global_store_b32 v[4:5], v8, off
	v_lshlrev_b64_e32 v[4:5], 2, v[0:1]
	v_add_nc_u32_e32 v0, s2, v0
	global_load_b32 v8, v[2:3], off
	v_add_co_u32 v4, vcc_lo, s4, v4
	s_wait_alu 0xfffd
	v_add_co_ci_u32_e64 v5, null, s5, v5, vcc_lo
	s_wait_loadcnt 0x0
	v_mul_f32_e32 v7, v8, v7
	global_store_b32 v[2:3], v7, off
	global_load_b32 v2, v[4:5], off
	s_wait_loadcnt 0x0
	v_mul_f32_e32 v7, v2, v15
	v_lshlrev_b64_e32 v[2:3], 2, v[0:1]
	v_add_nc_u32_e32 v0, s2, v0
	s_delay_alu instid0(VALU_DEP_3) | instskip(NEXT) | instid1(VALU_DEP_3)
	v_mul_f32_e32 v7, v7, v36
	v_add_co_u32 v2, vcc_lo, s4, v2
	s_wait_alu 0xfffd
	s_delay_alu instid0(VALU_DEP_4)
	v_add_co_ci_u32_e64 v3, null, s5, v3, vcc_lo
	global_store_b32 v[4:5], v7, off
	global_load_b32 v4, v[2:3], off
	s_wait_loadcnt 0x0
	v_mul_f32_e32 v7, v4, v15
	v_lshlrev_b64_e32 v[4:5], 2, v[0:1]
	s_delay_alu instid0(VALU_DEP_2) | instskip(NEXT) | instid1(VALU_DEP_2)
	v_dual_mul_f32 v7, v7, v43 :: v_dual_add_nc_u32 v0, s2, v0
	v_add_co_u32 v4, vcc_lo, s4, v4
	s_wait_alu 0xfffd
	s_delay_alu instid0(VALU_DEP_3)
	v_add_co_ci_u32_e64 v5, null, s5, v5, vcc_lo
	global_store_b32 v[2:3], v7, off
	global_load_b32 v2, v[4:5], off
	s_wait_loadcnt 0x0
	v_mul_f32_e32 v7, v2, v25
	v_lshlrev_b64_e32 v[2:3], 2, v[0:1]
	v_add_nc_u32_e32 v0, s2, v0
	s_delay_alu instid0(VALU_DEP_3) | instskip(NEXT) | instid1(VALU_DEP_3)
	v_mul_f32_e32 v6, v7, v6
	v_add_co_u32 v2, vcc_lo, s4, v2
	s_wait_alu 0xfffd
	s_delay_alu instid0(VALU_DEP_4)
	v_add_co_ci_u32_e64 v3, null, s5, v3, vcc_lo
	global_store_b32 v[4:5], v6, off
	v_lshlrev_b64_e32 v[0:1], 2, v[0:1]
	global_load_b32 v4, v[2:3], off
	v_add_co_u32 v0, vcc_lo, s4, v0
	s_wait_alu 0xfffd
	v_add_co_ci_u32_e64 v1, null, s5, v1, vcc_lo
	s_wait_loadcnt 0x0
	v_mul_f32_e32 v4, v4, v24
	s_delay_alu instid0(VALU_DEP_1) | instskip(SKIP_4) | instid1(VALU_DEP_1)
	v_mul_f32_e32 v4, v4, v15
	global_store_b32 v[2:3], v4, off
	global_load_b32 v2, v[0:1], off
	s_wait_loadcnt 0x0
	v_mul_f32_e32 v2, v2, v14
	v_mul_f32_e32 v2, v2, v23
	global_store_b32 v[0:1], v2, off
	s_endpgm
	.section	.rodata,"a",@progbits
	.p2align	6, 0x0
	.amdhsa_kernel _Z12ratx4_kernelIfEvPKT_PS0_S3_
		.amdhsa_group_segment_fixed_size 0
		.amdhsa_private_segment_fixed_size 0
		.amdhsa_kernarg_size 280
		.amdhsa_user_sgpr_count 2
		.amdhsa_user_sgpr_dispatch_ptr 0
		.amdhsa_user_sgpr_queue_ptr 0
		.amdhsa_user_sgpr_kernarg_segment_ptr 1
		.amdhsa_user_sgpr_dispatch_id 0
		.amdhsa_user_sgpr_private_segment_size 0
		.amdhsa_wavefront_size32 1
		.amdhsa_uses_dynamic_stack 0
		.amdhsa_enable_private_segment 0
		.amdhsa_system_sgpr_workgroup_id_x 1
		.amdhsa_system_sgpr_workgroup_id_y 0
		.amdhsa_system_sgpr_workgroup_id_z 0
		.amdhsa_system_sgpr_workgroup_info 0
		.amdhsa_system_vgpr_workitem_id 0
		.amdhsa_next_free_vgpr 86
		.amdhsa_next_free_sgpr 7
		.amdhsa_reserve_vcc 1
		.amdhsa_float_round_mode_32 0
		.amdhsa_float_round_mode_16_64 0
		.amdhsa_float_denorm_mode_32 3
		.amdhsa_float_denorm_mode_16_64 3
		.amdhsa_fp16_overflow 0
		.amdhsa_workgroup_processor_mode 1
		.amdhsa_memory_ordered 1
		.amdhsa_forward_progress 1
		.amdhsa_inst_pref_size 119
		.amdhsa_round_robin_scheduling 0
		.amdhsa_exception_fp_ieee_invalid_op 0
		.amdhsa_exception_fp_denorm_src 0
		.amdhsa_exception_fp_ieee_div_zero 0
		.amdhsa_exception_fp_ieee_overflow 0
		.amdhsa_exception_fp_ieee_underflow 0
		.amdhsa_exception_fp_ieee_inexact 0
		.amdhsa_exception_int_div_zero 0
	.end_amdhsa_kernel
	.section	.text._Z12ratx4_kernelIfEvPKT_PS0_S3_,"axG",@progbits,_Z12ratx4_kernelIfEvPKT_PS0_S3_,comdat
.Lfunc_end15:
	.size	_Z12ratx4_kernelIfEvPKT_PS0_S3_, .Lfunc_end15-_Z12ratx4_kernelIfEvPKT_PS0_S3_
                                        ; -- End function
	.set _Z12ratx4_kernelIfEvPKT_PS0_S3_.num_vgpr, 86
	.set _Z12ratx4_kernelIfEvPKT_PS0_S3_.num_agpr, 0
	.set _Z12ratx4_kernelIfEvPKT_PS0_S3_.numbered_sgpr, 7
	.set _Z12ratx4_kernelIfEvPKT_PS0_S3_.num_named_barrier, 0
	.set _Z12ratx4_kernelIfEvPKT_PS0_S3_.private_seg_size, 0
	.set _Z12ratx4_kernelIfEvPKT_PS0_S3_.uses_vcc, 1
	.set _Z12ratx4_kernelIfEvPKT_PS0_S3_.uses_flat_scratch, 0
	.set _Z12ratx4_kernelIfEvPKT_PS0_S3_.has_dyn_sized_stack, 0
	.set _Z12ratx4_kernelIfEvPKT_PS0_S3_.has_recursion, 0
	.set _Z12ratx4_kernelIfEvPKT_PS0_S3_.has_indirect_call, 0
	.section	.AMDGPU.csdata,"",@progbits
; Kernel info:
; codeLenInByte = 15120
; TotalNumSgprs: 9
; NumVgprs: 86
; ScratchSize: 0
; MemoryBound: 0
; FloatMode: 240
; IeeeMode: 1
; LDSByteSize: 0 bytes/workgroup (compile time only)
; SGPRBlocks: 0
; VGPRBlocks: 10
; NumSGPRsForWavesPerEU: 9
; NumVGPRsForWavesPerEU: 86
; Occupancy: 16
; WaveLimiterHint : 0
; COMPUTE_PGM_RSRC2:SCRATCH_EN: 0
; COMPUTE_PGM_RSRC2:USER_SGPR: 2
; COMPUTE_PGM_RSRC2:TRAP_HANDLER: 0
; COMPUTE_PGM_RSRC2:TGID_X_EN: 1
; COMPUTE_PGM_RSRC2:TGID_Y_EN: 0
; COMPUTE_PGM_RSRC2:TGID_Z_EN: 0
; COMPUTE_PGM_RSRC2:TIDIG_COMP_CNT: 0
	.section	.text._Z11qssa_kernelIfEvPT_S1_S1_,"axG",@progbits,_Z11qssa_kernelIfEvPT_S1_S1_,comdat
	.protected	_Z11qssa_kernelIfEvPT_S1_S1_ ; -- Begin function _Z11qssa_kernelIfEvPT_S1_S1_
	.globl	_Z11qssa_kernelIfEvPT_S1_S1_
	.p2align	8
	.type	_Z11qssa_kernelIfEvPT_S1_S1_,@function
_Z11qssa_kernelIfEvPT_S1_S1_:           ; @_Z11qssa_kernelIfEvPT_S1_S1_
; %bb.0:
	s_clause 0x1
	s_load_b32 s2, s[0:1], 0x24
	s_load_b96 s[4:6], s[0:1], 0x10
	s_wait_kmcnt 0x0
	s_and_b32 s7, s2, 0xffff
	s_load_b128 s[0:3], s[0:1], 0x0
	s_mul_i32 s6, s6, s7
	s_mul_i32 s7, ttmp9, s7
	s_mul_i32 s8, s6, 56
	s_mul_i32 s10, s6, 37
	v_add3_u32 v0, s8, s7, v0
	v_mov_b32_e32 v1, 0
	s_mul_i32 s8, s6, 15
	s_mul_i32 s11, s6, 10
	;; [unrolled: 1-line block ×4, first 2 shown]
	v_lshlrev_b64_e32 v[4:5], 2, v[0:1]
	v_add_nc_u32_e32 v0, s6, v0
	s_lshl_b32 s13, s6, 1
	s_mul_i32 s14, s6, 3
	s_mul_i32 s16, s6, 30
	s_lshl_b32 s12, s6, 3
	v_mad_co_u64_u32 v[8:9], null, 0x55, s6, v[0:1]
	v_mov_b32_e32 v9, v1
	s_wait_kmcnt 0x0
	v_add_co_u32 v6, vcc_lo, s0, v4
	s_delay_alu instid0(VALU_DEP_1)
	v_add_co_ci_u32_e64 v7, null, s1, v5, vcc_lo
	v_add_co_u32 v24, vcc_lo, s2, v4
	s_wait_alu 0xfffd
	v_add_co_ci_u32_e64 v25, null, s3, v5, vcc_lo
	v_mad_co_u64_u32 v[4:5], null, s6, 36, v[8:9]
	v_lshlrev_b64_e32 v[2:3], 2, v[0:1]
	v_mov_b32_e32 v5, v1
	global_store_b32 v[6:7], v1, off
	s_mul_i32 s15, s6, 11
	s_mul_i32 s17, s6, 17
	;; [unrolled: 1-line block ×3, first 2 shown]
	s_wait_alu 0xfffe
	v_add_nc_u32_e32 v0, s8, v4
	v_lshlrev_b64_e32 v[12:13], 2, v[8:9]
	v_lshlrev_b64_e32 v[10:11], 2, v[4:5]
	v_add_co_u32 v8, vcc_lo, s0, v2
	s_delay_alu instid0(VALU_DEP_4)
	v_mad_co_u64_u32 v[4:5], null, s6, 12, v[0:1]
	v_mov_b32_e32 v5, v1
	s_wait_alu 0xfffd
	v_add_co_ci_u32_e64 v9, null, s1, v3, vcc_lo
	v_add_co_u32 v14, vcc_lo, s0, v12
	s_wait_alu 0xfffd
	v_add_co_ci_u32_e64 v15, null, s1, v13, vcc_lo
	v_mad_co_u64_u32 v[22:23], null, 0xffffff54, s6, v[4:5]
	global_store_b32 v[8:9], v1, off
	v_lshlrev_b64_e32 v[8:9], 2, v[0:1]
	global_store_b32 v[14:15], v1, off
	v_add_co_u32 v14, vcc_lo, s0, v10
	s_wait_alu 0xfffd
	v_add_co_ci_u32_e64 v15, null, s1, v11, vcc_lo
	v_add_co_u32 v16, vcc_lo, s2, v8
	v_add_nc_u32_e32 v0, s6, v22
	s_wait_alu 0xfffd
	v_add_co_ci_u32_e64 v17, null, s3, v9, vcc_lo
	global_store_b32 v[14:15], v1, off
	global_store_b32 v[16:17], v1, off
	v_lshlrev_b64_e32 v[14:15], 2, v[0:1]
	v_add_nc_u32_e32 v0, s6, v0
	v_lshlrev_b64_e32 v[6:7], 2, v[4:5]
	v_mov_b32_e32 v23, v1
	s_delay_alu instid0(VALU_DEP_2) | instskip(SKIP_1) | instid1(VALU_DEP_3)
	v_add_co_u32 v4, vcc_lo, s0, v6
	s_wait_alu 0xfffd
	v_add_co_ci_u32_e64 v5, null, s1, v7, vcc_lo
	s_delay_alu instid0(VALU_DEP_3) | instskip(SKIP_3) | instid1(VALU_DEP_1)
	v_lshlrev_b64_e32 v[22:23], 2, v[22:23]
	global_store_b32 v[4:5], v1, off
	v_lshlrev_b64_e32 v[4:5], 2, v[0:1]
	v_add_nc_u32_e32 v0, s6, v0
	v_lshlrev_b64_e32 v[20:21], 2, v[0:1]
	v_add_nc_u32_e32 v0, s6, v0
	s_delay_alu instid0(VALU_DEP_4) | instskip(SKIP_2) | instid1(VALU_DEP_3)
	v_add_co_u32 v46, vcc_lo, s0, v4
	s_wait_alu 0xfffd
	v_add_co_ci_u32_e64 v47, null, s1, v5, vcc_lo
	v_lshlrev_b64_e32 v[18:19], 2, v[0:1]
	v_add_nc_u32_e32 v0, s6, v0
	v_add_co_u32 v30, vcc_lo, s2, v4
	s_wait_alu 0xfffd
	v_add_co_ci_u32_e64 v31, null, s3, v5, vcc_lo
	s_delay_alu instid0(VALU_DEP_3) | instskip(SKIP_1) | instid1(VALU_DEP_1)
	v_lshlrev_b64_e32 v[16:17], 2, v[0:1]
	v_add_nc_u32_e32 v0, s6, v0
	v_lshlrev_b64_e32 v[26:27], 2, v[0:1]
	v_add_nc_u32_e32 v0, s10, v0
	s_delay_alu instid0(VALU_DEP_1) | instskip(SKIP_1) | instid1(VALU_DEP_1)
	v_lshlrev_b64_e32 v[4:5], 2, v[0:1]
	v_add_nc_u32_e32 v0, s11, v0
	v_mad_co_u64_u32 v[32:33], null, s6, 18, v[0:1]
	v_mov_b32_e32 v33, v1
	v_lshlrev_b64_e32 v[28:29], 2, v[0:1]
	s_delay_alu instid0(VALU_DEP_3) | instskip(NEXT) | instid1(VALU_DEP_3)
	v_add_nc_u32_e32 v0, s9, v32
	v_lshlrev_b64_e32 v[32:33], 2, v[32:33]
	s_delay_alu instid0(VALU_DEP_1) | instskip(SKIP_1) | instid1(VALU_DEP_2)
	v_add_co_u32 v42, vcc_lo, s0, v32
	s_wait_alu 0xfffd
	v_add_co_ci_u32_e64 v43, null, s1, v33, vcc_lo
	v_add_co_u32 v36, vcc_lo, s2, v32
	s_wait_alu 0xfffd
	v_add_co_ci_u32_e64 v37, null, s3, v33, vcc_lo
	v_lshlrev_b64_e32 v[32:33], 2, v[0:1]
	v_add_nc_u32_e32 v0, s7, v0
	s_delay_alu instid0(VALU_DEP_2) | instskip(SKIP_1) | instid1(VALU_DEP_3)
	v_add_co_u32 v44, vcc_lo, s0, v32
	s_wait_alu 0xfffd
	v_add_co_ci_u32_e64 v45, null, s1, v33, vcc_lo
	v_add_co_u32 v40, vcc_lo, s2, v32
	s_wait_alu 0xfffd
	v_add_co_ci_u32_e64 v41, null, s3, v33, vcc_lo
	v_lshlrev_b64_e32 v[32:33], 2, v[0:1]
	v_add_nc_u32_e32 v0, s9, v0
	s_delay_alu instid0(VALU_DEP_1) | instskip(SKIP_1) | instid1(VALU_DEP_1)
	v_mad_co_u64_u32 v[34:35], null, 0xffffffcf, s6, v[0:1]
	v_mov_b32_e32 v35, v1
	v_lshlrev_b64_e32 v[38:39], 2, v[34:35]
	s_delay_alu instid0(VALU_DEP_1) | instskip(SKIP_1) | instid1(VALU_DEP_2)
	v_add_co_u32 v38, vcc_lo, s4, v38
	s_wait_alu 0xfffd
	v_add_co_ci_u32_e64 v39, null, s5, v39, vcc_lo
	v_add_co_u32 v48, vcc_lo, s0, v22
	s_wait_alu 0xfffd
	v_add_co_ci_u32_e64 v49, null, s1, v23, vcc_lo
	s_clause 0x1
	global_load_b32 v48, v[48:49], off
	global_load_b32 v82, v[46:47], off
	v_add_co_u32 v46, vcc_lo, s0, v20
	s_wait_alu 0xfffd
	v_add_co_ci_u32_e64 v47, null, s1, v21, vcc_lo
	global_load_b32 v49, v[46:47], off
	v_add_co_u32 v46, vcc_lo, s0, v16
	s_wait_alu 0xfffd
	v_add_co_ci_u32_e64 v47, null, s1, v17, vcc_lo
	;; [unrolled: 4-line block ×3, first 2 shown]
	s_clause 0x1
	global_load_b32 v50, v[46:47], off
	global_load_b32 v83, v[46:47], off
	v_add_co_u32 v46, vcc_lo, s0, v14
	s_wait_alu 0xfffd
	v_add_co_ci_u32_e64 v47, null, s1, v15, vcc_lo
	s_clause 0x1
	global_load_b32 v51, v[46:47], off
	global_load_b32 v84, v[46:47], off
	s_wait_loadcnt 0x1
	v_add_f32_e32 v46, v48, v51
	s_delay_alu instid0(VALU_DEP_1) | instskip(NEXT) | instid1(VALU_DEP_1)
	v_add_f32_e32 v46, v46, v82
	v_add_f32_e32 v48, v46, v49
	v_add_co_u32 v46, vcc_lo, s0, v4
	s_wait_alu 0xfffd
	v_add_co_ci_u32_e64 v47, null, s1, v5, vcc_lo
	s_clause 0x2
	global_load_b32 v47, v[46:47], off
	global_load_b32 v46, v[42:43], off
	;; [unrolled: 1-line block ×3, first 2 shown]
	v_add_co_u32 v42, vcc_lo, s0, v28
	s_wait_alu 0xfffd
	v_add_co_ci_u32_e64 v43, null, s1, v29, vcc_lo
	s_clause 0x1
	global_load_b32 v45, v[42:43], off
	global_load_b32 v85, v[42:43], off
	v_add_co_u32 v42, vcc_lo, s0, v26
	v_add_f32_e32 v48, v48, v50
	s_wait_alu 0xfffd
	v_add_co_ci_u32_e64 v43, null, s1, v27, vcc_lo
	s_delay_alu instid0(VALU_DEP_2)
	v_add_f32_e32 v35, v48, v35
	s_clause 0x1
	global_load_b32 v48, v[42:43], off
	global_load_b32 v87, v[42:43], off
	v_add_co_u32 v42, vcc_lo, s2, v20
	s_wait_alu 0xfffd
	v_add_co_ci_u32_e64 v43, null, s3, v21, vcc_lo
	s_wait_loadcnt 0x1
	v_add_f32_e32 v35, v35, v48
	global_load_b32 v48, v[42:43], off
	v_add_co_u32 v42, vcc_lo, s2, v16
	s_wait_alu 0xfffd
	v_add_co_ci_u32_e64 v43, null, s3, v17, vcc_lo
	v_add_f32_e32 v35, v35, v47
	s_clause 0x1
	global_load_b32 v47, v[42:43], off
	global_load_b32 v97, v[24:25], off
	v_add_co_u32 v24, vcc_lo, s2, v4
	s_wait_alu 0xfffd
	v_add_co_ci_u32_e64 v25, null, s3, v5, vcc_lo
	v_add_f32_e32 v35, v35, v45
	global_load_b32 v45, v[24:25], off
	v_add_co_u32 v24, vcc_lo, s2, v32
	s_wait_alu 0xfffd
	v_add_co_ci_u32_e64 v25, null, s3, v33, vcc_lo
	v_add_f32_e32 v35, v35, v46
	global_load_b32 v91, v[24:25], off
	v_lshlrev_b64_e32 v[24:25], 2, v[0:1]
	v_add_f32_e32 v35, v35, v44
	s_delay_alu instid0(VALU_DEP_2) | instskip(SKIP_1) | instid1(VALU_DEP_3)
	v_add_co_u32 v42, vcc_lo, s2, v24
	s_wait_alu 0xfffd
	v_add_co_ci_u32_e64 v43, null, s3, v25, vcc_lo
	s_clause 0x1
	global_load_b32 v0, v[42:43], off
	global_load_b32 v96, v[42:43], off
	s_wait_loadcnt 0x2
	v_add_f32_e32 v35, v35, v91
	s_wait_loadcnt 0x1
	s_delay_alu instid0(VALU_DEP_1) | instskip(NEXT) | instid1(VALU_DEP_1)
	v_add_f32_e32 v0, v35, v0
	v_div_scale_f32 v35, null, v0, v0, 1.0
	s_delay_alu instid0(VALU_DEP_1) | instskip(NEXT) | instid1(TRANS32_DEP_1)
	v_rcp_f32_e32 v42, v35
	v_fma_f32 v43, -v35, v42, 1.0
	s_delay_alu instid0(VALU_DEP_1) | instskip(SKIP_1) | instid1(VALU_DEP_1)
	v_fmac_f32_e32 v42, v43, v42
	v_div_scale_f32 v43, vcc_lo, 1.0, v0, 1.0
	v_mul_f32_e32 v44, v43, v42
	s_delay_alu instid0(VALU_DEP_1) | instskip(NEXT) | instid1(VALU_DEP_1)
	v_fma_f32 v46, -v35, v44, v43
	v_fmac_f32_e32 v44, v46, v42
	s_delay_alu instid0(VALU_DEP_1) | instskip(SKIP_1) | instid1(VALU_DEP_1)
	v_fma_f32 v35, -v35, v44, v43
	s_wait_alu 0xfffd
	v_div_fmas_f32 v35, v35, v42, v44
	v_add_co_u32 v42, vcc_lo, s2, v22
	s_wait_alu 0xfffd
	v_add_co_ci_u32_e64 v43, null, s3, v23, vcc_lo
	s_clause 0x3
	global_load_b32 v42, v[42:43], off
	global_load_b32 v36, v[36:37], off
	;; [unrolled: 1-line block ×4, first 2 shown]
	v_div_fixup_f32 v35, v35, v0, 1.0
	s_wait_loadcnt 0x3
	v_add_f32_e32 v40, v42, v48
	s_delay_alu instid0(VALU_DEP_1) | instskip(NEXT) | instid1(VALU_DEP_1)
	v_add_f32_e32 v40, v40, v47
	v_add_f32_e32 v40, v40, v97
	s_delay_alu instid0(VALU_DEP_1) | instskip(SKIP_1) | instid1(VALU_DEP_1)
	v_add_f32_e32 v40, v40, v45
	s_wait_loadcnt 0x2
	v_add_f32_e32 v30, v40, v36
	s_wait_loadcnt 0x1
	s_delay_alu instid0(VALU_DEP_1) | instskip(NEXT) | instid1(VALU_DEP_1)
	v_add_f32_e32 v30, v30, v37
	v_mul_f32_e32 v0, v35, v30
	v_add_co_u32 v30, vcc_lo, s0, v32
	s_wait_alu 0xfffd
	v_add_co_ci_u32_e64 v31, null, s1, v33, vcc_lo
	v_add_co_u32 v24, vcc_lo, s0, v24
	s_wait_alu 0xfffd
	v_add_co_ci_u32_e64 v25, null, s1, v25, vcc_lo
	global_store_b32 v[38:39], v0, off
	s_clause 0x1
	global_load_b32 v104, v[30:31], off
	global_load_b32 v92, v[24:25], off
	v_add_nc_u32_e32 v0, s13, v34
	s_delay_alu instid0(VALU_DEP_1) | instskip(SKIP_1) | instid1(VALU_DEP_2)
	v_lshlrev_b64_e32 v[32:33], 2, v[0:1]
	v_add_nc_u32_e32 v0, s6, v0
	v_add_co_u32 v32, vcc_lo, s4, v32
	s_wait_alu 0xfffd
	s_delay_alu instid0(VALU_DEP_3) | instskip(SKIP_4) | instid1(VALU_DEP_2)
	v_add_co_ci_u32_e64 v33, null, s5, v33, vcc_lo
	s_wait_loadcnt 0x1
	v_add_f32_e32 v24, v90, v104
	s_wait_loadcnt 0x0
	v_mul_f32_e32 v30, v35, v92
	v_mul_f32_e32 v24, v35, v24
	global_store_b32 v[32:33], v24, off
	v_lshlrev_b64_e32 v[24:25], 2, v[0:1]
	v_add_nc_u32_e32 v0, s6, v0
	s_delay_alu instid0(VALU_DEP_2) | instskip(SKIP_1) | instid1(VALU_DEP_3)
	v_add_co_u32 v24, vcc_lo, s4, v24
	s_wait_alu 0xfffd
	v_add_co_ci_u32_e64 v25, null, s5, v25, vcc_lo
	global_store_b32 v[24:25], v30, off
	v_add_co_u32 v24, vcc_lo, s2, v26
	s_wait_alu 0xfffd
	v_add_co_ci_u32_e64 v25, null, s3, v27, vcc_lo
	v_add_co_u32 v26, vcc_lo, s2, v28
	s_wait_alu 0xfffd
	v_add_co_ci_u32_e64 v27, null, s3, v29, vcc_lo
	v_lshlrev_b64_e32 v[28:29], 2, v[0:1]
	s_clause 0x2
	global_load_b32 v30, v[24:25], off
	global_load_b32 v86, v[26:27], off
	;; [unrolled: 1-line block ×3, first 2 shown]
	v_add_nc_u32_e32 v0, s14, v0
	v_add_co_u32 v28, vcc_lo, s4, v28
	s_wait_alu 0xfffd
	v_add_co_ci_u32_e64 v29, null, s5, v29, vcc_lo
	v_add_co_u32 v24, vcc_lo, s2, v18
	s_wait_alu 0xfffd
	v_add_co_ci_u32_e64 v25, null, s3, v19, vcc_lo
	s_clause 0x1
	global_load_b32 v31, v[24:25], off
	global_load_b32 v94, v[24:25], off
	v_add_co_u32 v24, vcc_lo, s2, v14
	s_wait_alu 0xfffd
	v_add_co_ci_u32_e64 v25, null, s3, v15, vcc_lo
	s_clause 0x2
	global_load_b32 v32, v[24:25], off
	global_load_b32 v95, v[24:25], off
	;; [unrolled: 1-line block ×3, first 2 shown]
	s_wait_loadcnt 0x2
	v_add_f32_e32 v24, v32, v31
	s_wait_loadcnt 0x0
	v_mul_f32_e32 v26, v35, v26
	s_delay_alu instid0(VALU_DEP_2) | instskip(NEXT) | instid1(VALU_DEP_1)
	v_add_f32_e32 v24, v24, v30
	v_mul_f32_e32 v24, v35, v24
	global_store_b32 v[28:29], v24, off
	v_lshlrev_b64_e32 v[24:25], 2, v[0:1]
	v_add_nc_u32_e32 v0, s16, v0
	s_delay_alu instid0(VALU_DEP_2) | instskip(SKIP_1) | instid1(VALU_DEP_3)
	v_add_co_u32 v24, vcc_lo, s4, v24
	s_wait_alu 0xfffd
	v_add_co_ci_u32_e64 v25, null, s5, v25, vcc_lo
	global_store_b32 v[24:25], v26, off
	v_lshlrev_b64_e32 v[24:25], 2, v[0:1]
	v_add_nc_u32_e32 v0, s6, v0
	s_delay_alu instid0(VALU_DEP_2) | instskip(SKIP_1) | instid1(VALU_DEP_3)
	v_add_co_u32 v26, vcc_lo, s0, v24
	s_wait_alu 0xfffd
	v_add_co_ci_u32_e64 v27, null, s1, v25, vcc_lo
	v_add_co_u32 v50, vcc_lo, s2, v24
	s_wait_alu 0xfffd
	v_add_co_ci_u32_e64 v51, null, s3, v25, vcc_lo
	v_lshlrev_b64_e32 v[24:25], 2, v[0:1]
	v_add_nc_u32_e32 v0, s6, v0
	s_delay_alu instid0(VALU_DEP_1) | instskip(SKIP_1) | instid1(VALU_DEP_4)
	v_lshlrev_b64_e32 v[30:31], 2, v[0:1]
	v_add_nc_u32_e32 v0, s6, v0
	v_add_co_u32 v80, vcc_lo, s0, v24
	s_wait_alu 0xfffd
	v_add_co_ci_u32_e64 v81, null, s1, v25, vcc_lo
	s_delay_alu instid0(VALU_DEP_3) | instskip(SKIP_4) | instid1(VALU_DEP_3)
	v_lshlrev_b64_e32 v[42:43], 2, v[0:1]
	v_add_nc_u32_e32 v0, s6, v0
	v_add_co_u32 v52, vcc_lo, s2, v24
	s_wait_alu 0xfffd
	v_add_co_ci_u32_e64 v53, null, s3, v25, vcc_lo
	v_lshlrev_b64_e32 v[40:41], 2, v[0:1]
	v_add_nc_u32_e32 v0, s6, v0
	s_delay_alu instid0(VALU_DEP_1) | instskip(SKIP_1) | instid1(VALU_DEP_1)
	v_lshlrev_b64_e32 v[38:39], 2, v[0:1]
	v_add_nc_u32_e32 v0, s13, v0
	v_lshlrev_b64_e32 v[36:37], 2, v[0:1]
	v_add_nc_u32_e32 v0, s6, v0
	s_delay_alu instid0(VALU_DEP_1) | instskip(SKIP_1) | instid1(VALU_DEP_2)
	v_mad_co_u64_u32 v[100:101], null, s6, 35, v[0:1]
	v_lshlrev_b64_e32 v[24:25], 2, v[0:1]
	v_dual_mov_b32 v101, v1 :: v_dual_add_nc_u32 v0, s8, v100
	s_delay_alu instid0(VALU_DEP_2) | instskip(SKIP_1) | instid1(VALU_DEP_3)
	v_add_co_u32 v98, vcc_lo, s0, v24
	s_wait_alu 0xfffd
	v_add_co_ci_u32_e64 v99, null, s1, v25, vcc_lo
	v_add_co_u32 v56, vcc_lo, s2, v24
	s_wait_alu 0xfffd
	v_add_co_ci_u32_e64 v57, null, s3, v25, vcc_lo
	v_lshlrev_b64_e32 v[24:25], 2, v[0:1]
	v_add_nc_u32_e32 v0, s9, v0
	s_delay_alu instid0(VALU_DEP_1) | instskip(SKIP_1) | instid1(VALU_DEP_1)
	v_mad_co_u64_u32 v[28:29], null, s6, 53, v[0:1]
	v_mov_b32_e32 v29, v1
	v_mad_co_u64_u32 v[70:71], null, 0xffffff96, s6, v[28:29]
	v_lshlrev_b64_e32 v[32:33], 2, v[28:29]
	v_lshlrev_b64_e32 v[28:29], 2, v[0:1]
	s_delay_alu instid0(VALU_DEP_3) | instskip(NEXT) | instid1(VALU_DEP_3)
	v_add_nc_u32_e32 v0, s12, v70
	v_add_co_u32 v102, vcc_lo, s0, v32
	s_wait_alu 0xfffd
	s_delay_alu instid0(VALU_DEP_4) | instskip(NEXT) | instid1(VALU_DEP_3)
	v_add_co_ci_u32_e64 v103, null, s1, v33, vcc_lo
	v_lshlrev_b64_e32 v[48:49], 2, v[0:1]
	v_add_nc_u32_e32 v0, s6, v0
	v_add_co_u32 v54, vcc_lo, s2, v32
	s_wait_alu 0xfffd
	v_add_co_ci_u32_e64 v55, null, s3, v33, vcc_lo
	s_delay_alu instid0(VALU_DEP_3) | instskip(SKIP_1) | instid1(VALU_DEP_1)
	v_lshlrev_b64_e32 v[34:35], 2, v[0:1]
	v_add_nc_u32_e32 v0, s6, v0
	v_lshlrev_b64_e32 v[32:33], 2, v[0:1]
	v_add_nc_u32_e32 v0, s15, v0
	s_delay_alu instid0(VALU_DEP_1) | instskip(SKIP_1) | instid1(VALU_DEP_2)
	v_lshlrev_b64_e32 v[44:45], 2, v[0:1]
	v_add_nc_u32_e32 v0, s10, v0
	v_add_co_u32 v72, vcc_lo, s2, v44
	s_wait_alu 0xfffd
	s_delay_alu instid0(VALU_DEP_3)
	v_add_co_ci_u32_e64 v73, null, s3, v45, vcc_lo
	v_add_co_u32 v62, vcc_lo, s0, v44
	s_wait_alu 0xfffd
	v_add_co_ci_u32_e64 v63, null, s1, v45, vcc_lo
	v_lshlrev_b64_e32 v[44:45], 2, v[0:1]
	v_add_nc_u32_e32 v0, s9, v0
	s_delay_alu instid0(VALU_DEP_2) | instskip(SKIP_1) | instid1(VALU_DEP_3)
	v_add_co_u32 v74, vcc_lo, s2, v44
	s_wait_alu 0xfffd
	v_add_co_ci_u32_e64 v75, null, s3, v45, vcc_lo
	v_add_co_u32 v60, vcc_lo, s0, v44
	s_wait_alu 0xfffd
	v_add_co_ci_u32_e64 v61, null, s1, v45, vcc_lo
	v_lshlrev_b64_e32 v[44:45], 2, v[0:1]
	v_add_nc_u32_e32 v0, s13, v0
	s_delay_alu instid0(VALU_DEP_1) | instskip(SKIP_2) | instid1(VALU_DEP_3)
	v_mad_co_u64_u32 v[58:59], null, s6, 5, v[0:1]
	v_mov_b32_e32 v59, v1
	v_lshlrev_b64_e32 v[46:47], 2, v[0:1]
	v_add_nc_u32_e32 v0, s16, v58
	s_delay_alu instid0(VALU_DEP_3) | instskip(SKIP_1) | instid1(VALU_DEP_1)
	v_lshlrev_b64_e32 v[58:59], 2, v[58:59]
	s_lshl_b32 s16, s6, 2
	v_add_co_u32 v76, vcc_lo, s2, v58
	s_wait_alu 0xfffd
	s_delay_alu instid0(VALU_DEP_2) | instskip(SKIP_4) | instid1(VALU_DEP_1)
	v_add_co_ci_u32_e64 v77, null, s3, v59, vcc_lo
	v_add_co_u32 v66, vcc_lo, s0, v58
	s_wait_alu 0xfffd
	v_add_co_ci_u32_e64 v67, null, s1, v59, vcc_lo
	v_lshlrev_b64_e32 v[58:59], 2, v[0:1]
	v_add_co_u32 v78, vcc_lo, s2, v58
	s_wait_alu 0xfffd
	s_delay_alu instid0(VALU_DEP_2)
	v_add_co_ci_u32_e64 v79, null, s3, v59, vcc_lo
	v_add_co_u32 v68, vcc_lo, s0, v58
	s_wait_alu 0xfffd
	v_add_co_ci_u32_e64 v69, null, s1, v59, vcc_lo
	v_mad_co_u64_u32 v[58:59], null, 0xffffff76, s6, v[0:1]
	v_mov_b32_e32 v59, v1
	s_delay_alu instid0(VALU_DEP_1)
	v_lshlrev_b64_e32 v[64:65], 2, v[58:59]
	s_clause 0x1
	global_load_b32 v0, v[26:27], off
	global_load_b32 v59, v[80:81], off
	v_add_co_u32 v64, vcc_lo, s4, v64
	s_wait_alu 0xfffd
	v_add_co_ci_u32_e64 v65, null, s5, v65, vcc_lo
	v_add_co_u32 v26, vcc_lo, s0, v40
	s_wait_alu 0xfffd
	v_add_co_ci_u32_e64 v27, null, s1, v41, vcc_lo
	global_load_b32 v80, v[26:27], off
	v_add_co_u32 v26, vcc_lo, s0, v38
	s_wait_alu 0xfffd
	v_add_co_ci_u32_e64 v27, null, s1, v39, vcc_lo
	global_load_b32 v105, v[26:27], off
	v_add_co_u32 v26, vcc_lo, s0, v42
	s_wait_alu 0xfffd
	v_add_co_ci_u32_e64 v27, null, s1, v43, vcc_lo
	s_clause 0x1
	global_load_b32 v71, v[26:27], off
	global_load_b32 v88, v[26:27], off
	v_add_co_u32 v26, vcc_lo, s0, v30
	s_wait_alu 0xfffd
	v_add_co_ci_u32_e64 v27, null, s1, v31, vcc_lo
	s_clause 0x1
	global_load_b32 v81, v[26:27], off
	global_load_b32 v89, v[26:27], off
	v_add_co_u32 v26, vcc_lo, s0, v36
	s_wait_alu 0xfffd
	v_add_co_ci_u32_e64 v27, null, s1, v37, vcc_lo
	s_wait_loadcnt 0x6
	v_add_f32_e32 v0, v0, v59
	s_wait_loadcnt 0x1
	s_delay_alu instid0(VALU_DEP_1) | instskip(NEXT) | instid1(VALU_DEP_1)
	v_add_f32_e32 v0, v0, v81
	v_add_f32_e32 v0, v0, v71
	s_clause 0x1
	global_load_b32 v59, v[26:27], off
	global_load_b32 v71, v[98:99], off
	v_lshlrev_b64_e32 v[26:27], 2, v[100:101]
	v_add_f32_e32 v0, v0, v80
	s_delay_alu instid0(VALU_DEP_2) | instskip(SKIP_1) | instid1(VALU_DEP_3)
	v_add_co_u32 v80, vcc_lo, s0, v26
	s_wait_alu 0xfffd
	v_add_co_ci_u32_e64 v81, null, s1, v27, vcc_lo
	s_delay_alu instid0(VALU_DEP_3)
	v_add_f32_e32 v100, v0, v105
	global_load_b32 v98, v[80:81], off
	v_add_co_u32 v80, vcc_lo, s0, v24
	s_wait_alu 0xfffd
	v_add_co_ci_u32_e64 v81, null, s1, v25, vcc_lo
	s_clause 0x1
	global_load_b32 v99, v[80:81], off
	global_load_b32 v0, v[102:103], off
	v_add_co_u32 v80, vcc_lo, s0, v28
	s_wait_alu 0xfffd
	v_add_co_ci_u32_e64 v81, null, s1, v29, vcc_lo
	v_add_f32_e32 v101, v104, v100
	s_clause 0x1
	global_load_b32 v100, v[80:81], off
	global_load_b32 v80, v[80:81], off
	s_wait_loadcnt 0x6
	v_add_f32_e32 v59, v59, v101
	s_wait_loadcnt 0x5
	s_delay_alu instid0(VALU_DEP_1) | instskip(SKIP_1) | instid1(VALU_DEP_1)
	v_add_f32_e32 v59, v71, v59
	v_mov_b32_e32 v71, v1
	v_lshlrev_b64_e32 v[70:71], 2, v[70:71]
	s_wait_loadcnt 0x4
	s_delay_alu instid0(VALU_DEP_3) | instskip(SKIP_2) | instid1(VALU_DEP_2)
	v_add_f32_e32 v59, v98, v59
	v_add_co_u32 v98, vcc_lo, s2, v32
	s_wait_loadcnt 0x3
	v_add_f32_e32 v59, v99, v59
	s_wait_alu 0xfffd
	v_add_co_ci_u32_e64 v99, null, s3, v33, vcc_lo
	s_clause 0x1
	global_load_b32 v104, v[98:99], off
	global_load_b32 v99, v[98:99], off
	s_wait_loadcnt 0x3
	v_add_f32_e32 v59, v100, v59
	v_add_co_u32 v100, vcc_lo, s2, v34
	s_wait_alu 0xfffd
	v_add_co_ci_u32_e64 v101, null, s3, v35, vcc_lo
	s_clause 0x1
	global_load_b32 v81, v[100:101], off
	global_load_b32 v100, v[100:101], off
	v_add_co_u32 v101, vcc_lo, s2, v48
	s_wait_alu 0xfffd
	v_add_co_ci_u32_e64 v102, null, s3, v49, vcc_lo
	v_add_f32_e32 v0, v0, v59
	s_clause 0x1
	global_load_b32 v59, v[101:102], off
	global_load_b32 v101, v[101:102], off
	v_add_co_u32 v102, vcc_lo, s2, v70
	s_wait_alu 0xfffd
	v_add_co_ci_u32_e64 v103, null, s3, v71, vcc_lo
	v_add_f32_e32 v0, v90, v0
	s_clause 0x1
	global_load_b32 v90, v[102:103], off
	global_load_b32 v102, v[102:103], off
	s_wait_loadcnt 0x1
	v_add_f32_e32 v0, v90, v0
	s_delay_alu instid0(VALU_DEP_1)
	v_add_f32_e32 v0, v59, v0
	s_clause 0x3
	global_load_b32 v59, v[72:73], off
	global_load_b32 v74, v[74:75], off
	global_load_b32 v75, v[76:77], off
	global_load_b32 v76, v[78:79], off
	v_add_co_u32 v72, vcc_lo, s2, v46
	s_wait_alu 0xfffd
	v_add_co_ci_u32_e64 v73, null, s3, v47, vcc_lo
	v_add_f32_e32 v0, v81, v0
	s_clause 0x1
	global_load_b32 v77, v[72:73], off
	global_load_b32 v81, v[72:73], off
	v_add_co_u32 v72, vcc_lo, s2, v44
	s_wait_alu 0xfffd
	v_add_co_ci_u32_e64 v73, null, s3, v45, vcc_lo
	s_clause 0x1
	global_load_b32 v78, v[72:73], off
	global_load_b32 v90, v[72:73], off
	v_add_f32_e32 v0, v104, v0
	s_wait_loadcnt 0x7
	s_delay_alu instid0(VALU_DEP_1) | instskip(SKIP_1) | instid1(VALU_DEP_1)
	v_add_f32_e32 v0, v59, v0
	s_wait_loadcnt 0x6
	v_add_f32_e32 v0, v74, v0
	s_wait_loadcnt 0x1
	s_delay_alu instid0(VALU_DEP_1) | instskip(NEXT) | instid1(VALU_DEP_1)
	v_add_f32_e32 v0, v78, v0
	v_add_f32_e32 v0, v77, v0
	s_delay_alu instid0(VALU_DEP_1) | instskip(NEXT) | instid1(VALU_DEP_1)
	v_add_f32_e32 v0, v75, v0
	v_add_f32_e32 v0, v76, v0
	s_delay_alu instid0(VALU_DEP_1) | instskip(NEXT) | instid1(VALU_DEP_1)
	v_div_scale_f32 v59, null, v0, v0, 1.0
	v_rcp_f32_e32 v72, v59
	s_delay_alu instid0(TRANS32_DEP_1) | instskip(NEXT) | instid1(VALU_DEP_1)
	v_fma_f32 v73, -v59, v72, 1.0
	v_fmac_f32_e32 v72, v73, v72
	v_div_scale_f32 v73, vcc_lo, 1.0, v0, 1.0
	s_delay_alu instid0(VALU_DEP_1) | instskip(NEXT) | instid1(VALU_DEP_1)
	v_mul_f32_e32 v74, v73, v72
	v_fma_f32 v75, -v59, v74, v73
	s_delay_alu instid0(VALU_DEP_1) | instskip(NEXT) | instid1(VALU_DEP_1)
	v_fmac_f32_e32 v74, v75, v72
	v_fma_f32 v59, -v59, v74, v73
	s_wait_alu 0xfffd
	s_delay_alu instid0(VALU_DEP_1)
	v_div_fmas_f32 v59, v59, v72, v74
	s_clause 0x1
	global_load_b32 v72, v[50:51], off
	global_load_b32 v52, v[52:53], off
	v_add_co_u32 v50, vcc_lo, s2, v40
	s_wait_alu 0xfffd
	v_add_co_ci_u32_e64 v51, null, s3, v41, vcc_lo
	global_load_b32 v53, v[50:51], off
	v_add_co_u32 v50, vcc_lo, s2, v38
	s_wait_alu 0xfffd
	v_add_co_ci_u32_e64 v51, null, s3, v39, vcc_lo
	;; [unrolled: 4-line block ×3, first 2 shown]
	s_clause 0x1
	global_load_b32 v74, v[50:51], off
	global_load_b32 v56, v[56:57], off
	v_add_co_u32 v50, vcc_lo, s2, v2
	s_wait_alu 0xfffd
	v_add_co_ci_u32_e64 v51, null, s3, v3, vcc_lo
	global_load_b32 v57, v[50:51], off
	global_load_b32 v62, v[62:63], off
	v_add_co_u32 v50, vcc_lo, s2, v26
	s_wait_alu 0xfffd
	v_add_co_ci_u32_e64 v51, null, s3, v27, vcc_lo
	global_load_b32 v63, v[50:51], off
	v_add_co_u32 v50, vcc_lo, s2, v24
	s_wait_alu 0xfffd
	v_add_co_ci_u32_e64 v51, null, s3, v25, vcc_lo
	global_load_b32 v50, v[50:51], off
	s_clause 0x2
	global_load_b32 v51, v[60:61], off
	global_load_b32 v60, v[66:67], off
	;; [unrolled: 1-line block ×4, first 2 shown]
	s_wait_loadcnt 0xc
	v_add_f32_e32 v52, v72, v52
	s_wait_loadcnt 0xb
	s_delay_alu instid0(VALU_DEP_1) | instskip(SKIP_1) | instid1(VALU_DEP_1)
	v_add_f32_e32 v52, v52, v53
	s_wait_loadcnt 0xa
	v_add_f32_e32 v52, v52, v73
	s_wait_loadcnt 0x9
	s_delay_alu instid0(VALU_DEP_1) | instskip(SKIP_1) | instid1(VALU_DEP_1)
	v_add_f32_e32 v52, v52, v74
	s_wait_loadcnt 0x8
	v_add_f32_e32 v52, v52, v56
	s_delay_alu instid0(VALU_DEP_1) | instskip(SKIP_1) | instid1(VALU_DEP_1)
	v_add_f32_e32 v52, v97, v52
	s_wait_loadcnt 0x7
	v_add_f32_e32 v52, v57, v52
	;; [unrolled: 4-line block ×3, first 2 shown]
	s_wait_loadcnt 0x5
	s_delay_alu instid0(VALU_DEP_1) | instskip(SKIP_1) | instid1(VALU_DEP_1)
	v_add_f32_e32 v52, v63, v52
	s_wait_loadcnt 0x4
	v_add_f32_e32 v50, v50, v52
	v_add_f32_e32 v52, v82, v91
	s_wait_loadcnt 0x3
	s_delay_alu instid0(VALU_DEP_2) | instskip(SKIP_1) | instid1(VALU_DEP_1)
	v_add_f32_e32 v50, v51, v50
	s_wait_loadcnt 0x2
	v_add_f32_e32 v50, v60, v50
	s_wait_loadcnt 0x1
	s_delay_alu instid0(VALU_DEP_1) | instskip(SKIP_1) | instid1(VALU_DEP_1)
	v_add_f32_e32 v50, v61, v50
	s_wait_loadcnt 0x0
	v_add_f32_e32 v50, v54, v50
	v_div_fixup_f32 v54, v59, v0, 1.0
	s_delay_alu instid0(VALU_DEP_1) | instskip(SKIP_3) | instid1(VALU_DEP_1)
	v_mul_f32_e32 v0, v54, v50
	v_mul_f32_e32 v52, v52, v54
	global_store_b32 v[64:65], v0, off
	v_add_nc_u32_e32 v0, s6, v58
	v_lshlrev_b64_e32 v[50:51], 2, v[0:1]
	v_add_nc_u32_e32 v0, s13, v0
	s_delay_alu instid0(VALU_DEP_2) | instskip(SKIP_1) | instid1(VALU_DEP_3)
	v_add_co_u32 v50, vcc_lo, s4, v50
	s_wait_alu 0xfffd
	v_add_co_ci_u32_e64 v51, null, s5, v51, vcc_lo
	global_store_b32 v[50:51], v52, off
	v_add_co_u32 v50, vcc_lo, s0, v70
	v_lshlrev_b64_e32 v[52:53], 2, v[0:1]
	s_wait_alu 0xfffd
	v_add_co_ci_u32_e64 v51, null, s1, v71, vcc_lo
	v_add_co_u32 v48, vcc_lo, s0, v48
	s_wait_alu 0xfffd
	v_add_co_ci_u32_e64 v49, null, s1, v49, vcc_lo
	v_add_co_u32 v52, vcc_lo, s4, v52
	s_wait_alu 0xfffd
	v_add_co_ci_u32_e64 v53, null, s5, v53, vcc_lo
	s_clause 0x1
	global_load_b32 v109, v[50:51], off
	global_load_b32 v110, v[48:49], off
	v_add_co_u32 v48, vcc_lo, s0, v34
	s_wait_alu 0xfffd
	v_add_co_ci_u32_e64 v49, null, s1, v35, vcc_lo
	v_add_nc_u32_e32 v0, s6, v0
	global_load_b32 v111, v[48:49], off
	v_add_co_u32 v48, vcc_lo, s0, v32
	s_wait_alu 0xfffd
	v_add_co_ci_u32_e64 v49, null, s1, v33, vcc_lo
	v_add_co_u32 v30, vcc_lo, s2, v30
	s_wait_alu 0xfffd
	v_add_co_ci_u32_e64 v31, null, s3, v31, vcc_lo
	global_load_b32 v112, v[48:49], off
	s_wait_loadcnt 0x2
	v_add_f32_e32 v48, v109, v110
	s_wait_loadcnt 0x1
	s_delay_alu instid0(VALU_DEP_1) | instskip(SKIP_1) | instid1(VALU_DEP_1)
	v_add_f32_e32 v48, v48, v111
	s_wait_loadcnt 0x0
	v_add_f32_e32 v48, v48, v112
	s_delay_alu instid0(VALU_DEP_1) | instskip(SKIP_3) | instid1(VALU_DEP_2)
	v_mul_f32_e32 v48, v54, v48
	global_store_b32 v[52:53], v48, off
	v_lshlrev_b64_e32 v[48:49], 2, v[0:1]
	v_add_nc_u32_e32 v0, s13, v0
	v_add_co_u32 v48, vcc_lo, s4, v48
	s_wait_alu 0xfffd
	s_delay_alu instid0(VALU_DEP_3)
	v_add_co_ci_u32_e64 v49, null, s5, v49, vcc_lo
	v_add_co_u32 v50, vcc_lo, s2, v42
	s_wait_alu 0xfffd
	v_add_co_ci_u32_e64 v51, null, s3, v43, vcc_lo
	s_clause 0x3
	global_load_b32 v52, v[50:51], off
	global_load_b32 v73, v[50:51], off
	;; [unrolled: 1-line block ×4, first 2 shown]
	s_wait_loadcnt 0x1
	v_add_f32_e32 v30, v50, v52
	s_delay_alu instid0(VALU_DEP_1)
	v_mul_f32_e32 v30, v54, v30
	global_store_b32 v[48:49], v30, off
	v_add_co_u32 v30, vcc_lo, s0, v44
	s_wait_alu 0xfffd
	v_add_co_ci_u32_e64 v31, null, s1, v45, vcc_lo
	v_add_co_u32 v44, vcc_lo, s0, v46
	s_wait_alu 0xfffd
	v_add_co_ci_u32_e64 v45, null, s1, v47, vcc_lo
	s_clause 0x3
	global_load_b32 v48, v[44:45], off
	global_load_b32 v82, v[44:45], off
	;; [unrolled: 1-line block ×4, first 2 shown]
	v_lshlrev_b64_e32 v[46:47], 2, v[0:1]
	v_add_nc_u32_e32 v0, s6, v0
	s_delay_alu instid0(VALU_DEP_2) | instskip(SKIP_1) | instid1(VALU_DEP_3)
	v_add_co_u32 v46, vcc_lo, s4, v46
	s_wait_alu 0xfffd
	v_add_co_ci_u32_e64 v47, null, s5, v47, vcc_lo
	v_add_co_u32 v28, vcc_lo, s2, v28
	s_wait_alu 0xfffd
	v_add_co_ci_u32_e64 v29, null, s3, v29, vcc_lo
	s_wait_loadcnt 0x1
	v_add_f32_e32 v30, v44, v48
	s_delay_alu instid0(VALU_DEP_1)
	v_mul_f32_e32 v30, v54, v30
	global_store_b32 v[46:47], v30, off
	s_clause 0x1
	global_load_b32 v44, v[28:29], off
	global_load_b32 v79, v[28:29], off
	v_lshlrev_b64_e32 v[30:31], 2, v[0:1]
	v_lshl_add_u32 v0, s6, 5, v0
	s_delay_alu instid0(VALU_DEP_2) | instskip(SKIP_1) | instid1(VALU_DEP_3)
	v_add_co_u32 v30, vcc_lo, s4, v30
	s_wait_alu 0xfffd
	v_add_co_ci_u32_e64 v31, null, s5, v31, vcc_lo
	s_wait_loadcnt 0x1
	v_mul_f32_e32 v28, v54, v44
	global_store_b32 v[30:31], v28, off
	v_lshlrev_b64_e32 v[28:29], 2, v[0:1]
	v_add_nc_u32_e32 v0, s6, v0
	s_delay_alu instid0(VALU_DEP_1) | instskip(SKIP_1) | instid1(VALU_DEP_4)
	v_lshlrev_b64_e32 v[50:51], 2, v[0:1]
	v_add_nc_u32_e32 v0, s6, v0
	v_add_co_u32 v30, vcc_lo, s0, v28
	s_wait_alu 0xfffd
	v_add_co_ci_u32_e64 v31, null, s1, v29, vcc_lo
	v_add_co_u32 v56, vcc_lo, s2, v28
	s_wait_alu 0xfffd
	v_add_co_ci_u32_e64 v57, null, s3, v29, vcc_lo
	v_lshlrev_b64_e32 v[28:29], 2, v[0:1]
	v_add_nc_u32_e32 v0, s6, v0
	s_delay_alu instid0(VALU_DEP_2) | instskip(SKIP_1) | instid1(VALU_DEP_3)
	v_add_co_u32 v75, vcc_lo, s0, v28
	s_wait_alu 0xfffd
	v_add_co_ci_u32_e64 v76, null, s1, v29, vcc_lo
	v_add_co_u32 v58, vcc_lo, s2, v28
	s_wait_alu 0xfffd
	v_add_co_ci_u32_e64 v59, null, s3, v29, vcc_lo
	v_lshlrev_b64_e32 v[28:29], 2, v[0:1]
	v_add_nc_u32_e32 v0, s6, v0
	s_delay_alu instid0(VALU_DEP_2) | instskip(SKIP_1) | instid1(VALU_DEP_3)
	v_add_co_u32 v77, vcc_lo, s0, v28
	s_wait_alu 0xfffd
	v_add_co_ci_u32_e64 v78, null, s1, v29, vcc_lo
	v_add_co_u32 v62, vcc_lo, s2, v28
	s_wait_alu 0xfffd
	v_add_co_ci_u32_e64 v63, null, s3, v29, vcc_lo
	v_lshlrev_b64_e32 v[28:29], 2, v[0:1]
	v_add_nc_u32_e32 v0, s6, v0
	s_delay_alu instid0(VALU_DEP_1) | instskip(SKIP_2) | instid1(VALU_DEP_4)
	v_lshlrev_b64_e32 v[44:45], 2, v[0:1]
	s_wait_alu 0xfffe
	v_add_nc_u32_e32 v0, s16, v0
	v_add_co_u32 v97, vcc_lo, s0, v28
	s_wait_alu 0xfffd
	v_add_co_ci_u32_e64 v98, null, s1, v29, vcc_lo
	s_delay_alu instid0(VALU_DEP_3)
	v_mad_co_u64_u32 v[105:106], null, s6, 22, v[0:1]
	v_add_co_u32 v66, vcc_lo, s2, v28
	s_wait_alu 0xfffd
	v_add_co_ci_u32_e64 v67, null, s3, v29, vcc_lo
	v_lshlrev_b64_e32 v[28:29], 2, v[0:1]
	s_clause 0x3
	global_load_b32 v106, v[30:31], off
	global_load_b32 v75, v[75:76], off
	;; [unrolled: 1-line block ×4, first 2 shown]
	v_add_nc_u32_e32 v0, s8, v105
	v_add_co_u32 v103, vcc_lo, s0, v28
	s_delay_alu instid0(VALU_DEP_2)
	v_mad_co_u64_u32 v[70:71], null, s6, 59, v[0:1]
	s_wait_alu 0xfffd
	v_add_co_ci_u32_e64 v104, null, s1, v29, vcc_lo
	v_add_co_u32 v52, vcc_lo, s2, v28
	s_wait_alu 0xfffd
	v_add_co_ci_u32_e64 v53, null, s3, v29, vcc_lo
	v_lshlrev_b64_e32 v[28:29], 2, v[0:1]
	v_add_nc_u32_e32 v0, s6, v70
	s_delay_alu instid0(VALU_DEP_1) | instskip(SKIP_1) | instid1(VALU_DEP_4)
	v_lshlrev_b64_e32 v[64:65], 2, v[0:1]
	v_lshl_add_u32 v0, s6, 4, v0
	v_add_co_u32 v107, vcc_lo, s0, v28
	s_wait_alu 0xfffd
	v_add_co_ci_u32_e64 v108, null, s1, v29, vcc_lo
	s_delay_alu instid0(VALU_DEP_3) | instskip(SKIP_4) | instid1(VALU_DEP_4)
	v_mad_co_u64_u32 v[46:47], null, 0xffffff9a, s6, v[0:1]
	v_lshlrev_b64_e32 v[48:49], 2, v[0:1]
	v_add_co_u32 v54, vcc_lo, s2, v28
	s_wait_alu 0xfffd
	v_add_co_ci_u32_e64 v55, null, s3, v29, vcc_lo
	v_dual_add_f32 v47, v92, v109 :: v_dual_add_nc_u32 v0, s17, v46
	s_delay_alu instid0(VALU_DEP_1) | instskip(SKIP_1) | instid1(VALU_DEP_1)
	v_lshlrev_b64_e32 v[28:29], 2, v[0:1]
	v_add_nc_u32_e32 v0, s11, v0
	v_lshlrev_b64_e32 v[60:61], 2, v[0:1]
	s_delay_alu instid0(VALU_DEP_1) | instskip(SKIP_1) | instid1(VALU_DEP_2)
	v_add_co_u32 v68, vcc_lo, s2, v60
	s_wait_alu 0xfffd
	v_add_co_ci_u32_e64 v69, null, s3, v61, vcc_lo
	v_add_co_u32 v60, vcc_lo, s0, v60
	s_wait_alu 0xfffd
	v_add_co_ci_u32_e64 v61, null, s1, v61, vcc_lo
	;; [unrolled: 3-line block ×5, first 2 shown]
	s_clause 0x1
	global_load_b32 v78, v[30:31], off
	global_load_b32 v97, v[103:104], off
	v_add_co_u32 v30, vcc_lo, s0, v50
	s_wait_alu 0xfffd
	v_add_co_ci_u32_e64 v31, null, s1, v51, vcc_lo
	s_clause 0x1
	global_load_b32 v98, v[30:31], off
	global_load_b32 v92, v[30:31], off
	s_wait_loadcnt 0x7
	v_add_f32_e32 v30, v47, v106
	v_mov_b32_e32 v106, v1
	s_wait_loadcnt 0x1
	s_delay_alu instid0(VALU_DEP_2) | instskip(NEXT) | instid1(VALU_DEP_1)
	v_add_f32_e32 v30, v30, v98
	v_add_f32_e32 v30, v30, v75
	s_delay_alu instid0(VALU_DEP_1) | instskip(NEXT) | instid1(VALU_DEP_1)
	v_add_f32_e32 v30, v30, v76
	v_add_f32_e32 v30, v30, v77
	s_delay_alu instid0(VALU_DEP_1) | instskip(NEXT) | instid1(VALU_DEP_1)
	;; [unrolled: 3-line block ×3, first 2 shown]
	v_add_f32_e32 v30, v30, v111
	v_add_f32_e32 v30, v30, v112
	s_delay_alu instid0(VALU_DEP_1) | instskip(SKIP_1) | instid1(VALU_DEP_1)
	v_add_f32_e32 v47, v30, v97
	v_lshlrev_b64_e32 v[30:31], 2, v[105:106]
	v_add_co_u32 v75, vcc_lo, s0, v30
	s_wait_alu 0xfffd
	s_delay_alu instid0(VALU_DEP_2)
	v_add_co_ci_u32_e64 v76, null, s1, v31, vcc_lo
	s_clause 0x2
	global_load_b32 v77, v[75:76], off
	global_load_b32 v78, v[107:108], off
	;; [unrolled: 1-line block ×3, first 2 shown]
	v_add_co_u32 v71, vcc_lo, s0, v48
	s_wait_alu 0xfffd
	v_add_co_ci_u32_e64 v72, null, s1, v49, vcc_lo
	s_clause 0x1
	global_load_b32 v98, v[71:72], off
	global_load_b32 v76, v[71:72], off
	v_mov_b32_e32 v71, v1
	s_delay_alu instid0(VALU_DEP_1) | instskip(NEXT) | instid1(VALU_DEP_1)
	v_lshlrev_b64_e32 v[70:71], 2, v[70:71]
	v_add_co_u32 v103, vcc_lo, s0, v70
	s_wait_alu 0xfffd
	s_delay_alu instid0(VALU_DEP_2)
	v_add_co_ci_u32_e64 v104, null, s1, v71, vcc_lo
	s_clause 0x1
	global_load_b32 v72, v[103:104], off
	global_load_b32 v97, v[103:104], off
	s_wait_loadcnt 0x6
	v_add_f32_e32 v47, v47, v77
	s_wait_loadcnt 0x5
	s_delay_alu instid0(VALU_DEP_1) | instskip(SKIP_1) | instid1(VALU_DEP_1)
	v_add_f32_e32 v47, v47, v78
	s_wait_loadcnt 0x1
	v_add_f32_e32 v47, v47, v72
	s_delay_alu instid0(VALU_DEP_1) | instskip(NEXT) | instid1(VALU_DEP_1)
	v_add_f32_e32 v47, v47, v75
	v_dual_add_f32 v72, v47, v98 :: v_dual_mov_b32 v47, v1
	s_delay_alu instid0(VALU_DEP_1) | instskip(NEXT) | instid1(VALU_DEP_1)
	v_lshlrev_b64_e32 v[46:47], 2, v[46:47]
	v_add_co_u32 v77, vcc_lo, s2, v46
	s_wait_alu 0xfffd
	s_delay_alu instid0(VALU_DEP_2)
	v_add_co_ci_u32_e64 v78, null, s3, v47, vcc_lo
	s_clause 0x5
	global_load_b32 v75, v[77:78], off
	global_load_b32 v68, v[68:69], off
	;; [unrolled: 1-line block ×6, first 2 shown]
	v_add_co_u32 v56, vcc_lo, s2, v28
	s_wait_alu 0xfffd
	v_add_co_ci_u32_e64 v57, null, s3, v29, vcc_lo
	s_clause 0x1
	global_load_b32 v58, v[56:57], off
	global_load_b32 v98, v[56:57], off
	s_wait_loadcnt 0x7
	v_add_f32_e32 v56, v72, v75
	s_wait_loadcnt 0x1
	s_delay_alu instid0(VALU_DEP_1) | instskip(NEXT) | instid1(VALU_DEP_1)
	v_add_f32_e32 v56, v56, v58
	v_add_f32_e32 v67, v56, v68
	s_delay_alu instid0(VALU_DEP_1) | instskip(NEXT) | instid1(VALU_DEP_1)
	v_div_scale_f32 v56, null, v67, v67, 1.0
	v_rcp_f32_e32 v57, v56
	s_delay_alu instid0(TRANS32_DEP_1) | instskip(NEXT) | instid1(VALU_DEP_1)
	v_fma_f32 v58, -v56, v57, 1.0
	v_fmac_f32_e32 v57, v58, v57
	v_div_scale_f32 v58, vcc_lo, 1.0, v67, 1.0
	s_delay_alu instid0(VALU_DEP_1) | instskip(NEXT) | instid1(VALU_DEP_1)
	v_mul_f32_e32 v62, v58, v57
	v_fma_f32 v63, -v56, v62, v58
	s_delay_alu instid0(VALU_DEP_1) | instskip(NEXT) | instid1(VALU_DEP_1)
	v_fmac_f32_e32 v62, v63, v57
	v_fma_f32 v56, -v56, v62, v58
	s_wait_alu 0xfffd
	s_delay_alu instid0(VALU_DEP_1) | instskip(SKIP_2) | instid1(VALU_DEP_1)
	v_div_fmas_f32 v68, v56, v57, v62
	v_mad_co_u64_u32 v[56:57], null, 0xffffffb5, s6, v[0:1]
	v_mov_b32_e32 v57, v1
	v_lshlrev_b64_e32 v[57:58], 2, v[56:57]
	s_delay_alu instid0(VALU_DEP_1) | instskip(SKIP_1) | instid1(VALU_DEP_2)
	v_add_co_u32 v57, vcc_lo, s4, v57
	s_wait_alu 0xfffd
	v_add_co_ci_u32_e64 v58, null, s5, v58, vcc_lo
	v_add_co_u32 v50, vcc_lo, s2, v50
	s_wait_alu 0xfffd
	v_add_co_ci_u32_e64 v51, null, s3, v51, vcc_lo
	v_add_co_u32 v62, vcc_lo, s2, v44
	s_wait_alu 0xfffd
	v_add_co_ci_u32_e64 v63, null, s3, v45, vcc_lo
	s_clause 0x1
	global_load_b32 v0, v[62:63], off
	global_load_b32 v62, v[52:53], off
	v_add_co_u32 v52, vcc_lo, s0, v46
	s_wait_alu 0xfffd
	v_add_co_ci_u32_e64 v53, null, s1, v47, vcc_lo
	global_load_b32 v63, v[52:53], off
	v_add_co_u32 v52, vcc_lo, s2, v30
	s_wait_alu 0xfffd
	v_add_co_ci_u32_e64 v53, null, s3, v31, vcc_lo
	s_clause 0x1
	global_load_b32 v52, v[52:53], off
	global_load_b32 v53, v[54:55], off
	global_load_b32 v54, v[60:61], off
	s_clause 0x1
	global_load_b32 v55, v[64:65], off
	global_load_b32 v72, v[50:51], off
	v_add_f32_e32 v50, v69, v59
	v_add_co_u32 v22, vcc_lo, s4, v22
	s_wait_alu 0xfffd
	v_add_co_ci_u32_e64 v23, null, s5, v23, vcc_lo
	s_delay_alu instid0(VALU_DEP_3) | instskip(SKIP_3) | instid1(VALU_DEP_3)
	v_add_f32_e32 v50, v50, v77
	v_add_co_u32 v14, vcc_lo, s4, v14
	s_wait_alu 0xfffd
	v_add_co_ci_u32_e64 v15, null, s5, v15, vcc_lo
	v_add_f32_e32 v50, v50, v66
	s_wait_loadcnt 0x7
	s_delay_alu instid0(VALU_DEP_1) | instskip(SKIP_2) | instid1(VALU_DEP_2)
	v_add_f32_e32 v0, v50, v0
	v_div_fixup_f32 v50, v68, v67, 1.0
	s_wait_loadcnt 0x6
	v_add_f32_e32 v0, v0, v62
	s_wait_loadcnt 0x5
	s_delay_alu instid0(VALU_DEP_1) | instskip(SKIP_1) | instid1(VALU_DEP_1)
	v_add_f32_e32 v0, v0, v63
	s_wait_loadcnt 0x4
	v_add_f32_e32 v0, v0, v52
	s_wait_loadcnt 0x3
	s_delay_alu instid0(VALU_DEP_1) | instskip(SKIP_1) | instid1(VALU_DEP_1)
	v_add_f32_e32 v0, v0, v53
	s_wait_loadcnt 0x2
	v_add_f32_e32 v0, v0, v54
	s_wait_loadcnt 0x1
	s_delay_alu instid0(VALU_DEP_1) | instskip(NEXT) | instid1(VALU_DEP_1)
	v_add_f32_e32 v0, v0, v55
	v_mul_f32_e32 v0, v50, v0
	global_store_b32 v[57:58], v0, off
	v_mul_f32_e32 v0, v50, v96
	global_store_b32 v[22:23], v0, off
	v_add_f32_e32 v0, v102, v101
	s_delay_alu instid0(VALU_DEP_1) | instskip(NEXT) | instid1(VALU_DEP_1)
	v_add_f32_e32 v0, v0, v100
	v_add_f32_e32 v0, v0, v99
	s_delay_alu instid0(VALU_DEP_1)
	v_mul_f32_e32 v0, v50, v0
	global_store_b32 v[14:15], v0, off
	v_add_co_u32 v14, vcc_lo, s4, v20
	s_wait_alu 0xfffd
	v_add_co_ci_u32_e64 v15, null, s5, v21, vcc_lo
	s_wait_loadcnt 0x0
	v_mul_f32_e32 v0, v50, v72
	global_store_b32 v[14:15], v0, off
	v_add_co_u32 v14, vcc_lo, s4, v18
	s_wait_alu 0xfffd
	v_add_co_ci_u32_e64 v15, null, s5, v19, vcc_lo
	v_add_co_u32 v18, vcc_lo, s0, v28
	s_wait_alu 0xfffd
	v_add_co_ci_u32_e64 v19, null, s1, v29, vcc_lo
	s_clause 0x1
	global_load_b32 v0, v[18:19], off
	global_load_b32 v100, v[18:19], off
	s_wait_loadcnt 0x1
	v_mul_f32_e32 v0, v50, v0
	global_store_b32 v[14:15], v0, off
	v_add_co_u32 v14, vcc_lo, s2, v70
	s_wait_alu 0xfffd
	v_add_co_ci_u32_e64 v15, null, s3, v71, vcc_lo
	v_add_co_u32 v16, vcc_lo, s4, v16
	s_wait_alu 0xfffd
	v_add_co_ci_u32_e64 v17, null, s5, v17, vcc_lo
	;; [unrolled: 3-line block ×3, first 2 shown]
	s_clause 0x3
	global_load_b32 v0, v[14:15], off
	global_load_b32 v77, v[18:19], off
	;; [unrolled: 1-line block ×4, first 2 shown]
	s_wait_loadcnt 0x3
	v_mul_f32_e32 v0, v50, v0
	s_wait_loadcnt 0x0
	v_mul_f32_e32 v18, v50, v14
	global_store_b32 v[16:17], v0, off
	v_add_nc_u32_e32 v0, s12, v56
	s_delay_alu instid0(VALU_DEP_1) | instskip(SKIP_1) | instid1(VALU_DEP_2)
	v_lshlrev_b64_e32 v[14:15], 2, v[0:1]
	v_add_nc_u32_e32 v0, s6, v0
	v_add_co_u32 v16, vcc_lo, s4, v14
	s_wait_alu 0xfffd
	s_delay_alu instid0(VALU_DEP_3)
	v_add_co_ci_u32_e64 v17, null, s5, v15, vcc_lo
	v_add_co_u32 v70, vcc_lo, s0, v14
	s_wait_alu 0xfffd
	v_add_co_ci_u32_e64 v71, null, s1, v15, vcc_lo
	v_add_co_u32 v101, vcc_lo, s2, v14
	s_wait_alu 0xfffd
	v_add_co_ci_u32_e64 v102, null, s3, v15, vcc_lo
	v_lshlrev_b64_e32 v[14:15], 2, v[0:1]
	v_add_nc_u32_e32 v0, s6, v0
	global_store_b32 v[16:17], v18, off
	v_add_co_u32 v103, vcc_lo, s0, v14
	s_wait_alu 0xfffd
	v_add_co_ci_u32_e64 v104, null, s1, v15, vcc_lo
	v_add_co_u32 v106, vcc_lo, s2, v14
	s_wait_alu 0xfffd
	v_add_co_ci_u32_e64 v107, null, s3, v15, vcc_lo
	v_lshlrev_b64_e32 v[14:15], 2, v[0:1]
	v_add_nc_u32_e32 v0, s6, v0
	s_delay_alu instid0(VALU_DEP_1) | instskip(SKIP_1) | instid1(VALU_DEP_4)
	v_lshlrev_b64_e32 v[48:49], 2, v[0:1]
	v_add_nc_u32_e32 v0, s6, v0
	v_add_co_u32 v108, vcc_lo, s0, v14
	s_wait_alu 0xfffd
	v_add_co_ci_u32_e64 v109, null, s1, v15, vcc_lo
	s_delay_alu instid0(VALU_DEP_3) | instskip(SKIP_4) | instid1(VALU_DEP_3)
	v_lshlrev_b64_e32 v[20:21], 2, v[0:1]
	v_add_nc_u32_e32 v0, s6, v0
	v_add_co_u32 v110, vcc_lo, s2, v14
	s_wait_alu 0xfffd
	v_add_co_ci_u32_e64 v111, null, s3, v15, vcc_lo
	v_lshlrev_b64_e32 v[18:19], 2, v[0:1]
	v_add_nc_u32_e32 v0, s6, v0
	s_clause 0x2
	global_load_b32 v70, v[70:71], off
	global_load_b32 v71, v[103:104], off
	;; [unrolled: 1-line block ×3, first 2 shown]
	v_mad_co_u64_u32 v[112:113], null, s6, 41, v[0:1]
	v_lshlrev_b64_e32 v[16:17], 2, v[0:1]
	s_delay_alu instid0(VALU_DEP_2) | instskip(NEXT) | instid1(VALU_DEP_1)
	v_dual_mov_b32 v113, v1 :: v_dual_add_nc_u32 v0, s6, v112
	v_lshlrev_b64_e32 v[56:57], 2, v[0:1]
	v_add_nc_u32_e32 v0, s18, v0
	s_delay_alu instid0(VALU_DEP_1) | instskip(SKIP_2) | instid1(VALU_DEP_2)
	v_mad_co_u64_u32 v[114:115], null, s6, 44, v[0:1]
	v_mov_b32_e32 v115, v1
	v_lshlrev_b64_e32 v[22:23], 2, v[0:1]
	v_mad_co_u64_u32 v[62:63], null, s6, 25, v[114:115]
	v_mov_b32_e32 v63, v1
	s_delay_alu instid0(VALU_DEP_1) | instskip(NEXT) | instid1(VALU_DEP_1)
	v_mad_co_u64_u32 v[14:15], null, 0xffffff8b, s6, v[62:63]
	v_dual_mov_b32 v15, v1 :: v_dual_add_nc_u32 v0, s6, v14
	s_delay_alu instid0(VALU_DEP_1) | instskip(NEXT) | instid1(VALU_DEP_1)
	v_lshlrev_b64_e32 v[14:15], 2, v[14:15]
	v_add_co_u32 v116, vcc_lo, s2, v14
	s_wait_alu 0xfffd
	s_delay_alu instid0(VALU_DEP_2)
	v_add_co_ci_u32_e64 v117, null, s3, v15, vcc_lo
	v_add_co_u32 v50, vcc_lo, s0, v14
	s_wait_alu 0xfffd
	v_add_co_ci_u32_e64 v51, null, s1, v15, vcc_lo
	v_lshlrev_b64_e32 v[14:15], 2, v[0:1]
	v_add_nc_u32_e32 v0, s6, v0
	s_delay_alu instid0(VALU_DEP_1) | instskip(SKIP_1) | instid1(VALU_DEP_1)
	v_lshlrev_b64_e32 v[52:53], 2, v[0:1]
	v_add_nc_u32_e32 v0, s6, v0
	v_lshlrev_b64_e32 v[54:55], 2, v[0:1]
	v_add_nc_u32_e32 v0, s6, v0
	s_delay_alu instid0(VALU_DEP_4)
	v_add_co_u32 v118, vcc_lo, s2, v52
	s_wait_alu 0xfffd
	v_add_co_ci_u32_e64 v119, null, s3, v53, vcc_lo
	v_add_co_u32 v52, vcc_lo, s0, v52
	v_lshlrev_b64_e32 v[58:59], 2, v[0:1]
	s_wait_alu 0xfffd
	v_add_co_ci_u32_e64 v53, null, s1, v53, vcc_lo
	v_add_co_u32 v120, vcc_lo, s2, v54
	s_wait_alu 0xfffd
	v_add_co_ci_u32_e64 v121, null, s3, v55, vcc_lo
	v_add_co_u32 v54, vcc_lo, s0, v54
	;; [unrolled: 3-line block ×6, first 2 shown]
	s_wait_alu 0xfffd
	v_add_co_ci_u32_e64 v61, null, s3, v57, vcc_lo
	v_mad_co_u64_u32 v[56:57], null, s6, 14, v[0:1]
	v_mov_b32_e32 v57, v1
	s_delay_alu instid0(VALU_DEP_1) | instskip(SKIP_2) | instid1(VALU_DEP_2)
	v_mad_co_u64_u32 v[128:129], null, s6, 50, v[56:57]
	v_mov_b32_e32 v129, v1
	v_lshlrev_b64_e32 v[64:65], 2, v[56:57]
	v_mad_co_u64_u32 v[130:131], null, s6, 9, v[128:129]
	s_delay_alu instid0(VALU_DEP_2) | instskip(SKIP_1) | instid1(VALU_DEP_3)
	v_add_co_u32 v126, vcc_lo, s2, v64
	s_wait_alu 0xfffd
	v_add_co_ci_u32_e64 v127, null, s3, v65, vcc_lo
	v_add_co_u32 v68, vcc_lo, s0, v64
	s_delay_alu instid0(VALU_DEP_4) | instskip(SKIP_3) | instid1(VALU_DEP_3)
	v_add_nc_u32_e32 v0, s11, v130
	s_wait_alu 0xfffd
	v_add_co_ci_u32_e64 v69, null, s1, v65, vcc_lo
	v_add_co_u32 v12, vcc_lo, s2, v12
	v_lshlrev_b64_e32 v[56:57], 2, v[0:1]
	s_wait_alu 0xfffd
	v_add_co_ci_u32_e64 v13, null, s3, v13, vcc_lo
	s_mul_i32 s11, s6, 20
	v_add_co_u32 v131, vcc_lo, s2, v56
	s_wait_alu 0xfffd
	v_add_co_ci_u32_e64 v132, null, s3, v57, vcc_lo
	v_add_co_u32 v64, vcc_lo, s0, v56
	s_wait_alu 0xfffd
	v_add_co_ci_u32_e64 v65, null, s1, v57, vcc_lo
	;; [unrolled: 3-line block ×3, first 2 shown]
	v_lshlrev_b64_e32 v[10:11], 2, v[62:63]
	s_delay_alu instid0(VALU_DEP_1) | instskip(SKIP_1) | instid1(VALU_DEP_2)
	v_add_co_u32 v133, vcc_lo, s0, v10
	s_wait_alu 0xfffd
	v_add_co_ci_u32_e64 v134, null, s1, v11, vcc_lo
	v_add_co_u32 v66, vcc_lo, s2, v10
	s_wait_alu 0xfffd
	v_add_co_ci_u32_e64 v67, null, s3, v11, vcc_lo
	;; [unrolled: 3-line block ×4, first 2 shown]
	global_load_b32 v78, v[8:9], off
	v_add_co_u32 v8, vcc_lo, s0, v20
	s_wait_alu 0xfffd
	v_add_co_ci_u32_e64 v9, null, s1, v21, vcc_lo
	global_load_b32 v96, v[8:9], off
	v_add_co_u32 v8, vcc_lo, s0, v18
	s_wait_alu 0xfffd
	v_add_co_ci_u32_e64 v9, null, s1, v19, vcc_lo
	;; [unrolled: 4-line block ×3, first 2 shown]
	global_load_b32 v104, v[8:9], off
	v_lshlrev_b64_e32 v[8:9], 2, v[112:113]
	s_delay_alu instid0(VALU_DEP_1) | instskip(SKIP_1) | instid1(VALU_DEP_2)
	v_add_co_u32 v10, vcc_lo, s0, v8
	s_wait_alu 0xfffd
	v_add_co_ci_u32_e64 v11, null, s1, v9, vcc_lo
	global_load_b32 v10, v[10:11], off
	s_wait_loadcnt 0x6
	v_add_f32_e32 v11, v70, v71
	s_wait_loadcnt 0x5
	s_delay_alu instid0(VALU_DEP_1) | instskip(SKIP_1) | instid1(VALU_DEP_1)
	v_add_f32_e32 v11, v11, v75
	s_wait_loadcnt 0x4
	v_add_f32_e32 v11, v11, v78
	s_wait_loadcnt 0x3
	s_delay_alu instid0(VALU_DEP_1) | instskip(SKIP_1) | instid1(VALU_DEP_1)
	v_add_f32_e32 v11, v11, v96
	s_wait_loadcnt 0x2
	v_add_f32_e32 v11, v11, v103
	s_wait_loadcnt 0x1
	s_delay_alu instid0(VALU_DEP_1)
	v_add_f32_e32 v11, v11, v104
	s_clause 0x1
	global_load_b32 v103, v[124:125], off
	global_load_b32 v104, v[133:134], off
	s_wait_loadcnt 0x2
	v_add_f32_e32 v75, v11, v10
	v_lshlrev_b64_e32 v[10:11], 2, v[114:115]
	s_delay_alu instid0(VALU_DEP_1) | instskip(SKIP_1) | instid1(VALU_DEP_2)
	v_add_co_u32 v70, vcc_lo, s0, v10
	s_wait_alu 0xfffd
	v_add_co_ci_u32_e64 v71, null, s1, v11, vcc_lo
	s_clause 0x1
	global_load_b32 v105, v[70:71], off
	global_load_b32 v78, v[70:71], off
	v_add_co_u32 v70, vcc_lo, s0, v22
	s_wait_alu 0xfffd
	v_add_co_ci_u32_e64 v71, null, s1, v23, vcc_lo
	s_clause 0x1
	global_load_b32 v108, v[70:71], off
	global_load_b32 v96, v[70:71], off
	s_wait_loadcnt 0x5
	v_add_f32_e32 v70, v75, v103
	global_load_b32 v75, v[116:117], off
	s_wait_loadcnt 0x2
	v_add_f32_e32 v70, v70, v108
	s_delay_alu instid0(VALU_DEP_1) | instskip(NEXT) | instid1(VALU_DEP_1)
	v_add_f32_e32 v70, v70, v105
	v_add_f32_e32 v70, v70, v104
	s_delay_alu instid0(VALU_DEP_1) | instskip(NEXT) | instid1(VALU_DEP_1)
	v_add_f32_e32 v70, v70, v95
	;; [unrolled: 3-line block ×3, first 2 shown]
	v_add_f32_e32 v74, v70, v74
	v_add_co_u32 v70, vcc_lo, s2, v14
	s_wait_alu 0xfffd
	v_add_co_ci_u32_e64 v71, null, s3, v15, vcc_lo
	global_load_b32 v94, v[70:71], off
	v_add_f32_e32 v70, v74, v73
	s_clause 0x3
	global_load_b32 v74, v[118:119], off
	global_load_b32 v103, v[120:121], off
	;; [unrolled: 1-line block ×4, first 2 shown]
	v_add_f32_e32 v95, v70, v72
	v_lshlrev_b64_e32 v[70:71], 2, v[128:129]
	s_delay_alu instid0(VALU_DEP_1) | instskip(SKIP_1) | instid1(VALU_DEP_2)
	v_add_co_u32 v72, vcc_lo, s2, v70
	s_wait_alu 0xfffd
	v_add_co_ci_u32_e64 v73, null, s3, v71, vcc_lo
	s_clause 0x1
	global_load_b32 v108, v[72:73], off
	global_load_b32 v93, v[72:73], off
	s_wait_loadcnt 0x7
	v_add_f32_e32 v72, v95, v75
	s_wait_loadcnt 0x6
	s_delay_alu instid0(VALU_DEP_1) | instskip(SKIP_1) | instid1(VALU_DEP_1)
	v_add_f32_e32 v72, v72, v94
	s_wait_loadcnt 0x5
	v_add_f32_e32 v72, v72, v74
	s_wait_loadcnt 0x4
	s_delay_alu instid0(VALU_DEP_1) | instskip(SKIP_1) | instid1(VALU_DEP_1)
	v_add_f32_e32 v72, v72, v103
	s_wait_loadcnt 0x3
	v_add_f32_e32 v72, v72, v104
	s_wait_loadcnt 0x2
	s_delay_alu instid0(VALU_DEP_1)
	v_add_f32_e32 v72, v72, v105
	s_clause 0x3
	global_load_b32 v105, v[131:132], off
	global_load_b32 v94, v[101:102], off
	;; [unrolled: 1-line block ×4, first 2 shown]
	s_wait_loadcnt 0x5
	v_dual_mov_b32 v131, v1 :: v_dual_add_f32 v104, v72, v108
	v_add_co_u32 v72, vcc_lo, s2, v48
	s_wait_alu 0xfffd
	v_add_co_ci_u32_e64 v73, null, s3, v49, vcc_lo
	global_load_b32 v102, v[72:73], off
	v_add_co_u32 v72, vcc_lo, s2, v20
	s_wait_alu 0xfffd
	v_add_co_ci_u32_e64 v73, null, s3, v21, vcc_lo
	global_load_b32 v103, v[72:73], off
	v_lshlrev_b64_e32 v[72:73], 2, v[130:131]
	s_delay_alu instid0(VALU_DEP_1) | instskip(SKIP_1) | instid1(VALU_DEP_2)
	v_add_co_u32 v74, vcc_lo, s2, v72
	s_wait_alu 0xfffd
	v_add_co_ci_u32_e64 v75, null, s3, v73, vcc_lo
	s_clause 0x1
	global_load_b32 v106, v[74:75], off
	global_load_b32 v74, v[74:75], off
	s_wait_loadcnt 0x1
	v_add_f32_e32 v75, v104, v106
	s_delay_alu instid0(VALU_DEP_1) | instskip(NEXT) | instid1(VALU_DEP_1)
	v_add_f32_e32 v75, v75, v105
	v_div_scale_f32 v104, null, v75, v75, 1.0
	s_delay_alu instid0(VALU_DEP_1) | instskip(NEXT) | instid1(TRANS32_DEP_1)
	v_rcp_f32_e32 v105, v104
	v_fma_f32 v106, -v104, v105, 1.0
	s_delay_alu instid0(VALU_DEP_1) | instskip(SKIP_1) | instid1(VALU_DEP_1)
	v_fmac_f32_e32 v105, v106, v105
	v_div_scale_f32 v106, vcc_lo, 1.0, v75, 1.0
	v_mul_f32_e32 v107, v106, v105
	s_delay_alu instid0(VALU_DEP_1) | instskip(NEXT) | instid1(VALU_DEP_1)
	v_fma_f32 v108, -v104, v107, v106
	v_fmac_f32_e32 v107, v108, v105
	s_delay_alu instid0(VALU_DEP_1) | instskip(SKIP_1) | instid1(VALU_DEP_1)
	v_fma_f32 v104, -v104, v107, v106
	s_wait_alu 0xfffd
	v_div_fmas_f32 v106, v104, v105, v107
	v_add_co_u32 v104, vcc_lo, s4, v48
	s_wait_alu 0xfffd
	v_add_co_ci_u32_e64 v105, null, s5, v49, vcc_lo
	v_add_co_u32 v48, vcc_lo, s2, v18
	s_wait_alu 0xfffd
	v_add_co_ci_u32_e64 v49, null, s3, v19, vcc_lo
	global_load_b32 v107, v[48:49], off
	v_add_co_u32 v48, vcc_lo, s2, v16
	s_wait_alu 0xfffd
	v_add_co_ci_u32_e64 v49, null, s3, v17, vcc_lo
	global_load_b32 v108, v[48:49], off
	global_load_b32 v50, v[50:51], off
	v_add_co_u32 v48, vcc_lo, s0, v14
	s_wait_alu 0xfffd
	v_add_co_ci_u32_e64 v49, null, s1, v15, vcc_lo
	s_clause 0x3
	global_load_b32 v51, v[48:49], off
	global_load_b32 v52, v[52:53], off
	;; [unrolled: 1-line block ×4, first 2 shown]
	v_add_co_u32 v48, vcc_lo, s2, v8
	s_wait_alu 0xfffd
	v_add_co_ci_u32_e64 v49, null, s3, v9, vcc_lo
	s_clause 0x1
	global_load_b32 v48, v[48:49], off
	global_load_b32 v49, v[60:61], off
	;; [unrolled: 1-line block ×3, first 2 shown]
	v_add_f32_e32 v58, v94, v95
	s_delay_alu instid0(VALU_DEP_1) | instskip(NEXT) | instid1(VALU_DEP_1)
	v_add_f32_e32 v58, v58, v101
	v_add_f32_e32 v58, v58, v102
	s_delay_alu instid0(VALU_DEP_1) | instskip(SKIP_1) | instid1(VALU_DEP_1)
	v_add_f32_e32 v58, v58, v103
	s_wait_loadcnt 0x9
	v_add_f32_e32 v58, v58, v107
	s_wait_loadcnt 0x8
	s_delay_alu instid0(VALU_DEP_1) | instskip(SKIP_1) | instid1(VALU_DEP_1)
	v_add_f32_e32 v58, v58, v108
	s_wait_loadcnt 0x7
	v_add_f32_e32 v50, v58, v50
	s_wait_loadcnt 0x6
	s_delay_alu instid0(VALU_DEP_1) | instskip(SKIP_1) | instid1(VALU_DEP_1)
	v_add_f32_e32 v50, v50, v51
	s_wait_loadcnt 0x5
	v_add_f32_e32 v50, v50, v52
	v_div_fixup_f32 v52, v106, v75, 1.0
	s_wait_loadcnt 0x4
	s_delay_alu instid0(VALU_DEP_2) | instskip(SKIP_1) | instid1(VALU_DEP_1)
	v_add_f32_e32 v50, v50, v53
	s_wait_loadcnt 0x3
	v_add_f32_e32 v50, v50, v54
	s_wait_loadcnt 0x2
	s_delay_alu instid0(VALU_DEP_1) | instskip(SKIP_1) | instid1(VALU_DEP_1)
	v_add_f32_e32 v48, v50, v48
	s_wait_loadcnt 0x1
	v_add_f32_e32 v48, v48, v49
	global_load_b32 v49, v[64:65], off
	s_clause 0x1
	global_load_b32 v50, v[12:13], off
	global_load_b32 v54, v[12:13], off
	s_wait_loadcnt 0x3
	v_add_f32_e32 v48, v48, v55
	s_wait_loadcnt 0x1
	s_delay_alu instid0(VALU_DEP_1)
	v_add_f32_e32 v12, v48, v50
	s_clause 0x2
	global_load_b32 v13, v[66:67], off
	global_load_b32 v48, v[56:57], off
	;; [unrolled: 1-line block ×3, first 2 shown]
	v_add_f32_e32 v12, v12, v49
	s_wait_loadcnt 0x1
	s_delay_alu instid0(VALU_DEP_1) | instskip(NEXT) | instid1(VALU_DEP_1)
	v_add_f32_e32 v12, v12, v48
	v_add_f32_e32 v12, v12, v13
	s_clause 0x1
	global_load_b32 v13, v[62:63], off
	global_load_b32 v49, v[62:63], off
	s_wait_loadcnt 0x1
	v_add_f32_e32 v12, v12, v13
	s_delay_alu instid0(VALU_DEP_1)
	v_mul_f32_e32 v12, v52, v12
	global_store_b32 v[104:105], v12, off
	v_add_co_u32 v12, vcc_lo, s4, v20
	v_add_f32_e32 v20, v84, v83
	s_wait_alu 0xfffd
	v_add_co_ci_u32_e64 v13, null, s5, v21, vcc_lo
	s_delay_alu instid0(VALU_DEP_2) | instskip(NEXT) | instid1(VALU_DEP_1)
	v_add_f32_e32 v20, v20, v87
	v_mul_f32_e32 v20, v52, v20
	global_store_b32 v[12:13], v20, off
	v_add_co_u32 v12, vcc_lo, s4, v18
	v_add_f32_e32 v18, v89, v88
	s_wait_alu 0xfffd
	v_add_co_ci_u32_e64 v13, null, s5, v19, vcc_lo
	s_delay_alu instid0(VALU_DEP_2)
	v_mul_f32_e32 v18, v52, v18
	global_store_b32 v[12:13], v18, off
	v_add_co_u32 v12, vcc_lo, s4, v16
	s_wait_alu 0xfffd
	v_add_co_ci_u32_e64 v13, null, s5, v17, vcc_lo
	v_mul_f32_e32 v16, v52, v92
	global_store_b32 v[12:13], v16, off
	v_add_co_u32 v12, vcc_lo, s2, v22
	s_wait_alu 0xfffd
	v_add_co_ci_u32_e64 v13, null, s3, v23, vcc_lo
	v_add_co_u32 v16, vcc_lo, s0, v70
	s_wait_alu 0xfffd
	v_add_co_ci_u32_e64 v17, null, s1, v71, vcc_lo
	s_clause 0x1
	global_load_b32 v20, v[16:17], off
	global_load_b32 v56, v[16:17], off
	s_clause 0x1
	global_load_b32 v16, v[12:13], off
	global_load_b32 v55, v[12:13], off
	v_add_co_u32 v18, vcc_lo, s4, v42
	s_wait_alu 0xfffd
	v_add_co_ci_u32_e64 v19, null, s5, v43, vcc_lo
	v_add_co_u32 v10, vcc_lo, s2, v10
	s_wait_alu 0xfffd
	v_add_co_ci_u32_e64 v11, null, s3, v11, vcc_lo
	s_wait_loadcnt 0x1
	v_add_f32_e32 v12, v16, v20
	s_delay_alu instid0(VALU_DEP_1)
	v_mul_f32_e32 v12, v52, v12
	global_store_b32 v[18:19], v12, off
	s_clause 0x1
	global_load_b32 v16, v[10:11], off
	global_load_b32 v51, v[10:11], off
	v_mad_co_u64_u32 v[18:19], null, 0xffffffc1, s6, v[0:1]
	v_add_co_u32 v12, vcc_lo, s4, v40
	s_wait_alu 0xfffd
	v_add_co_ci_u32_e64 v13, null, s5, v41, vcc_lo
	s_delay_alu instid0(VALU_DEP_3) | instskip(NEXT) | instid1(VALU_DEP_1)
	v_add_nc_u32_e32 v0, s6, v18
	v_lshlrev_b64_e32 v[20:21], 2, v[0:1]
	v_add_nc_u32_e32 v0, s13, v0
	s_wait_loadcnt 0x1
	v_mul_f32_e32 v10, v52, v16
	global_store_b32 v[12:13], v10, off
	v_add_co_u32 v12, vcc_lo, s0, v72
	s_wait_alu 0xfffd
	v_add_co_ci_u32_e64 v13, null, s1, v73, vcc_lo
	v_add_co_u32 v16, vcc_lo, s4, v38
	s_wait_alu 0xfffd
	v_add_co_ci_u32_e64 v17, null, s5, v39, vcc_lo
	;; [unrolled: 3-line block ×3, first 2 shown]
	global_load_b32 v61, v[10:11], off
	v_lshlrev_b64_e32 v[10:11], 2, v[0:1]
	v_add_nc_u32_e32 v0, s6, v0
	s_delay_alu instid0(VALU_DEP_2) | instskip(SKIP_1) | instid1(VALU_DEP_3)
	v_add_co_u32 v22, vcc_lo, s0, v10
	s_wait_alu 0xfffd
	v_add_co_ci_u32_e64 v23, null, s1, v11, vcc_lo
	global_load_b32 v62, v[22:23], off
	v_lshlrev_b64_e32 v[22:23], 2, v[0:1]
	v_add_nc_u32_e32 v0, s6, v0
	s_delay_alu instid0(VALU_DEP_2) | instskip(SKIP_1) | instid1(VALU_DEP_3)
	v_add_co_u32 v38, vcc_lo, s0, v22
	s_wait_alu 0xfffd
	v_add_co_ci_u32_e64 v39, null, s1, v23, vcc_lo
	global_load_b32 v63, v[38:39], off
	v_lshlrev_b64_e32 v[38:39], 2, v[0:1]
	s_delay_alu instid0(VALU_DEP_1) | instskip(SKIP_1) | instid1(VALU_DEP_2)
	v_add_co_u32 v40, vcc_lo, s0, v38
	s_wait_alu 0xfffd
	v_add_co_ci_u32_e64 v41, null, s1, v39, vcc_lo
	s_clause 0x2
	global_load_b32 v64, v[40:41], off
	global_load_b32 v19, v[12:13], off
	;; [unrolled: 1-line block ×3, first 2 shown]
	s_wait_loadcnt 0x1
	v_dual_mul_f32 v12, v52, v19 :: v_dual_mov_b32 v19, v1
	global_store_b32 v[16:17], v12, off
	v_mad_co_u64_u32 v[12:13], null, 0xffffffe2, s6, v[0:1]
	v_mov_b32_e32 v13, v1
	v_lshlrev_b64_e32 v[18:19], 2, v[18:19]
	s_delay_alu instid0(VALU_DEP_3) | instskip(NEXT) | instid1(VALU_DEP_3)
	v_add_nc_u32_e32 v0, s15, v12
	v_lshlrev_b64_e32 v[12:13], 2, v[12:13]
	s_delay_alu instid0(VALU_DEP_2) | instskip(SKIP_1) | instid1(VALU_DEP_3)
	v_lshlrev_b64_e32 v[40:41], 2, v[0:1]
	v_add_nc_u32_e32 v0, s14, v0
	v_add_co_u32 v16, vcc_lo, s2, v12
	s_wait_alu 0xfffd
	s_delay_alu instid0(VALU_DEP_4)
	v_add_co_ci_u32_e64 v17, null, s3, v13, vcc_lo
	v_add_co_u32 v12, vcc_lo, s0, v12
	v_lshlrev_b64_e32 v[52:53], 2, v[0:1]
	s_wait_alu 0xfffd
	v_add_co_ci_u32_e64 v13, null, s1, v13, vcc_lo
	v_add_co_u32 v42, vcc_lo, s2, v40
	s_wait_alu 0xfffd
	v_add_co_ci_u32_e64 v43, null, s3, v41, vcc_lo
	v_add_co_u32 v40, vcc_lo, s0, v40
	;; [unrolled: 3-line block ×5, first 2 shown]
	s_wait_alu 0xfffd
	v_add_co_ci_u32_e64 v60, null, s1, v19, vcc_lo
	global_load_b32 v59, v[59:60], off
	s_clause 0x2
	global_load_b32 v16, v[16:17], off
	global_load_b32 v17, v[42:43], off
	;; [unrolled: 1-line block ×3, first 2 shown]
	v_add_co_u32 v18, vcc_lo, s2, v18
	s_wait_alu 0xfffd
	v_add_co_ci_u32_e64 v19, null, s3, v19, vcc_lo
	v_add_co_u32 v20, vcc_lo, s2, v20
	s_wait_alu 0xfffd
	v_add_co_ci_u32_e64 v21, null, s3, v21, vcc_lo
	v_add_co_u32 v22, vcc_lo, s2, v22
	s_wait_alu 0xfffd
	v_add_co_ci_u32_e64 v23, null, s3, v23, vcc_lo
	v_add_co_u32 v38, vcc_lo, s2, v38
	s_wait_alu 0xfffd
	v_add_co_ci_u32_e64 v39, null, s3, v39, vcc_lo
	v_add_nc_u32_e32 v0, s10, v0
	s_mul_i32 s10, s6, 21
	s_wait_loadcnt 0x3
	v_add_f32_e32 v43, v59, v61
	s_delay_alu instid0(VALU_DEP_1) | instskip(NEXT) | instid1(VALU_DEP_1)
	v_add_f32_e32 v43, v43, v100
	v_add_f32_e32 v43, v43, v62
	s_delay_alu instid0(VALU_DEP_1) | instskip(NEXT) | instid1(VALU_DEP_1)
	v_add_f32_e32 v43, v43, v63
	v_add_f32_e32 v43, v43, v64
	s_wait_loadcnt 0x2
	s_delay_alu instid0(VALU_DEP_1) | instskip(SKIP_1) | instid1(VALU_DEP_1)
	v_add_f32_e32 v16, v43, v16
	s_wait_loadcnt 0x1
	v_add_f32_e32 v16, v16, v17
	s_wait_loadcnt 0x0
	s_delay_alu instid0(VALU_DEP_1) | instskip(NEXT) | instid1(VALU_DEP_1)
	v_add_f32_e32 v42, v16, v42
	v_div_scale_f32 v16, null, v42, v42, 1.0
	s_delay_alu instid0(VALU_DEP_1) | instskip(NEXT) | instid1(TRANS32_DEP_1)
	v_rcp_f32_e32 v17, v16
	v_fma_f32 v43, -v16, v17, 1.0
	s_delay_alu instid0(VALU_DEP_1) | instskip(SKIP_1) | instid1(VALU_DEP_1)
	v_fmac_f32_e32 v17, v43, v17
	v_div_scale_f32 v43, vcc_lo, 1.0, v42, 1.0
	v_mul_f32_e32 v57, v43, v17
	s_delay_alu instid0(VALU_DEP_1) | instskip(NEXT) | instid1(VALU_DEP_1)
	v_fma_f32 v58, -v16, v57, v43
	v_fmac_f32_e32 v57, v58, v17
	s_delay_alu instid0(VALU_DEP_1) | instskip(SKIP_1) | instid1(VALU_DEP_1)
	v_fma_f32 v16, -v16, v57, v43
	s_wait_alu 0xfffd
	v_div_fmas_f32 v43, v16, v17, v57
	v_add_co_u32 v16, vcc_lo, s4, v36
	s_wait_alu 0xfffd
	v_add_co_ci_u32_e64 v17, null, s5, v37, vcc_lo
	s_clause 0x2
	global_load_b32 v36, v[12:13], off
	global_load_b32 v37, v[40:41], off
	;; [unrolled: 1-line block ×3, first 2 shown]
	s_clause 0x1
	global_load_b32 v18, v[18:19], off
	global_load_b32 v19, v[20:21], off
	v_add_co_u32 v12, vcc_lo, s2, v10
	s_wait_alu 0xfffd
	v_add_co_ci_u32_e64 v13, null, s3, v11, vcc_lo
	s_clause 0x2
	global_load_b32 v12, v[12:13], off
	global_load_b32 v13, v[22:23], off
	;; [unrolled: 1-line block ×3, first 2 shown]
	v_add_co_u32 v2, vcc_lo, s4, v2
	s_wait_alu 0xfffd
	v_add_co_ci_u32_e64 v3, null, s5, v3, vcc_lo
	s_wait_loadcnt 0x6
	v_add_f32_e32 v21, v36, v37
	s_wait_loadcnt 0x5
	s_delay_alu instid0(VALU_DEP_1) | instskip(SKIP_1) | instid1(VALU_DEP_1)
	v_add_f32_e32 v21, v21, v40
	s_wait_loadcnt 0x4
	v_add_f32_e32 v18, v21, v18
	s_wait_loadcnt 0x3
	s_delay_alu instid0(VALU_DEP_1) | instskip(SKIP_1) | instid1(VALU_DEP_1)
	v_add_f32_e32 v18, v18, v19
	s_wait_loadcnt 0x2
	v_add_f32_e32 v12, v18, v12
	s_wait_loadcnt 0x1
	s_delay_alu instid0(VALU_DEP_1) | instskip(SKIP_2) | instid1(VALU_DEP_2)
	v_add_f32_e32 v12, v12, v13
	v_div_fixup_f32 v13, v43, v42, 1.0
	s_wait_loadcnt 0x0
	v_add_f32_e32 v12, v12, v20
	s_delay_alu instid0(VALU_DEP_1)
	v_mul_f32_e32 v12, v13, v12
	global_store_b32 v[16:17], v12, off
	v_mul_f32_e32 v12, v13, v98
	global_store_b32 v[2:3], v12, off
	v_lshlrev_b64_e32 v[2:3], 2, v[0:1]
	v_add_nc_u32_e32 v0, s13, v0
	s_delay_alu instid0(VALU_DEP_1) | instskip(SKIP_3) | instid1(VALU_DEP_3)
	v_mad_co_u64_u32 v[12:13], null, s6, -10, v[0:1]
	v_mov_b32_e32 v13, v1
	v_lshlrev_b64_e32 v[16:17], 2, v[0:1]
	s_wait_alu 0xfffe
	v_add_nc_u32_e32 v0, s11, v12
	s_delay_alu instid0(VALU_DEP_3) | instskip(NEXT) | instid1(VALU_DEP_2)
	v_lshlrev_b64_e32 v[12:13], 2, v[12:13]
	v_lshlrev_b64_e32 v[36:37], 2, v[0:1]
	v_add_nc_u32_e32 v0, s10, v0
	s_delay_alu instid0(VALU_DEP_3) | instskip(SKIP_1) | instid1(VALU_DEP_4)
	v_add_co_u32 v18, vcc_lo, s2, v12
	s_wait_alu 0xfffd
	v_add_co_ci_u32_e64 v19, null, s3, v13, vcc_lo
	v_add_co_u32 v12, vcc_lo, s0, v12
	s_wait_alu 0xfffd
	v_add_co_ci_u32_e64 v13, null, s1, v13, vcc_lo
	;; [unrolled: 3-line block ×5, first 2 shown]
	s_clause 0x1
	global_load_b32 v20, v[20:21], off
	global_load_b32 v21, v[22:23], off
	v_lshlrev_b64_e32 v[38:39], 2, v[0:1]
	v_add_nc_u32_e32 v0, s18, v0
	v_add_co_u32 v16, vcc_lo, s2, v16
	s_wait_alu 0xfffd
	v_add_co_ci_u32_e64 v17, null, s3, v17, vcc_lo
	s_delay_alu instid0(VALU_DEP_3)
	v_lshlrev_b64_e32 v[42:43], 2, v[0:1]
	v_add_co_u32 v40, vcc_lo, s2, v38
	s_wait_alu 0xfffd
	v_add_co_ci_u32_e64 v41, null, s3, v39, vcc_lo
	v_add_co_u32 v38, vcc_lo, s0, v38
	s_wait_alu 0xfffd
	v_add_co_ci_u32_e64 v39, null, s1, v39, vcc_lo
	;; [unrolled: 3-line block ×4, first 2 shown]
	s_wait_loadcnt 0x1
	v_add_f32_e32 v20, v20, v91
	s_wait_loadcnt 0x0
	s_delay_alu instid0(VALU_DEP_1)
	v_add_f32_e32 v20, v20, v21
	s_clause 0x2
	global_load_b32 v21, v[18:19], off
	global_load_b32 v22, v[40:41], off
	;; [unrolled: 1-line block ×3, first 2 shown]
	v_add_co_u32 v18, vcc_lo, s2, v36
	s_wait_alu 0xfffd
	v_add_co_ci_u32_e64 v19, null, s3, v37, vcc_lo
	s_clause 0x1
	global_load_b32 v40, v[18:19], off
	global_load_b32 v57, v[18:19], off
	v_add_f32_e32 v20, v20, v82
	s_wait_loadcnt 0x4
	s_delay_alu instid0(VALU_DEP_1) | instskip(SKIP_1) | instid1(VALU_DEP_1)
	v_add_f32_e32 v18, v20, v21
	s_wait_loadcnt 0x1
	v_add_f32_e32 v18, v18, v40
	s_delay_alu instid0(VALU_DEP_1) | instskip(NEXT) | instid1(VALU_DEP_1)
	v_add_f32_e32 v18, v18, v22
	v_add_f32_e32 v18, v18, v99
	s_delay_alu instid0(VALU_DEP_1) | instskip(NEXT) | instid1(VALU_DEP_1)
	v_add_f32_e32 v40, v18, v23
	v_div_scale_f32 v18, null, v40, v40, 1.0
	s_delay_alu instid0(VALU_DEP_1) | instskip(NEXT) | instid1(TRANS32_DEP_1)
	v_rcp_f32_e32 v19, v18
	v_fma_f32 v20, -v18, v19, 1.0
	s_delay_alu instid0(VALU_DEP_1) | instskip(SKIP_1) | instid1(VALU_DEP_1)
	v_fmac_f32_e32 v19, v20, v19
	v_div_scale_f32 v20, vcc_lo, 1.0, v40, 1.0
	v_mul_f32_e32 v21, v20, v19
	s_delay_alu instid0(VALU_DEP_1) | instskip(NEXT) | instid1(VALU_DEP_1)
	v_fma_f32 v22, -v18, v21, v20
	v_fmac_f32_e32 v21, v22, v19
	s_delay_alu instid0(VALU_DEP_1) | instskip(SKIP_1) | instid1(VALU_DEP_1)
	v_fma_f32 v18, -v18, v21, v20
	s_wait_alu 0xfffd
	v_div_fmas_f32 v41, v18, v19, v21
	v_add_co_u32 v18, vcc_lo, s4, v44
	s_wait_alu 0xfffd
	v_add_co_ci_u32_e64 v19, null, s5, v45, vcc_lo
	v_add_co_u32 v20, vcc_lo, s0, v36
	s_wait_alu 0xfffd
	v_add_co_ci_u32_e64 v21, null, s1, v37, vcc_lo
	global_load_b32 v12, v[12:13], off
	s_clause 0x1
	global_load_b32 v2, v[2:3], off
	global_load_b32 v3, v[16:17], off
	s_clause 0x2
	global_load_b32 v36, v[38:39], off
	global_load_b32 v37, v[42:43], off
	;; [unrolled: 1-line block ×3, first 2 shown]
	s_wait_loadcnt 0x4
	v_add_f32_e32 v2, v12, v2
	s_wait_loadcnt 0x3
	s_delay_alu instid0(VALU_DEP_1) | instskip(SKIP_1) | instid1(VALU_DEP_1)
	v_add_f32_e32 v42, v2, v3
	v_mad_co_u64_u32 v[2:3], null, 0xffffffb9, s6, v[0:1]
	v_dual_mov_b32 v3, v1 :: v_dual_add_nc_u32 v0, s17, v2
	s_delay_alu instid0(VALU_DEP_1) | instskip(NEXT) | instid1(VALU_DEP_1)
	v_lshlrev_b64_e32 v[2:3], 2, v[2:3]
	v_add_co_u32 v12, vcc_lo, s0, v2
	s_wait_alu 0xfffd
	s_delay_alu instid0(VALU_DEP_2) | instskip(SKIP_3) | instid1(VALU_DEP_2)
	v_add_co_ci_u32_e64 v13, null, s1, v3, vcc_lo
	global_load_b32 v101, v[12:13], off
	v_lshlrev_b64_e32 v[12:13], 2, v[0:1]
	v_add_nc_u32_e32 v0, s6, v0
	v_add_co_u32 v16, vcc_lo, s0, v12
	s_wait_alu 0xfffd
	s_delay_alu instid0(VALU_DEP_3) | instskip(SKIP_3) | instid1(VALU_DEP_2)
	v_add_co_ci_u32_e64 v17, null, s1, v13, vcc_lo
	global_load_b32 v102, v[16:17], off
	v_lshlrev_b64_e32 v[16:17], 2, v[0:1]
	v_add_nc_u32_e32 v0, s13, v0
	v_add_co_u32 v20, vcc_lo, s0, v16
	s_wait_alu 0xfffd
	s_delay_alu instid0(VALU_DEP_3) | instskip(NEXT) | instid1(VALU_DEP_3)
	v_add_co_ci_u32_e64 v21, null, s1, v17, vcc_lo
	v_lshlrev_b64_e32 v[22:23], 2, v[0:1]
	v_add_nc_u32_e32 v0, s6, v0
	global_load_b32 v103, v[20:21], off
	v_add_co_u32 v20, vcc_lo, s0, v22
	v_lshlrev_b64_e32 v[38:39], 2, v[0:1]
	s_wait_alu 0xfffd
	v_add_co_ci_u32_e64 v21, null, s1, v23, vcc_lo
	v_add_nc_u32_e32 v0, s6, v0
	global_load_b32 v104, v[20:21], off
	v_add_co_u32 v20, vcc_lo, s0, v38
	s_wait_alu 0xfffd
	v_add_co_ci_u32_e64 v21, null, s1, v39, vcc_lo
	global_load_b32 v105, v[20:21], off
	s_wait_loadcnt 0x7
	v_add_f32_e32 v20, v42, v36
	v_div_fixup_f32 v21, v41, v40, 1.0
	s_wait_loadcnt 0x6
	s_delay_alu instid0(VALU_DEP_2) | instskip(NEXT) | instid1(VALU_DEP_1)
	v_add_f32_e32 v20, v20, v37
	v_mul_f32_e32 v20, v21, v20
	global_store_b32 v[18:19], v20, off
	v_add_f32_e32 v20, v90, v81
	v_add_co_u32 v18, vcc_lo, s4, v34
	s_wait_alu 0xfffd
	v_add_co_ci_u32_e64 v19, null, s5, v35, vcc_lo
	s_delay_alu instid0(VALU_DEP_3)
	v_mul_f32_e32 v20, v21, v20
	global_store_b32 v[18:19], v20, off
	v_add_co_u32 v18, vcc_lo, s4, v32
	s_wait_alu 0xfffd
	v_add_co_ci_u32_e64 v19, null, s5, v33, vcc_lo
	v_mul_f32_e32 v20, v21, v97
	v_add_co_u32 v14, vcc_lo, s4, v14
	s_wait_alu 0xfffd
	v_add_co_ci_u32_e64 v15, null, s5, v15, vcc_lo
	global_store_b32 v[18:19], v20, off
	v_add_co_u32 v20, vcc_lo, s2, v2
	s_wait_loadcnt 0x5
	v_mul_f32_e32 v18, v21, v75
	s_wait_alu 0xfffd
	v_add_co_ci_u32_e64 v21, null, s3, v3, vcc_lo
	v_add_co_u32 v36, vcc_lo, s2, v12
	s_wait_alu 0xfffd
	v_add_co_ci_u32_e64 v37, null, s3, v13, vcc_lo
	v_add_co_u32 v2, vcc_lo, s2, v16
	s_wait_alu 0xfffd
	v_add_co_ci_u32_e64 v3, null, s3, v17, vcc_lo
	v_lshlrev_b64_e32 v[16:17], 2, v[0:1]
	v_add_nc_u32_e32 v0, s6, v0
	global_store_b32 v[14:15], v18, off
	v_add_co_u32 v12, vcc_lo, s2, v22
	s_wait_alu 0xfffd
	v_add_co_ci_u32_e64 v13, null, s3, v23, vcc_lo
	v_lshlrev_b64_e32 v[18:19], 2, v[0:1]
	v_add_nc_u32_e32 v0, s6, v0
	v_add_co_u32 v14, vcc_lo, s2, v38
	s_wait_alu 0xfffd
	v_add_co_ci_u32_e64 v15, null, s3, v39, vcc_lo
	s_delay_alu instid0(VALU_DEP_3) | instskip(SKIP_4) | instid1(VALU_DEP_3)
	v_lshlrev_b64_e32 v[32:33], 2, v[0:1]
	v_add_nc_u32_e32 v0, s13, v0
	v_add_co_u32 v44, vcc_lo, s0, v16
	s_wait_alu 0xfffd
	v_add_co_ci_u32_e64 v45, null, s1, v17, vcc_lo
	v_lshlrev_b64_e32 v[34:35], 2, v[0:1]
	v_add_nc_u32_e32 v0, s6, v0
	v_add_co_u32 v16, vcc_lo, s2, v16
	s_wait_alu 0xfffd
	v_add_co_ci_u32_e64 v17, null, s3, v17, vcc_lo
	s_delay_alu instid0(VALU_DEP_3) | instskip(SKIP_4) | instid1(VALU_DEP_3)
	v_lshlrev_b64_e32 v[22:23], 2, v[0:1]
	v_add_nc_u32_e32 v0, s13, v0
	;; [unrolled: 11-line block ×3, first 2 shown]
	v_add_co_u32 v58, vcc_lo, s0, v22
	s_wait_alu 0xfffd
	v_add_co_ci_u32_e64 v59, null, s1, v23, vcc_lo
	v_lshlrev_b64_e32 v[42:43], 2, v[0:1]
	v_add_nc_u32_e32 v0, s15, v0
	v_add_co_u32 v22, vcc_lo, s2, v22
	s_wait_alu 0xfffd
	v_add_co_ci_u32_e64 v23, null, s3, v23, vcc_lo
	v_add_co_u32 v60, vcc_lo, s0, v38
	v_lshlrev_b64_e32 v[66:67], 2, v[0:1]
	v_add_nc_u32_e32 v0, s6, v0
	s_wait_alu 0xfffd
	v_add_co_ci_u32_e64 v61, null, s1, v39, vcc_lo
	v_add_co_u32 v38, vcc_lo, s2, v38
	s_wait_alu 0xfffd
	v_add_co_ci_u32_e64 v39, null, s3, v39, vcc_lo
	v_add_co_u32 v62, vcc_lo, s0, v40
	s_wait_alu 0xfffd
	v_add_co_ci_u32_e64 v63, null, s1, v41, vcc_lo
	v_add_co_u32 v40, vcc_lo, s2, v40
	v_lshlrev_b64_e32 v[70:71], 2, v[0:1]
	v_add_nc_u32_e32 v0, s14, v0
	s_wait_alu 0xfffd
	v_add_co_ci_u32_e64 v41, null, s3, v41, vcc_lo
	v_add_co_u32 v64, vcc_lo, s0, v42
	s_wait_alu 0xfffd
	v_add_co_ci_u32_e64 v65, null, s1, v43, vcc_lo
	v_add_co_u32 v42, vcc_lo, s2, v42
	v_lshlrev_b64_e32 v[81:82], 2, v[0:1]
	v_add_nc_u32_e32 v0, s6, v0
	s_wait_alu 0xfffd
	v_add_co_ci_u32_e64 v43, null, s3, v43, vcc_lo
	v_add_co_u32 v68, vcc_lo, s2, v66
	s_wait_alu 0xfffd
	v_add_co_ci_u32_e64 v69, null, s3, v67, vcc_lo
	v_add_co_u32 v66, vcc_lo, s0, v66
	;; [unrolled: 3-line block ×3, first 2 shown]
	v_lshlrev_b64_e32 v[87:88], 2, v[0:1]
	v_add_nc_u32_e32 v0, s9, v0
	s_wait_alu 0xfffd
	v_add_co_ci_u32_e64 v73, null, s3, v71, vcc_lo
	v_add_co_u32 v70, vcc_lo, s0, v70
	s_wait_alu 0xfffd
	v_add_co_ci_u32_e64 v71, null, s1, v71, vcc_lo
	v_add_co_u32 v83, vcc_lo, s2, v81
	v_lshlrev_b64_e32 v[91:92], 2, v[0:1]
	v_add_nc_u32_e32 v0, s11, v0
	s_wait_alu 0xfffd
	v_add_co_ci_u32_e64 v84, null, s3, v82, vcc_lo
	v_add_co_u32 v81, vcc_lo, s0, v81
	s_wait_alu 0xfffd
	v_add_co_ci_u32_e64 v82, null, s1, v82, vcc_lo
	v_add_co_u32 v89, vcc_lo, s2, v87
	;; [unrolled: 3-line block ×3, first 2 shown]
	v_lshlrev_b64_e32 v[97:98], 2, v[0:1]
	s_wait_alu 0xfffd
	v_add_co_ci_u32_e64 v88, null, s1, v88, vcc_lo
	v_add_co_u32 v94, vcc_lo, s2, v91
	s_wait_alu 0xfffd
	v_add_co_ci_u32_e64 v95, null, s3, v92, vcc_lo
	v_add_co_u32 v91, vcc_lo, s0, v91
	;; [unrolled: 3-line block ×5, first 2 shown]
	s_wait_alu 0xfffd
	v_add_co_ci_u32_e64 v7, null, s3, v7, vcc_lo
	s_wait_loadcnt 0x3
	v_add_f32_e32 v101, v101, v102
	s_wait_loadcnt 0x2
	s_delay_alu instid0(VALU_DEP_1) | instskip(NEXT) | instid1(VALU_DEP_1)
	v_add_f32_e32 v101, v101, v103
	v_add_f32_e32 v75, v101, v75
	s_clause 0x5
	global_load_b32 v101, v[44:45], off
	global_load_b32 v102, v[52:53], off
	;; [unrolled: 1-line block ×6, first 2 shown]
	s_clause 0x5
	global_load_b32 v62, v[68:69], off
	global_load_b32 v63, v[72:73], off
	;; [unrolled: 1-line block ×6, first 2 shown]
	v_add_co_u32 v44, vcc_lo, s0, v34
	s_wait_alu 0xfffd
	v_add_co_ci_u32_e64 v45, null, s1, v35, vcc_lo
	s_clause 0x1
	global_load_b32 v72, v[44:45], off
	global_load_b32 v52, v[44:45], off
	v_add_co_u32 v44, vcc_lo, s0, v32
	s_wait_alu 0xfffd
	v_add_co_ci_u32_e64 v45, null, s1, v33, vcc_lo
	s_clause 0x1
	global_load_b32 v73, v[44:45], off
	global_load_b32 v53, v[44:45], off
	s_wait_loadcnt 0x11
	v_add_f32_e32 v75, v75, v104
	s_clause 0x1
	global_load_b32 v45, v[20:21], off
	global_load_b32 v36, v[36:37], off
	s_wait_loadcnt 0x12
	v_add_f32_e32 v75, v75, v105
	s_wait_loadcnt 0x11
	s_delay_alu instid0(VALU_DEP_1) | instskip(SKIP_1) | instid1(VALU_DEP_1)
	v_add_f32_e32 v44, v75, v101
	s_wait_loadcnt 0x10
	v_add_f32_e32 v44, v44, v102
	s_wait_loadcnt 0x3
	s_delay_alu instid0(VALU_DEP_1) | instskip(SKIP_2) | instid1(VALU_DEP_2)
	v_add_f32_e32 v44, v44, v73
	s_wait_loadcnt 0x0
	v_add_f32_e32 v36, v45, v36
	v_add_f32_e32 v44, v44, v56
	s_delay_alu instid0(VALU_DEP_1) | instskip(NEXT) | instid1(VALU_DEP_1)
	v_add_f32_e32 v44, v44, v72
	v_add_f32_e32 v44, v44, v58
	s_delay_alu instid0(VALU_DEP_1) | instskip(NEXT) | instid1(VALU_DEP_1)
	;; [unrolled: 3-line block ×8, first 2 shown]
	v_div_scale_f32 v20, null, v37, v37, 1.0
	v_rcp_f32_e32 v21, v20
	s_delay_alu instid0(TRANS32_DEP_1) | instskip(NEXT) | instid1(VALU_DEP_1)
	v_fma_f32 v44, -v20, v21, 1.0
	v_fmac_f32_e32 v21, v44, v21
	v_div_scale_f32 v44, vcc_lo, 1.0, v37, 1.0
	s_delay_alu instid0(VALU_DEP_1) | instskip(NEXT) | instid1(VALU_DEP_1)
	v_mul_f32_e32 v55, v44, v21
	v_fma_f32 v56, -v20, v55, v44
	s_delay_alu instid0(VALU_DEP_1) | instskip(NEXT) | instid1(VALU_DEP_1)
	v_fmac_f32_e32 v55, v56, v21
	v_fma_f32 v20, -v20, v55, v44
	s_wait_alu 0xfffd
	s_delay_alu instid0(VALU_DEP_1)
	v_div_fmas_f32 v44, v20, v21, v55
	v_add_co_u32 v4, vcc_lo, s4, v4
	s_wait_alu 0xfffd
	v_add_co_ci_u32_e64 v5, null, s5, v5, vcc_lo
	v_add_co_u32 v20, vcc_lo, s2, v32
	s_wait_alu 0xfffd
	v_add_co_ci_u32_e64 v21, null, s3, v33, vcc_lo
	;; [unrolled: 3-line block ×3, first 2 shown]
	s_clause 0x8
	global_load_b32 v2, v[2:3], off
	global_load_b32 v3, v[12:13], off
	;; [unrolled: 1-line block ×9, first 2 shown]
	s_clause 0x5
	global_load_b32 v19, v[66:67], off
	global_load_b32 v22, v[70:71], off
	global_load_b32 v23, v[81:82], off
	global_load_b32 v34, v[87:88], off
	global_load_b32 v35, v[91:92], off
	global_load_b32 v38, v[97:98], off
	s_wait_loadcnt 0xe
	v_add_f32_e32 v2, v36, v2
	s_wait_loadcnt 0xd
	s_delay_alu instid0(VALU_DEP_1) | instskip(SKIP_1) | instid1(VALU_DEP_1)
	v_add_f32_e32 v2, v2, v3
	s_wait_loadcnt 0xc
	v_add_f32_e32 v2, v2, v12
	s_wait_loadcnt 0xb
	s_delay_alu instid0(VALU_DEP_1) | instskip(SKIP_1) | instid1(VALU_DEP_1)
	v_add_f32_e32 v2, v2, v13
	s_wait_loadcnt 0xa
	v_add_f32_e32 v2, v2, v14
	s_wait_loadcnt 0x9
	s_delay_alu instid0(VALU_DEP_1) | instskip(NEXT) | instid1(VALU_DEP_1)
	v_add_f32_e32 v2, v2, v15
	v_add_f32_e32 v2, v2, v54
	s_clause 0x3
	global_load_b32 v3, v[6:7], off
	global_load_b32 v54, v[32:33], off
	global_load_b32 v55, v[20:21], off
	global_load_b32 v56, v[6:7], off
	v_div_fixup_f32 v6, v44, v37, 1.0
	s_wait_loadcnt 0xc
	v_add_f32_e32 v2, v2, v16
	s_wait_loadcnt 0xb
	s_delay_alu instid0(VALU_DEP_1) | instskip(SKIP_1) | instid1(VALU_DEP_1)
	v_add_f32_e32 v2, v2, v17
	s_wait_loadcnt 0xa
	v_add_f32_e32 v2, v2, v18
	s_wait_loadcnt 0x9
	s_delay_alu instid0(VALU_DEP_1) | instskip(SKIP_1) | instid1(VALU_DEP_1)
	v_add_f32_e32 v2, v2, v19
	;; [unrolled: 5-line block ×4, first 2 shown]
	s_wait_loadcnt 0x4
	v_add_f32_e32 v2, v2, v38
	s_wait_loadcnt 0x3
	s_delay_alu instid0(VALU_DEP_1) | instskip(NEXT) | instid1(VALU_DEP_1)
	v_add_f32_e32 v2, v2, v3
	v_mul_f32_e32 v2, v6, v2
	global_store_b32 v[4:5], v2, off
	v_mad_co_u64_u32 v[2:3], null, 0xffffff92, s6, v[0:1]
	v_dual_mov_b32 v3, v1 :: v_dual_mul_f32 v0, v6, v85
	s_delay_alu instid0(VALU_DEP_1) | instskip(NEXT) | instid1(VALU_DEP_1)
	v_lshlrev_b64_e32 v[3:4], 2, v[2:3]
	v_add_co_u32 v3, vcc_lo, s4, v3
	s_wait_alu 0xfffd
	s_delay_alu instid0(VALU_DEP_2) | instskip(SKIP_3) | instid1(VALU_DEP_2)
	v_add_co_ci_u32_e64 v4, null, s5, v4, vcc_lo
	global_store_b32 v[3:4], v0, off
	v_add_nc_u32_e32 v0, s6, v2
	v_mul_f32_e32 v4, v6, v80
	v_lshlrev_b64_e32 v[2:3], 2, v[0:1]
	v_add_nc_u32_e32 v0, s16, v0
	s_delay_alu instid0(VALU_DEP_2) | instskip(SKIP_1) | instid1(VALU_DEP_3)
	v_add_co_u32 v2, vcc_lo, s4, v2
	s_wait_alu 0xfffd
	v_add_co_ci_u32_e64 v3, null, s5, v3, vcc_lo
	global_store_b32 v[2:3], v4, off
	v_add_f32_e32 v4, v96, v93
	v_add_co_u32 v2, vcc_lo, s4, v46
	s_wait_alu 0xfffd
	v_add_co_ci_u32_e64 v3, null, s5, v47, vcc_lo
	s_delay_alu instid0(VALU_DEP_3) | instskip(SKIP_4) | instid1(VALU_DEP_3)
	v_mul_f32_e32 v4, v6, v4
	global_store_b32 v[2:3], v4, off
	v_lshlrev_b64_e32 v[2:3], 2, v[0:1]
	v_mul_f32_e32 v4, v6, v57
	v_add_nc_u32_e32 v0, s14, v0
	v_add_co_u32 v2, vcc_lo, s4, v2
	s_wait_alu 0xfffd
	s_delay_alu instid0(VALU_DEP_4)
	v_add_co_ci_u32_e64 v3, null, s5, v3, vcc_lo
	global_store_b32 v[2:3], v4, off
	s_clause 0x1
	global_load_b32 v4, v[20:21], off
	global_load_b32 v5, v[32:33], off
	v_lshlrev_b64_e32 v[2:3], 2, v[0:1]
	s_delay_alu instid0(VALU_DEP_1) | instskip(SKIP_1) | instid1(VALU_DEP_2)
	v_add_co_u32 v2, vcc_lo, s4, v2
	s_wait_alu 0xfffd
	v_add_co_ci_u32_e64 v3, null, s5, v3, vcc_lo
	s_wait_loadcnt 0x0
	v_add_f32_e32 v4, v4, v5
	s_delay_alu instid0(VALU_DEP_1)
	v_mul_f32_e32 v4, v6, v4
	v_mad_co_u64_u32 v[6:7], null, 0x54, s6, v[0:1]
	v_mov_b32_e32 v7, v1
	global_store_b32 v[2:3], v4, off
	v_add_nc_u32_e32 v0, s6, v6
	v_lshlrev_b64_e32 v[6:7], 2, v[6:7]
	s_delay_alu instid0(VALU_DEP_2) | instskip(SKIP_1) | instid1(VALU_DEP_1)
	v_lshlrev_b64_e32 v[12:13], 2, v[0:1]
	v_add_nc_u32_e32 v0, s6, v0
	v_lshlrev_b64_e32 v[14:15], 2, v[0:1]
	v_add_nc_u32_e32 v0, s6, v0
	s_delay_alu instid0(VALU_DEP_1) | instskip(SKIP_1) | instid1(VALU_DEP_1)
	v_lshlrev_b64_e32 v[16:17], 2, v[0:1]
	v_add_nc_u32_e32 v0, s6, v0
	v_lshlrev_b64_e32 v[18:19], 2, v[0:1]
	v_add_nc_u32_e32 v0, s6, v0
	s_delay_alu instid0(VALU_DEP_1) | instskip(SKIP_1) | instid1(VALU_DEP_1)
	;; [unrolled: 5-line block ×3, first 2 shown]
	v_lshlrev_b64_e32 v[32:33], 2, v[0:1]
	v_add_nc_u32_e32 v0, s6, v0
	v_mad_co_u64_u32 v[4:5], null, 0xffffffac, s6, v[0:1]
	v_mov_b32_e32 v5, v1
	v_lshlrev_b64_e32 v[34:35], 2, v[0:1]
	s_delay_alu instid0(VALU_DEP_2) | instskip(SKIP_2) | instid1(VALU_DEP_2)
	v_mad_co_u64_u32 v[36:37], null, s6, 62, v[4:5]
	v_mov_b32_e32 v37, v1
	v_lshlrev_b64_e32 v[2:3], 2, v[4:5]
	v_lshlrev_b64_e32 v[4:5], 2, v[36:37]
	s_delay_alu instid0(VALU_DEP_2) | instskip(SKIP_1) | instid1(VALU_DEP_3)
	v_add_co_u32 v44, vcc_lo, s2, v2
	s_wait_alu 0xfffd
	v_add_co_ci_u32_e64 v45, null, s3, v3, vcc_lo
	v_add_co_u32 v2, vcc_lo, s0, v2
	s_wait_alu 0xfffd
	v_add_co_ci_u32_e64 v3, null, s1, v3, vcc_lo
	;; [unrolled: 3-line block ×21, first 2 shown]
	s_clause 0x8
	global_load_b32 v57, v[57:58], off
	global_load_b32 v58, v[59:60], off
	;; [unrolled: 1-line block ×9, first 2 shown]
	v_mad_co_u64_u32 v[36:37], null, s6, 24, v[36:37]
	v_mov_b32_e32 v37, v1
	v_add_co_u32 v34, vcc_lo, s2, v34
	s_wait_alu 0xfffd
	v_add_co_ci_u32_e64 v35, null, s3, v35, vcc_lo
	s_delay_alu instid0(VALU_DEP_4) | instskip(SKIP_1) | instid1(VALU_DEP_2)
	v_add_nc_u32_e32 v0, s6, v36
	v_lshlrev_b64_e32 v[36:37], 2, v[36:37]
	v_lshlrev_b64_e32 v[38:39], 2, v[0:1]
	v_add_nc_u32_e32 v0, s6, v0
	s_delay_alu instid0(VALU_DEP_3) | instskip(SKIP_1) | instid1(VALU_DEP_4)
	v_add_co_u32 v81, vcc_lo, s2, v36
	s_wait_alu 0xfffd
	v_add_co_ci_u32_e64 v82, null, s3, v37, vcc_lo
	s_delay_alu instid0(VALU_DEP_3)
	v_lshlrev_b64_e32 v[40:41], 2, v[0:1]
	v_add_nc_u32_e32 v0, s13, v0
	v_add_co_u32 v36, vcc_lo, s0, v36
	s_wait_alu 0xfffd
	v_add_co_ci_u32_e64 v37, null, s1, v37, vcc_lo
	v_add_co_u32 v83, vcc_lo, s2, v38
	s_wait_alu 0xfffd
	v_add_co_ci_u32_e64 v84, null, s3, v39, vcc_lo
	v_add_co_u32 v38, vcc_lo, s0, v38
	v_lshlrev_b64_e32 v[42:43], 2, v[0:1]
	s_wait_alu 0xfffd
	v_add_co_ci_u32_e64 v39, null, s1, v39, vcc_lo
	v_add_co_u32 v85, vcc_lo, s2, v40
	s_wait_alu 0xfffd
	v_add_co_ci_u32_e64 v86, null, s3, v41, vcc_lo
	v_add_co_u32 v40, vcc_lo, s0, v40
	;; [unrolled: 3-line block ×3, first 2 shown]
	s_wait_alu 0xfffd
	v_add_co_ci_u32_e64 v88, null, s3, v43, vcc_lo
	v_add_nc_u32_e32 v0, s8, v0
	v_add_co_u32 v42, vcc_lo, s0, v42
	s_wait_alu 0xfffd
	v_add_co_ci_u32_e64 v43, null, s1, v43, vcc_lo
	s_wait_loadcnt 0x7
	v_add_f32_e32 v57, v57, v58
	s_wait_loadcnt 0x6
	s_delay_alu instid0(VALU_DEP_1) | instskip(SKIP_4) | instid1(VALU_DEP_1)
	v_add_f32_e32 v57, v57, v59
	global_load_b32 v59, v[81:82], off
	s_wait_loadcnt 0x6
	v_add_f32_e32 v57, v57, v60
	s_wait_loadcnt 0x5
	v_add_f32_e32 v58, v57, v61
	global_load_b32 v57, v[44:45], off
	s_wait_loadcnt 0x5
	v_add_f32_e32 v44, v58, v62
	s_clause 0x3
	global_load_b32 v58, v[46:47], off
	global_load_b32 v61, v[83:84], off
	;; [unrolled: 1-line block ×4, first 2 shown]
	s_wait_loadcnt 0x8
	v_add_f32_e32 v44, v44, v63
	s_wait_loadcnt 0x7
	s_delay_alu instid0(VALU_DEP_1) | instskip(SKIP_1) | instid1(VALU_DEP_1)
	v_add_f32_e32 v44, v44, v64
	s_wait_loadcnt 0x6
	v_add_f32_e32 v63, v44, v65
	v_lshlrev_b64_e32 v[44:45], 2, v[0:1]
	v_add_nc_u32_e32 v0, s13, v0
	s_delay_alu instid0(VALU_DEP_2) | instskip(SKIP_1) | instid1(VALU_DEP_3)
	v_add_co_u32 v46, vcc_lo, s2, v44
	s_wait_alu 0xfffd
	v_add_co_ci_u32_e64 v47, null, s3, v45, vcc_lo
	s_clause 0x1
	global_load_b32 v64, v[46:47], off
	global_load_b32 v65, v[46:47], off
	s_wait_loadcnt 0x6
	v_add_f32_e32 v46, v63, v57
	s_wait_loadcnt 0x5
	s_delay_alu instid0(VALU_DEP_1) | instskip(SKIP_2) | instid1(VALU_DEP_3)
	v_add_f32_e32 v46, v46, v58
	v_lshlrev_b64_e32 v[57:58], 2, v[0:1]
	v_add_nc_u32_e32 v0, s14, v0
	v_add_f32_e32 v46, v46, v51
	s_delay_alu instid0(VALU_DEP_1) | instskip(SKIP_1) | instid1(VALU_DEP_1)
	v_add_f32_e32 v46, v46, v59
	s_wait_loadcnt 0x4
	v_add_f32_e32 v46, v46, v61
	s_wait_loadcnt 0x3
	s_delay_alu instid0(VALU_DEP_1) | instskip(NEXT) | instid1(VALU_DEP_1)
	v_add_f32_e32 v46, v46, v62
	v_add_f32_e32 v46, v46, v77
	s_wait_loadcnt 0x2
	s_delay_alu instid0(VALU_DEP_1) | instskip(SKIP_3) | instid1(VALU_DEP_3)
	v_add_f32_e32 v46, v46, v60
	v_lshlrev_b64_e32 v[59:60], 2, v[0:1]
	v_add_nc_u32_e32 v0, s7, v0
	s_wait_loadcnt 0x1
	v_add_f32_e32 v51, v46, v64
	s_delay_alu instid0(VALU_DEP_3)
	v_add_co_u32 v46, vcc_lo, s2, v59
	s_wait_alu 0xfffd
	v_add_co_ci_u32_e64 v47, null, s3, v60, vcc_lo
	v_add_co_u32 v61, vcc_lo, s2, v57
	s_wait_alu 0xfffd
	v_add_co_ci_u32_e64 v62, null, s3, v58, vcc_lo
	s_clause 0x3
	global_load_b32 v63, v[46:47], off
	global_load_b32 v46, v[46:47], off
	;; [unrolled: 1-line block ×4, first 2 shown]
	s_clause 0x1
	global_load_b32 v2, v[2:3], off
	global_load_b32 v3, v[4:5], off
	s_clause 0x8
	global_load_b32 v4, v[6:7], off
	global_load_b32 v5, v[12:13], off
	;; [unrolled: 1-line block ×9, first 2 shown]
	s_clause 0x2
	global_load_b32 v17, v[36:37], off
	global_load_b32 v18, v[38:39], off
	;; [unrolled: 1-line block ×3, first 2 shown]
	s_wait_loadcnt 0xc
	v_add_f32_e32 v2, v2, v3
	global_load_b32 v3, v[42:43], off
	s_wait_loadcnt 0xc
	v_add_f32_e32 v2, v2, v4
	s_wait_loadcnt 0xb
	s_delay_alu instid0(VALU_DEP_1) | instskip(SKIP_1) | instid1(VALU_DEP_1)
	v_dual_add_f32 v2, v2, v5 :: v_dual_add_f32 v47, v51, v47
	s_wait_loadcnt 0xa
	v_dual_add_f32 v2, v2, v6 :: v_dual_add_f32 v47, v47, v63
	s_wait_loadcnt 0x9
	s_delay_alu instid0(VALU_DEP_1) | instskip(NEXT) | instid1(VALU_DEP_2)
	v_add_f32_e32 v2, v2, v7
	v_div_scale_f32 v51, null, v47, v47, 1.0
	s_wait_loadcnt 0x8
	s_delay_alu instid0(VALU_DEP_2) | instskip(NEXT) | instid1(VALU_DEP_2)
	v_add_f32_e32 v2, v2, v12
	v_rcp_f32_e32 v62, v51
	s_wait_loadcnt 0x7
	s_delay_alu instid0(VALU_DEP_1) | instskip(SKIP_1) | instid1(VALU_DEP_1)
	v_add_f32_e32 v2, v2, v13
	s_wait_loadcnt 0x6
	v_add_f32_e32 v2, v2, v14
	s_delay_alu instid0(TRANS32_DEP_1) | instskip(SKIP_1) | instid1(VALU_DEP_2)
	v_fma_f32 v63, -v51, v62, 1.0
	s_wait_loadcnt 0x5
	v_add_f32_e32 v2, v2, v15
	s_delay_alu instid0(VALU_DEP_2) | instskip(SKIP_2) | instid1(VALU_DEP_3)
	v_fmac_f32_e32 v62, v63, v62
	v_div_scale_f32 v63, vcc_lo, 1.0, v47, 1.0
	s_wait_loadcnt 0x4
	v_add_f32_e32 v2, v2, v16
	s_delay_alu instid0(VALU_DEP_2) | instskip(NEXT) | instid1(VALU_DEP_2)
	v_mul_f32_e32 v64, v63, v62
	v_add_f32_e32 v2, v2, v50
	s_delay_alu instid0(VALU_DEP_2) | instskip(SKIP_1) | instid1(VALU_DEP_2)
	v_fma_f32 v66, -v51, v64, v63
	s_wait_loadcnt 0x3
	v_add_f32_e32 v2, v2, v17
	s_delay_alu instid0(VALU_DEP_2) | instskip(SKIP_1) | instid1(VALU_DEP_2)
	v_fmac_f32_e32 v64, v66, v62
	s_wait_loadcnt 0x2
	v_add_f32_e32 v2, v2, v18
	s_delay_alu instid0(VALU_DEP_2) | instskip(SKIP_1) | instid1(VALU_DEP_2)
	v_fma_f32 v51, -v51, v64, v63
	s_wait_loadcnt 0x1
	v_add_f32_e32 v2, v2, v19
	s_wait_alu 0xfffd
	s_delay_alu instid0(VALU_DEP_2) | instskip(SKIP_3) | instid1(VALU_DEP_3)
	v_div_fmas_f32 v51, v51, v62, v64
	v_add_co_u32 v8, vcc_lo, s4, v8
	s_wait_alu 0xfffd
	v_add_co_ci_u32_e64 v9, null, s5, v9, vcc_lo
	v_div_fixup_f32 v7, v51, v47, 1.0
	v_add_co_u32 v44, vcc_lo, s0, v44
	s_wait_alu 0xfffd
	v_add_co_ci_u32_e64 v45, null, s1, v45, vcc_lo
	v_add_co_u32 v57, vcc_lo, s0, v57
	s_wait_alu 0xfffd
	v_add_co_ci_u32_e64 v58, null, s1, v58, vcc_lo
	s_clause 0x2
	global_load_b32 v23, v[44:45], off
	global_load_b32 v6, v[57:58], off
	;; [unrolled: 1-line block ×3, first 2 shown]
	v_mul_f32_e32 v4, v7, v76
	s_wait_loadcnt 0x3
	v_add_f32_e32 v2, v2, v3
	s_delay_alu instid0(VALU_DEP_1) | instskip(NEXT) | instid1(VALU_DEP_1)
	v_add_f32_e32 v2, v2, v49
	v_add_f32_e32 v2, v2, v56
	s_delay_alu instid0(VALU_DEP_1)
	v_mul_f32_e32 v2, v7, v2
	global_store_b32 v[8:9], v2, off
	v_add_co_u32 v2, vcc_lo, s4, v26
	s_wait_alu 0xfffd
	v_add_co_ci_u32_e64 v3, null, s5, v27, vcc_lo
	global_store_b32 v[2:3], v4, off
	v_add_co_u32 v2, vcc_lo, s4, v30
	s_wait_alu 0xfffd
	v_add_co_ci_u32_e64 v3, null, s5, v31, vcc_lo
	v_mul_f32_e32 v4, v7, v78
	global_store_b32 v[2:3], v4, off
	v_add_co_u32 v2, vcc_lo, s0, v59
	s_wait_alu 0xfffd
	v_add_co_ci_u32_e64 v3, null, s1, v60, vcc_lo
	v_add_co_u32 v4, vcc_lo, s4, v28
	s_wait_alu 0xfffd
	v_add_co_ci_u32_e64 v5, null, s5, v29, vcc_lo
	global_load_b32 v8, v[2:3], off
	s_wait_loadcnt 0x2
	v_add_f32_e32 v6, v23, v6
	s_wait_loadcnt 0x0
	s_delay_alu instid0(VALU_DEP_1) | instskip(NEXT) | instid1(VALU_DEP_1)
	v_add_f32_e32 v6, v6, v8
	v_mul_f32_e32 v6, v7, v6
	global_store_b32 v[4:5], v6, off
	v_lshlrev_b64_e32 v[4:5], 2, v[0:1]
	v_add_nc_u32_e32 v0, s6, v0
	s_delay_alu instid0(VALU_DEP_1) | instskip(SKIP_1) | instid1(VALU_DEP_1)
	v_lshlrev_b64_e32 v[6:7], 2, v[0:1]
	v_add_nc_u32_e32 v0, s13, v0
	v_lshlrev_b64_e32 v[8:9], 2, v[0:1]
	v_add_nc_u32_e32 v0, s6, v0
	s_delay_alu instid0(VALU_DEP_1) | instskip(SKIP_1) | instid1(VALU_DEP_1)
	v_lshlrev_b64_e32 v[12:13], 2, v[0:1]
	v_add_nc_u32_e32 v0, s6, v0
	;; [unrolled: 5-line block ×3, first 2 shown]
	v_mad_co_u64_u32 v[18:19], null, 0xffffffe4, s6, v[0:1]
	v_mov_b32_e32 v19, v1
	v_lshlrev_b64_e32 v[38:39], 2, v[0:1]
	s_delay_alu instid0(VALU_DEP_2) | instskip(NEXT) | instid1(VALU_DEP_1)
	v_lshlrev_b64_e32 v[19:20], 2, v[18:19]
	v_add_co_u32 v21, vcc_lo, s2, v19
	s_wait_alu 0xfffd
	s_delay_alu instid0(VALU_DEP_2)
	v_add_co_ci_u32_e64 v22, null, s3, v20, vcc_lo
	v_add_co_u32 v19, vcc_lo, s0, v19
	s_wait_alu 0xfffd
	v_add_co_ci_u32_e64 v20, null, s1, v20, vcc_lo
	v_add_co_u32 v26, vcc_lo, s0, v4
	s_wait_alu 0xfffd
	;; [unrolled: 3-line block ×14, first 2 shown]
	v_add_co_ci_u32_e64 v41, null, s1, v39, vcc_lo
	s_clause 0x6
	global_load_b32 v0, v[26:27], off
	global_load_b32 v4, v[4:5], off
	;; [unrolled: 1-line block ×9, first 2 shown]
	v_add_co_u32 v38, vcc_lo, s2, v38
	s_wait_alu 0xfffd
	v_add_co_ci_u32_e64 v39, null, s3, v39, vcc_lo
	s_wait_loadcnt 0x7
	v_add_f32_e32 v0, v0, v4
	s_delay_alu instid0(VALU_DEP_1) | instskip(SKIP_1) | instid1(VALU_DEP_1)
	v_add_f32_e32 v0, v0, v48
	s_wait_loadcnt 0x6
	v_add_f32_e32 v0, v0, v5
	s_wait_loadcnt 0x5
	s_delay_alu instid0(VALU_DEP_1) | instskip(SKIP_1) | instid1(VALU_DEP_1)
	v_add_f32_e32 v0, v0, v26
	s_wait_loadcnt 0x4
	v_add_f32_e32 v0, v0, v27
	s_wait_loadcnt 0x3
	;; [unrolled: 5-line block ×3, first 2 shown]
	s_delay_alu instid0(VALU_DEP_1) | instskip(NEXT) | instid1(VALU_DEP_1)
	v_add_f32_e32 v0, v0, v21
	v_add_f32_e32 v0, v0, v55
	s_delay_alu instid0(VALU_DEP_1) | instskip(NEXT) | instid1(VALU_DEP_1)
	v_add_f32_e32 v54, v0, v54
	v_div_scale_f32 v0, null, v54, v54, 1.0
	s_delay_alu instid0(VALU_DEP_1) | instskip(NEXT) | instid1(TRANS32_DEP_1)
	v_rcp_f32_e32 v2, v0
	v_fma_f32 v3, -v0, v2, 1.0
	s_delay_alu instid0(VALU_DEP_1) | instskip(SKIP_1) | instid1(VALU_DEP_1)
	v_fmac_f32_e32 v2, v3, v2
	v_div_scale_f32 v3, vcc_lo, 1.0, v54, 1.0
	v_mul_f32_e32 v4, v3, v2
	s_delay_alu instid0(VALU_DEP_1) | instskip(NEXT) | instid1(VALU_DEP_1)
	v_fma_f32 v5, -v0, v4, v3
	v_fmac_f32_e32 v4, v5, v2
	s_delay_alu instid0(VALU_DEP_1) | instskip(SKIP_1) | instid1(VALU_DEP_1)
	v_fma_f32 v0, -v0, v4, v3
	s_wait_alu 0xfffd
	v_div_fmas_f32 v55, v0, v2, v4
	v_add_co_u32 v2, vcc_lo, s4, v10
	s_wait_alu 0xfffd
	v_add_co_ci_u32_e64 v3, null, s5, v11, vcc_lo
	v_mad_co_u64_u32 v[10:11], null, 0xffffffe9, s6, v[18:19]
	v_mov_b32_e32 v11, v1
	s_delay_alu instid0(VALU_DEP_1) | instskip(SKIP_2) | instid1(VALU_DEP_3)
	v_lshlrev_b64_e32 v[4:5], 2, v[10:11]
	v_mad_co_u64_u32 v[10:11], null, 0x61, s6, v[10:11]
	v_mov_b32_e32 v11, v1
	v_add_co_u32 v4, vcc_lo, s4, v4
	s_wait_alu 0xfffd
	s_delay_alu instid0(VALU_DEP_4) | instskip(NEXT) | instid1(VALU_DEP_4)
	v_add_co_ci_u32_e64 v5, null, s5, v5, vcc_lo
	v_add_nc_u32_e32 v0, s13, v10
	v_lshlrev_b64_e32 v[10:11], 2, v[10:11]
	s_delay_alu instid0(VALU_DEP_2) | instskip(SKIP_1) | instid1(VALU_DEP_1)
	v_lshlrev_b64_e32 v[21:22], 2, v[0:1]
	v_add_nc_u32_e32 v0, s6, v0
	v_lshlrev_b64_e32 v[26:27], 2, v[0:1]
	v_add_nc_u32_e32 v0, s13, v0
	s_delay_alu instid0(VALU_DEP_1) | instskip(SKIP_2) | instid1(VALU_DEP_3)
	v_mad_co_u64_u32 v[30:31], null, 0xffffffdc, s6, v[0:1]
	v_mov_b32_e32 v31, v1
	v_lshlrev_b64_e32 v[32:33], 2, v[0:1]
	v_add_nc_u32_e32 v0, s10, v30
	s_delay_alu instid0(VALU_DEP_3) | instskip(NEXT) | instid1(VALU_DEP_2)
	v_lshlrev_b64_e32 v[30:31], 2, v[30:31]
	v_lshlrev_b64_e32 v[36:37], 2, v[0:1]
	s_delay_alu instid0(VALU_DEP_2) | instskip(SKIP_1) | instid1(VALU_DEP_3)
	v_add_co_u32 v34, vcc_lo, s2, v30
	s_wait_alu 0xfffd
	v_add_co_ci_u32_e64 v35, null, s3, v31, vcc_lo
	v_add_co_u32 v30, vcc_lo, s0, v30
	s_wait_alu 0xfffd
	v_add_co_ci_u32_e64 v31, null, s1, v31, vcc_lo
	;; [unrolled: 3-line block ×12, first 2 shown]
	s_clause 0x1
	global_load_b32 v18, v[42:43], off
	global_load_b32 v19, v[19:20], off
	;; [unrolled: 1-line block ×6, first 2 shown]
	s_clause 0x1
	global_load_b32 v8, v[8:9], off
	global_load_b32 v9, v[12:13], off
	;; [unrolled: 1-line block ×3, first 2 shown]
	s_clause 0x2
	global_load_b32 v13, v[14:15], off
	global_load_b32 v14, v[34:35], off
	;; [unrolled: 1-line block ×3, first 2 shown]
	s_clause 0x1
	global_load_b32 v16, v[30:31], off
	global_load_b32 v17, v[36:37], off
	s_clause 0x5
	global_load_b32 v29, v[40:41], off
	global_load_b32 v30, v[38:39], off
	;; [unrolled: 1-line block ×6, first 2 shown]
	s_wait_loadcnt 0x13
	v_add_f32_e32 v18, v23, v18
	s_wait_loadcnt 0x11
	s_delay_alu instid0(VALU_DEP_1) | instskip(SKIP_1) | instid1(VALU_DEP_1)
	v_dual_add_f32 v19, v19, v20 :: v_dual_add_f32 v18, v18, v57
	s_wait_loadcnt 0xf
	v_add_f32_e32 v6, v19, v6
	s_delay_alu instid0(VALU_DEP_2) | instskip(SKIP_1) | instid1(VALU_DEP_2)
	v_add_f32_e32 v18, v18, v28
	s_wait_loadcnt 0xd
	v_add_f32_e32 v6, v6, v8
	s_wait_loadcnt 0x6
	v_add_f32_e32 v8, v16, v17
	v_dual_add_f32 v16, v65, v61 :: v_dual_add_f32 v7, v18, v7
	s_delay_alu instid0(VALU_DEP_3) | instskip(NEXT) | instid1(VALU_DEP_2)
	v_add_f32_e32 v6, v6, v9
	v_dual_add_f32 v16, v16, v46 :: v_dual_add_f32 v7, v7, v51
	s_delay_alu instid0(VALU_DEP_1) | instskip(NEXT) | instid1(VALU_DEP_1)
	v_dual_add_f32 v6, v6, v13 :: v_dual_add_f32 v7, v7, v12
	v_dual_add_f32 v6, v6, v15 :: v_dual_add_f32 v15, v53, v52
	s_delay_alu instid0(VALU_DEP_2) | instskip(SKIP_1) | instid1(VALU_DEP_2)
	v_add_f32_e32 v7, v7, v14
	s_wait_loadcnt 0x4
	v_add_f32_e32 v6, v6, v30
	s_wait_loadcnt 0x3
	s_delay_alu instid0(VALU_DEP_2) | instskip(NEXT) | instid1(VALU_DEP_1)
	v_dual_add_f32 v12, v7, v29 :: v_dual_add_f32 v7, v8, v10
	v_div_scale_f32 v8, null, v12, v12, 1.0
	s_wait_loadcnt 0x2
	s_delay_alu instid0(VALU_DEP_2) | instskip(NEXT) | instid1(VALU_DEP_2)
	v_add_f32_e32 v11, v7, v11
	v_rcp_f32_e32 v9, v8
	s_wait_loadcnt 0x1
	s_delay_alu instid0(VALU_DEP_1) | instskip(NEXT) | instid1(TRANS32_DEP_1)
	v_add_f32_e32 v11, v11, v21
	v_fma_f32 v10, -v8, v9, 1.0
	s_delay_alu instid0(VALU_DEP_1) | instskip(SKIP_1) | instid1(VALU_DEP_1)
	v_fmac_f32_e32 v9, v10, v9
	v_div_scale_f32 v10, vcc_lo, 1.0, v12, 1.0
	v_mul_f32_e32 v13, v10, v9
	s_delay_alu instid0(VALU_DEP_1) | instskip(NEXT) | instid1(VALU_DEP_1)
	v_fma_f32 v14, -v8, v13, v10
	v_fmac_f32_e32 v13, v14, v9
	v_div_fixup_f32 v14, v55, v54, 1.0
	s_delay_alu instid0(VALU_DEP_2) | instskip(NEXT) | instid1(VALU_DEP_2)
	v_fma_f32 v10, -v8, v13, v10
	v_mul_f32_e32 v6, v14, v6
	v_mul_f32_e32 v7, v14, v74
	;; [unrolled: 1-line block ×3, first 2 shown]
	s_wait_loadcnt 0x0
	v_add_f32_e32 v14, v11, v22
	s_wait_alu 0xfffd
	v_div_fmas_f32 v13, v10, v9, v13
	v_mad_co_u64_u32 v[9:10], null, 0xffffffb0, s6, v[0:1]
	v_mov_b32_e32 v10, v1
	s_delay_alu instid0(VALU_DEP_3)
	v_div_fixup_f32 v15, v13, v12, 1.0
	v_add_co_u32 v12, vcc_lo, s4, v24
	s_wait_alu 0xfffd
	v_add_co_ci_u32_e64 v13, null, s5, v25, vcc_lo
	v_add_nc_u32_e32 v0, s12, v9
	v_lshlrev_b64_e32 v[10:11], 2, v[9:10]
	v_mul_f32_e32 v14, v15, v14
	s_delay_alu instid0(VALU_DEP_3) | instskip(NEXT) | instid1(VALU_DEP_3)
	v_lshlrev_b64_e32 v[0:1], 2, v[0:1]
	v_add_co_u32 v9, vcc_lo, s4, v10
	s_wait_alu 0xfffd
	s_delay_alu instid0(VALU_DEP_4) | instskip(NEXT) | instid1(VALU_DEP_3)
	v_add_co_ci_u32_e64 v10, null, s5, v11, vcc_lo
	v_add_co_u32 v0, vcc_lo, s4, v0
	v_mul_f32_e32 v11, v15, v16
	s_wait_alu 0xfffd
	v_add_co_ci_u32_e64 v1, null, s5, v1, vcc_lo
	s_clause 0x4
	global_store_b32 v[2:3], v6, off
	global_store_b32 v[4:5], v7, off
	;; [unrolled: 1-line block ×5, first 2 shown]
	s_nop 0
	s_sendmsg sendmsg(MSG_DEALLOC_VGPRS)
	s_endpgm
	.section	.rodata,"a",@progbits
	.p2align	6, 0x0
	.amdhsa_kernel _Z11qssa_kernelIfEvPT_S1_S1_
		.amdhsa_group_segment_fixed_size 0
		.amdhsa_private_segment_fixed_size 0
		.amdhsa_kernarg_size 280
		.amdhsa_user_sgpr_count 2
		.amdhsa_user_sgpr_dispatch_ptr 0
		.amdhsa_user_sgpr_queue_ptr 0
		.amdhsa_user_sgpr_kernarg_segment_ptr 1
		.amdhsa_user_sgpr_dispatch_id 0
		.amdhsa_user_sgpr_private_segment_size 0
		.amdhsa_wavefront_size32 1
		.amdhsa_uses_dynamic_stack 0
		.amdhsa_enable_private_segment 0
		.amdhsa_system_sgpr_workgroup_id_x 1
		.amdhsa_system_sgpr_workgroup_id_y 0
		.amdhsa_system_sgpr_workgroup_id_z 0
		.amdhsa_system_sgpr_workgroup_info 0
		.amdhsa_system_vgpr_workitem_id 0
		.amdhsa_next_free_vgpr 135
		.amdhsa_next_free_sgpr 19
		.amdhsa_reserve_vcc 1
		.amdhsa_float_round_mode_32 0
		.amdhsa_float_round_mode_16_64 0
		.amdhsa_float_denorm_mode_32 3
		.amdhsa_float_denorm_mode_16_64 3
		.amdhsa_fp16_overflow 0
		.amdhsa_workgroup_processor_mode 1
		.amdhsa_memory_ordered 1
		.amdhsa_forward_progress 1
		.amdhsa_inst_pref_size 136
		.amdhsa_round_robin_scheduling 0
		.amdhsa_exception_fp_ieee_invalid_op 0
		.amdhsa_exception_fp_denorm_src 0
		.amdhsa_exception_fp_ieee_div_zero 0
		.amdhsa_exception_fp_ieee_overflow 0
		.amdhsa_exception_fp_ieee_underflow 0
		.amdhsa_exception_fp_ieee_inexact 0
		.amdhsa_exception_int_div_zero 0
	.end_amdhsa_kernel
	.section	.text._Z11qssa_kernelIfEvPT_S1_S1_,"axG",@progbits,_Z11qssa_kernelIfEvPT_S1_S1_,comdat
.Lfunc_end16:
	.size	_Z11qssa_kernelIfEvPT_S1_S1_, .Lfunc_end16-_Z11qssa_kernelIfEvPT_S1_S1_
                                        ; -- End function
	.set _Z11qssa_kernelIfEvPT_S1_S1_.num_vgpr, 135
	.set _Z11qssa_kernelIfEvPT_S1_S1_.num_agpr, 0
	.set _Z11qssa_kernelIfEvPT_S1_S1_.numbered_sgpr, 19
	.set _Z11qssa_kernelIfEvPT_S1_S1_.num_named_barrier, 0
	.set _Z11qssa_kernelIfEvPT_S1_S1_.private_seg_size, 0
	.set _Z11qssa_kernelIfEvPT_S1_S1_.uses_vcc, 1
	.set _Z11qssa_kernelIfEvPT_S1_S1_.uses_flat_scratch, 0
	.set _Z11qssa_kernelIfEvPT_S1_S1_.has_dyn_sized_stack, 0
	.set _Z11qssa_kernelIfEvPT_S1_S1_.has_recursion, 0
	.set _Z11qssa_kernelIfEvPT_S1_S1_.has_indirect_call, 0
	.section	.AMDGPU.csdata,"",@progbits
; Kernel info:
; codeLenInByte = 17380
; TotalNumSgprs: 21
; NumVgprs: 135
; ScratchSize: 0
; MemoryBound: 0
; FloatMode: 240
; IeeeMode: 1
; LDSByteSize: 0 bytes/workgroup (compile time only)
; SGPRBlocks: 0
; VGPRBlocks: 16
; NumSGPRsForWavesPerEU: 21
; NumVGPRsForWavesPerEU: 135
; Occupancy: 10
; WaveLimiterHint : 0
; COMPUTE_PGM_RSRC2:SCRATCH_EN: 0
; COMPUTE_PGM_RSRC2:USER_SGPR: 2
; COMPUTE_PGM_RSRC2:TRAP_HANDLER: 0
; COMPUTE_PGM_RSRC2:TGID_X_EN: 1
; COMPUTE_PGM_RSRC2:TGID_Y_EN: 0
; COMPUTE_PGM_RSRC2:TGID_Z_EN: 0
; COMPUTE_PGM_RSRC2:TIDIG_COMP_CNT: 0
	.section	.text._Z12qssab_kernelIfEvPT_S1_S1_,"axG",@progbits,_Z12qssab_kernelIfEvPT_S1_S1_,comdat
	.protected	_Z12qssab_kernelIfEvPT_S1_S1_ ; -- Begin function _Z12qssab_kernelIfEvPT_S1_S1_
	.globl	_Z12qssab_kernelIfEvPT_S1_S1_
	.p2align	8
	.type	_Z12qssab_kernelIfEvPT_S1_S1_,@function
_Z12qssab_kernelIfEvPT_S1_S1_:          ; @_Z12qssab_kernelIfEvPT_S1_S1_
; %bb.0:
	s_clause 0x1
	s_load_b32 s3, s[0:1], 0x24
	s_load_b96 s[0:2], s[0:1], 0x10
	v_mov_b32_e32 v13, 0
	s_wait_kmcnt 0x0
	s_and_b32 s3, s3, 0xffff
	s_delay_alu instid0(SALU_CYCLE_1)
	s_mul_i32 s2, s2, s3
	s_mul_i32 s3, ttmp9, s3
	s_mul_i32 s4, s2, 0x57
	s_mul_i32 s5, s2, 0xffffffc6
	v_add3_u32 v12, s4, s3, v0
	s_mul_i32 s8, s2, 5
	s_mul_i32 s4, s2, 3
	s_lshl_b32 s3, s2, 1
	s_mul_i32 s9, s2, 7
	v_mad_co_u64_u32 v[0:1], null, s2, 10, v[12:13]
	v_mov_b32_e32 v1, v13
	v_lshlrev_b64_e32 v[2:3], 2, v[12:13]
	s_mul_i32 s6, s2, 9
	s_mul_i32 s7, s2, -3
	s_delay_alu instid0(VALU_DEP_2) | instskip(SKIP_3) | instid1(VALU_DEP_1)
	v_mad_co_u64_u32 v[4:5], null, s2, 12, v[0:1]
	v_mov_b32_e32 v5, v13
	v_lshlrev_b64_e32 v[0:1], 2, v[0:1]
	v_add_co_u32 v18, vcc_lo, s0, v2
	v_add_co_ci_u32_e64 v19, null, s1, v3, vcc_lo
	s_delay_alu instid0(VALU_DEP_4) | instskip(NEXT) | instid1(VALU_DEP_4)
	v_lshlrev_b64_e32 v[2:3], 2, v[4:5]
	v_add_co_u32 v0, vcc_lo, s0, v0
	s_wait_alu 0xfffd
	v_add_co_ci_u32_e64 v1, null, s1, v1, vcc_lo
	v_lshl_add_u32 v12, s2, 3, v4
	s_delay_alu instid0(VALU_DEP_4)
	v_add_co_u32 v2, vcc_lo, s0, v2
	s_wait_alu 0xfffd
	v_add_co_ci_u32_e64 v3, null, s1, v3, vcc_lo
	s_clause 0x2
	global_load_b32 v5, v[18:19], off
	global_load_b32 v6, v[0:1], off
	;; [unrolled: 1-line block ×3, first 2 shown]
	v_lshlrev_b64_e32 v[2:3], 2, v[12:13]
	s_delay_alu instid0(VALU_DEP_1) | instskip(SKIP_1) | instid1(VALU_DEP_2)
	v_add_co_u32 v2, vcc_lo, s0, v2
	s_wait_alu 0xfffd
	v_add_co_ci_u32_e64 v3, null, s1, v3, vcc_lo
	s_wait_loadcnt 0x0
	v_fmac_f32_e32 v5, v6, v7
	global_store_b32 v[18:19], v5, off
	s_clause 0x1
	global_load_b32 v0, v[0:1], off
	global_load_b32 v1, v[2:3], off
	s_wait_loadcnt 0x0
	v_fma_f32 v2, -v0, v1, 1.0
	s_delay_alu instid0(VALU_DEP_1) | instskip(SKIP_1) | instid1(VALU_DEP_2)
	v_div_scale_f32 v0, null, v2, v2, 1.0
	v_div_scale_f32 v4, vcc_lo, 1.0, v2, 1.0
	v_rcp_f32_e32 v3, v0
	s_delay_alu instid0(TRANS32_DEP_1) | instskip(NEXT) | instid1(VALU_DEP_1)
	v_fma_f32 v1, -v0, v3, 1.0
	v_fmac_f32_e32 v3, v1, v3
	s_delay_alu instid0(VALU_DEP_1) | instskip(NEXT) | instid1(VALU_DEP_1)
	v_mul_f32_e32 v6, v4, v3
	v_fma_f32 v1, -v0, v6, v4
	s_delay_alu instid0(VALU_DEP_1) | instskip(NEXT) | instid1(VALU_DEP_1)
	v_fmac_f32_e32 v6, v1, v3
	v_fma_f32 v4, -v0, v6, v4
	v_mad_co_u64_u32 v[0:1], null, 0xffffffe6, s2, v[12:13]
	v_mov_b32_e32 v1, v13
	s_wait_alu 0xfffd
	s_delay_alu instid0(VALU_DEP_3) | instskip(NEXT) | instid1(VALU_DEP_3)
	v_div_fmas_f32 v3, v4, v3, v6
	v_subrev_nc_u32_e32 v12, s2, v0
	s_delay_alu instid0(VALU_DEP_2) | instskip(SKIP_1) | instid1(VALU_DEP_1)
	v_div_fixup_f32 v8, v3, v2, 1.0
	v_lshlrev_b64_e32 v[1:2], 2, v[0:1]
	v_add_co_u32 v28, vcc_lo, s0, v1
	s_delay_alu instid0(VALU_DEP_4) | instskip(SKIP_2) | instid1(VALU_DEP_4)
	v_lshlrev_b64_e32 v[0:1], 2, v[12:13]
	v_add_nc_u32_e32 v12, s5, v12
	s_wait_alu 0xfffd
	v_add_co_ci_u32_e64 v29, null, s1, v2, vcc_lo
	s_delay_alu instid0(VALU_DEP_3)
	v_add_co_u32 v30, vcc_lo, s0, v0
	s_wait_alu 0xfffd
	v_add_co_ci_u32_e64 v31, null, s1, v1, vcc_lo
	v_lshlrev_b64_e32 v[0:1], 2, v[12:13]
	v_add_nc_u32_e32 v12, s8, v12
	v_mul_f32_e32 v3, v5, v8
	s_delay_alu instid0(VALU_DEP_2)
	v_lshlrev_b64_e32 v[4:5], 2, v[12:13]
	global_store_b32 v[18:19], v3, off
	global_load_b32 v2, v[28:29], off
	v_add_co_u32 v0, vcc_lo, s0, v0
	s_wait_alu 0xfffd
	v_add_co_ci_u32_e64 v1, null, s1, v1, vcc_lo
	s_wait_loadcnt 0x0
	v_mul_f32_e32 v2, v2, v8
	global_store_b32 v[28:29], v2, off
	global_load_b32 v9, v[30:31], off
	v_mad_co_u64_u32 v[2:3], null, s2, 17, v[12:13]
	v_mov_b32_e32 v3, v13
	s_delay_alu instid0(VALU_DEP_1)
	v_lshlrev_b64_e32 v[6:7], 2, v[2:3]
	v_add_co_u32 v3, vcc_lo, s0, v4
	s_wait_alu 0xfffd
	v_add_co_ci_u32_e64 v4, null, s1, v5, vcc_lo
	s_wait_alu 0xfffe
	v_add_nc_u32_e32 v12, s4, v2
	v_add_co_u32 v5, vcc_lo, s0, v6
	s_wait_alu 0xfffd
	v_add_co_ci_u32_e64 v6, null, s1, v7, vcc_lo
	s_wait_loadcnt 0x0
	v_mul_f32_e32 v8, v8, v9
	global_store_b32 v[30:31], v8, off
	s_clause 0x2
	global_load_b32 v7, v[0:1], off
	global_load_b32 v8, v[3:4], off
	;; [unrolled: 1-line block ×3, first 2 shown]
	v_lshlrev_b64_e32 v[5:6], 2, v[12:13]
	s_delay_alu instid0(VALU_DEP_1) | instskip(SKIP_1) | instid1(VALU_DEP_2)
	v_add_co_u32 v5, vcc_lo, s0, v5
	s_wait_alu 0xfffd
	v_add_co_ci_u32_e64 v6, null, s1, v6, vcc_lo
	s_wait_loadcnt 0x0
	v_fmac_f32_e32 v7, v8, v9
	global_store_b32 v[0:1], v7, off
	s_clause 0x1
	global_load_b32 v2, v[3:4], off
	global_load_b32 v3, v[5:6], off
	s_wait_loadcnt 0x0
	v_fma_f32 v2, -v2, v3, 1.0
	s_delay_alu instid0(VALU_DEP_1) | instskip(SKIP_1) | instid1(VALU_DEP_2)
	v_div_scale_f32 v3, null, v2, v2, 1.0
	v_div_scale_f32 v5, vcc_lo, 1.0, v2, 1.0
	v_rcp_f32_e32 v6, v3
	s_delay_alu instid0(TRANS32_DEP_1) | instskip(NEXT) | instid1(VALU_DEP_1)
	v_fma_f32 v4, -v3, v6, 1.0
	v_fmac_f32_e32 v6, v4, v6
	s_delay_alu instid0(VALU_DEP_1) | instskip(NEXT) | instid1(VALU_DEP_1)
	v_mul_f32_e32 v8, v5, v6
	v_fma_f32 v4, -v3, v8, v5
	s_delay_alu instid0(VALU_DEP_1) | instskip(NEXT) | instid1(VALU_DEP_1)
	v_fmac_f32_e32 v8, v4, v6
	v_fma_f32 v3, -v3, v8, v5
	v_mad_co_u64_u32 v[4:5], null, 0xffffffeb, s2, v[12:13]
	s_wait_alu 0xfffd
	s_delay_alu instid0(VALU_DEP_2) | instskip(NEXT) | instid1(VALU_DEP_2)
	v_div_fmas_f32 v3, v3, v6, v8
	v_subrev_nc_u32_e32 v12, s3, v4
	s_delay_alu instid0(VALU_DEP_2) | instskip(SKIP_1) | instid1(VALU_DEP_1)
	v_div_fixup_f32 v22, v3, v2, 1.0
	v_mov_b32_e32 v5, v13
	v_lshlrev_b64_e32 v[2:3], 2, v[4:5]
	s_delay_alu instid0(VALU_DEP_3) | instskip(NEXT) | instid1(VALU_DEP_2)
	v_mul_f32_e32 v5, v7, v22
	v_add_co_u32 v2, vcc_lo, s0, v2
	s_wait_alu 0xfffd
	s_delay_alu instid0(VALU_DEP_3)
	v_add_co_ci_u32_e64 v3, null, s1, v3, vcc_lo
	global_store_b32 v[0:1], v5, off
	v_lshlrev_b64_e32 v[4:5], 2, v[12:13]
	v_subrev_nc_u32_e32 v12, s2, v12
	global_load_b32 v6, v[2:3], off
	s_wait_loadcnt 0x0
	v_mul_f32_e32 v8, v6, v22
	v_add_co_u32 v6, vcc_lo, s0, v4
	s_wait_alu 0xfffd
	v_add_co_ci_u32_e64 v7, null, s1, v5, vcc_lo
	global_store_b32 v[2:3], v8, off
	v_lshlrev_b64_e32 v[4:5], 2, v[12:13]
	v_add_nc_u32_e32 v12, s9, v12
	global_load_b32 v8, v[6:7], off
	v_add_co_u32 v20, vcc_lo, s0, v4
	s_wait_alu 0xfffd
	v_add_co_ci_u32_e64 v21, null, s1, v5, vcc_lo
	v_lshlrev_b64_e32 v[4:5], 2, v[12:13]
	v_subrev_nc_u32_e32 v12, s3, v12
	s_delay_alu instid0(VALU_DEP_2) | instskip(SKIP_1) | instid1(VALU_DEP_3)
	v_add_co_u32 v34, vcc_lo, s0, v4
	s_wait_alu 0xfffd
	v_add_co_ci_u32_e64 v35, null, s1, v5, vcc_lo
	s_delay_alu instid0(VALU_DEP_3) | instskip(SKIP_1) | instid1(VALU_DEP_2)
	v_lshlrev_b64_e32 v[4:5], 2, v[12:13]
	v_add_nc_u32_e32 v12, s8, v12
	v_add_co_u32 v32, vcc_lo, s0, v4
	s_wait_alu 0xfffd
	s_delay_alu instid0(VALU_DEP_3) | instskip(NEXT) | instid1(VALU_DEP_3)
	v_add_co_ci_u32_e64 v33, null, s1, v5, vcc_lo
	v_lshlrev_b64_e32 v[4:5], 2, v[12:13]
	v_add_nc_u32_e32 v12, s6, v12
	s_delay_alu instid0(VALU_DEP_1) | instskip(NEXT) | instid1(VALU_DEP_3)
	v_lshlrev_b64_e32 v[10:11], 2, v[12:13]
	v_add_co_u32 v4, vcc_lo, s0, v4
	s_wait_alu 0xfffd
	s_delay_alu instid0(VALU_DEP_4) | instskip(NEXT) | instid1(VALU_DEP_3)
	v_add_co_ci_u32_e64 v5, null, s1, v5, vcc_lo
	v_add_co_u32 v16, vcc_lo, s0, v10
	s_wait_alu 0xfffd
	v_add_co_ci_u32_e64 v17, null, s1, v11, vcc_lo
	s_wait_loadcnt 0x0
	v_mul_f32_e32 v8, v22, v8
	global_store_b32 v[6:7], v8, off
	global_load_b32 v8, v[20:21], off
	s_wait_loadcnt 0x0
	v_mul_f32_e32 v8, v22, v8
	global_store_b32 v[20:21], v8, off
	global_load_b32 v8, v[34:35], off
	;; [unrolled: 4-line block ×3, first 2 shown]
	v_mad_co_u64_u32 v[8:9], null, s2, 46, v[12:13]
	v_mov_b32_e32 v9, v13
	s_delay_alu instid0(VALU_DEP_1) | instskip(NEXT) | instid1(VALU_DEP_1)
	v_lshlrev_b64_e32 v[14:15], 2, v[8:9]
	v_add_co_u32 v24, vcc_lo, s0, v14
	s_wait_alu 0xfffd
	s_delay_alu instid0(VALU_DEP_2)
	v_add_co_ci_u32_e64 v25, null, s1, v15, vcc_lo
	s_wait_loadcnt 0x0
	v_mul_f32_e32 v9, v22, v23
	global_store_b32 v[32:33], v9, off
	s_clause 0x2
	global_load_b32 v12, v[4:5], off
	global_load_b32 v26, v[16:17], off
	;; [unrolled: 1-line block ×3, first 2 shown]
	v_mad_co_u64_u32 v[8:9], null, 0xffffffd0, s2, v[8:9]
	v_mov_b32_e32 v9, v13
	s_delay_alu instid0(VALU_DEP_1) | instskip(SKIP_2) | instid1(VALU_DEP_2)
	v_mad_co_u64_u32 v[14:15], null, s2, 55, v[8:9]
	v_mov_b32_e32 v15, v13
	v_lshlrev_b64_e32 v[8:9], 2, v[8:9]
	v_lshlrev_b64_e32 v[22:23], 2, v[14:15]
	s_delay_alu instid0(VALU_DEP_2) | instskip(SKIP_1) | instid1(VALU_DEP_3)
	v_add_co_u32 v10, vcc_lo, s0, v8
	s_wait_alu 0xfffd
	v_add_co_ci_u32_e64 v11, null, s1, v9, vcc_lo
	s_wait_loadcnt 0x0
	v_fmac_f32_e32 v12, v26, v27
	v_add_co_u32 v26, vcc_lo, s0, v22
	s_wait_alu 0xfffd
	v_add_co_ci_u32_e64 v27, null, s1, v23, vcc_lo
	global_store_b32 v[4:5], v12, off
	s_clause 0x2
	global_load_b32 v15, v[10:11], off
	global_load_b32 v22, v[26:27], off
	;; [unrolled: 1-line block ×3, first 2 shown]
	v_add_nc_u32_e32 v12, s7, v14
	s_delay_alu instid0(VALU_DEP_1) | instskip(NEXT) | instid1(VALU_DEP_1)
	v_lshlrev_b64_e32 v[8:9], 2, v[12:13]
	v_add_co_u32 v36, vcc_lo, s0, v8
	s_wait_alu 0xfffd
	s_delay_alu instid0(VALU_DEP_2)
	v_add_co_ci_u32_e64 v37, null, s1, v9, vcc_lo
	s_wait_loadcnt 0x0
	v_fmac_f32_e32 v15, v23, v22
	global_store_b32 v[10:11], v15, off
	s_clause 0x2
	global_load_b32 v8, v[16:17], off
	global_load_b32 v9, v[36:37], off
	;; [unrolled: 1-line block ×3, first 2 shown]
	s_wait_loadcnt 0x1
	v_fma_f32 v8, -v8, v9, 1.0
	s_delay_alu instid0(VALU_DEP_1) | instskip(SKIP_1) | instid1(VALU_DEP_2)
	v_div_scale_f32 v9, null, v8, v8, 1.0
	v_div_scale_f32 v15, vcc_lo, 1.0, v8, 1.0
	v_rcp_f32_e32 v17, v9
	s_delay_alu instid0(TRANS32_DEP_1) | instskip(NEXT) | instid1(VALU_DEP_1)
	v_fma_f32 v14, -v9, v17, 1.0
	v_fmac_f32_e32 v17, v14, v17
	s_delay_alu instid0(VALU_DEP_1) | instskip(NEXT) | instid1(VALU_DEP_1)
	v_mul_f32_e32 v22, v15, v17
	v_fma_f32 v14, -v9, v22, v15
	s_delay_alu instid0(VALU_DEP_1) | instskip(NEXT) | instid1(VALU_DEP_1)
	v_fmac_f32_e32 v22, v14, v17
	v_fma_f32 v9, -v9, v22, v15
	v_mad_co_u64_u32 v[14:15], null, 0xffffffc8, s2, v[12:13]
	v_mov_b32_e32 v15, v13
	s_wait_alu 0xfffd
	s_delay_alu instid0(VALU_DEP_3) | instskip(NEXT) | instid1(VALU_DEP_1)
	v_div_fmas_f32 v9, v9, v17, v22
	v_div_fixup_f32 v40, v9, v8, 1.0
	s_delay_alu instid0(VALU_DEP_3) | instskip(SKIP_1) | instid1(VALU_DEP_2)
	v_lshlrev_b64_e32 v[8:9], 2, v[14:15]
	s_wait_loadcnt 0x0
	v_mul_f32_e32 v12, v16, v40
	s_delay_alu instid0(VALU_DEP_2) | instskip(SKIP_1) | instid1(VALU_DEP_3)
	v_add_co_u32 v8, vcc_lo, s0, v8
	s_wait_alu 0xfffd
	v_add_co_ci_u32_e64 v9, null, s1, v9, vcc_lo
	global_store_b32 v[4:5], v12, off
	global_load_b32 v12, v[8:9], off
	s_wait_loadcnt 0x0
	v_mul_f32_e32 v12, v12, v40
	global_store_b32 v[8:9], v12, off
	global_load_b32 v16, v[10:11], off
	v_subrev_nc_u32_e32 v12, s2, v14
	s_delay_alu instid0(VALU_DEP_1) | instskip(SKIP_1) | instid1(VALU_DEP_2)
	v_lshlrev_b64_e32 v[14:15], 2, v[12:13]
	v_subrev_nc_u32_e32 v12, s2, v12
	v_add_co_u32 v22, vcc_lo, s0, v14
	s_wait_alu 0xfffd
	s_delay_alu instid0(VALU_DEP_3) | instskip(NEXT) | instid1(VALU_DEP_3)
	v_add_co_ci_u32_e64 v23, null, s1, v15, vcc_lo
	v_lshlrev_b64_e32 v[14:15], 2, v[12:13]
	v_add_nc_u32_e32 v12, s9, v12
	s_delay_alu instid0(VALU_DEP_2) | instskip(SKIP_1) | instid1(VALU_DEP_3)
	v_add_co_u32 v38, vcc_lo, s0, v14
	s_wait_alu 0xfffd
	v_add_co_ci_u32_e64 v39, null, s1, v15, vcc_lo
	s_delay_alu instid0(VALU_DEP_3) | instskip(NEXT) | instid1(VALU_DEP_1)
	v_lshlrev_b64_e32 v[14:15], 2, v[12:13]
	v_add_co_u32 v48, vcc_lo, s0, v14
	s_wait_alu 0xfffd
	s_delay_alu instid0(VALU_DEP_2) | instskip(SKIP_1) | instid1(VALU_DEP_1)
	v_add_co_ci_u32_e64 v49, null, s1, v15, vcc_lo
	v_mad_co_u64_u32 v[14:15], null, s2, 25, v[12:13]
	v_dual_mov_b32 v15, v13 :: v_dual_add_nc_u32 v12, s6, v14
	s_delay_alu instid0(VALU_DEP_1) | instskip(SKIP_1) | instid1(VALU_DEP_1)
	v_lshlrev_b64_e32 v[14:15], 2, v[14:15]
	s_mul_i32 s6, s2, -5
	v_add_co_u32 v14, vcc_lo, s0, v14
	s_wait_alu 0xfffd
	s_delay_alu instid0(VALU_DEP_2)
	v_add_co_ci_u32_e64 v15, null, s1, v15, vcc_lo
	s_wait_loadcnt 0x0
	v_mul_f32_e32 v16, v40, v16
	global_store_b32 v[10:11], v16, off
	global_load_b32 v16, v[22:23], off
	s_wait_loadcnt 0x0
	v_mul_f32_e32 v16, v40, v16
	global_store_b32 v[22:23], v16, off
	global_load_b32 v16, v[38:39], off
	;; [unrolled: 4-line block ×3, first 2 shown]
	v_lshlrev_b64_e32 v[16:17], 2, v[12:13]
	s_wait_alu 0xfffe
	v_add_nc_u32_e32 v12, s6, v12
	s_wait_loadcnt 0x0
	v_mul_f32_e32 v42, v40, v41
	s_delay_alu instid0(VALU_DEP_3)
	v_add_co_u32 v40, vcc_lo, s0, v16
	s_wait_alu 0xfffd
	v_add_co_ci_u32_e64 v41, null, s1, v17, vcc_lo
	global_store_b32 v[48:49], v42, off
	s_clause 0x2
	global_load_b32 v42, v[14:15], off
	global_load_b32 v43, v[40:41], off
	;; [unrolled: 1-line block ×3, first 2 shown]
	v_lshlrev_b64_e32 v[16:17], 2, v[12:13]
	v_subrev_nc_u32_e32 v12, s3, v12
	s_delay_alu instid0(VALU_DEP_2) | instskip(SKIP_1) | instid1(VALU_DEP_3)
	v_add_co_u32 v16, vcc_lo, s0, v16
	s_wait_alu 0xfffd
	v_add_co_ci_u32_e64 v17, null, s1, v17, vcc_lo
	s_wait_loadcnt 0x0
	v_fmac_f32_e32 v42, v43, v24
	global_store_b32 v[14:15], v42, off
	s_clause 0x2
	global_load_b32 v24, v[16:17], off
	global_load_b32 v25, v[40:41], off
	;; [unrolled: 1-line block ×3, first 2 shown]
	s_wait_loadcnt 0x0
	v_fmac_f32_e32 v24, v25, v36
	global_store_b32 v[16:17], v24, off
	s_clause 0x2
	global_load_b32 v24, v[40:41], off
	global_load_b32 v25, v[26:27], off
	;; [unrolled: 1-line block ×3, first 2 shown]
	s_wait_loadcnt 0x1
	v_fma_f32 v24, -v24, v25, 1.0
	s_delay_alu instid0(VALU_DEP_1) | instskip(SKIP_1) | instid1(VALU_DEP_2)
	v_div_scale_f32 v25, null, v24, v24, 1.0
	v_div_scale_f32 v37, vcc_lo, 1.0, v24, 1.0
	v_rcp_f32_e32 v27, v25
	s_delay_alu instid0(TRANS32_DEP_1) | instskip(NEXT) | instid1(VALU_DEP_1)
	v_fma_f32 v36, -v25, v27, 1.0
	v_fmac_f32_e32 v27, v36, v27
	s_delay_alu instid0(VALU_DEP_1) | instskip(NEXT) | instid1(VALU_DEP_1)
	v_mul_f32_e32 v36, v37, v27
	v_fma_f32 v40, -v25, v36, v37
	s_delay_alu instid0(VALU_DEP_1) | instskip(NEXT) | instid1(VALU_DEP_1)
	v_fmac_f32_e32 v36, v40, v27
	v_fma_f32 v25, -v25, v36, v37
	s_wait_alu 0xfffd
	s_delay_alu instid0(VALU_DEP_1) | instskip(NEXT) | instid1(VALU_DEP_1)
	v_div_fmas_f32 v25, v25, v27, v36
	v_div_fixup_f32 v44, v25, v24, 1.0
	s_wait_loadcnt 0x0
	s_delay_alu instid0(VALU_DEP_1) | instskip(SKIP_4) | instid1(VALU_DEP_2)
	v_mul_f32_e32 v24, v26, v44
	global_store_b32 v[14:15], v24, off
	global_load_b32 v26, v[16:17], off
	v_lshlrev_b64_e32 v[24:25], 2, v[12:13]
	v_subrev_nc_u32_e32 v12, s2, v12
	v_add_co_u32 v24, vcc_lo, s0, v24
	s_wait_alu 0xfffd
	s_delay_alu instid0(VALU_DEP_3)
	v_add_co_ci_u32_e64 v25, null, s1, v25, vcc_lo
	s_wait_loadcnt 0x0
	v_mul_f32_e32 v26, v26, v44
	global_store_b32 v[16:17], v26, off
	global_load_b32 v36, v[24:25], off
	v_lshlrev_b64_e32 v[26:27], 2, v[12:13]
	v_add_nc_u32_e32 v12, s8, v12
	s_wait_loadcnt 0x0
	v_mul_f32_e32 v40, v44, v36
	s_delay_alu instid0(VALU_DEP_3)
	v_add_co_u32 v36, vcc_lo, s0, v26
	s_wait_alu 0xfffd
	v_add_co_ci_u32_e64 v37, null, s1, v27, vcc_lo
	global_store_b32 v[24:25], v40, off
	v_lshlrev_b64_e32 v[26:27], 2, v[12:13]
	global_load_b32 v40, v[36:37], off
	s_wait_loadcnt 0x0
	v_mul_f32_e32 v42, v44, v40
	v_add_co_u32 v40, vcc_lo, s0, v26
	s_wait_alu 0xfffd
	v_add_co_ci_u32_e64 v41, null, s1, v27, vcc_lo
	global_store_b32 v[36:37], v42, off
	v_mad_co_u64_u32 v[26:27], null, 0xffffffef, s2, v[12:13]
	global_load_b32 v45, v[40:41], off
	v_mov_b32_e32 v27, v13
	s_delay_alu instid0(VALU_DEP_1) | instskip(NEXT) | instid1(VALU_DEP_1)
	v_lshlrev_b64_e32 v[42:43], 2, v[26:27]
	v_add_co_u32 v42, vcc_lo, s0, v42
	s_wait_alu 0xfffd
	s_delay_alu instid0(VALU_DEP_2)
	v_add_co_ci_u32_e64 v43, null, s1, v43, vcc_lo
	s_wait_loadcnt 0x0
	v_mul_f32_e32 v12, v44, v45
	global_store_b32 v[40:41], v12, off
	s_clause 0x2
	global_load_b32 v44, v[0:1], off
	global_load_b32 v45, v[32:33], off
	;; [unrolled: 1-line block ×3, first 2 shown]
	v_add_nc_u32_e32 v12, s9, v26
	s_delay_alu instid0(VALU_DEP_1) | instskip(SKIP_2) | instid1(VALU_DEP_2)
	v_lshlrev_b64_e32 v[26:27], 2, v[12:13]
	s_wait_loadcnt 0x0
	v_fmac_f32_e32 v44, v45, v46
	v_add_co_u32 v46, vcc_lo, s0, v26
	s_wait_alu 0xfffd
	s_delay_alu instid0(VALU_DEP_3)
	v_add_co_ci_u32_e64 v47, null, s1, v27, vcc_lo
	global_store_b32 v[0:1], v44, off
	s_clause 0x1
	global_load_b32 v52, v[32:33], off
	global_load_b32 v53, v[46:47], off
	v_mad_co_u64_u32 v[26:27], null, 0xffffffdf, s2, v[12:13]
	v_mov_b32_e32 v27, v13
	s_delay_alu instid0(VALU_DEP_1) | instskip(SKIP_2) | instid1(VALU_DEP_2)
	v_mad_co_u64_u32 v[44:45], null, s2, 28, v[26:27]
	v_mov_b32_e32 v45, v13
	v_lshlrev_b64_e32 v[26:27], 2, v[26:27]
	v_lshlrev_b64_e32 v[50:51], 2, v[44:45]
	s_delay_alu instid0(VALU_DEP_2) | instskip(SKIP_1) | instid1(VALU_DEP_3)
	v_add_co_u32 v26, vcc_lo, s0, v26
	s_wait_alu 0xfffd
	v_add_co_ci_u32_e64 v27, null, s1, v27, vcc_lo
	s_delay_alu instid0(VALU_DEP_3)
	v_add_co_u32 v50, vcc_lo, s0, v50
	s_wait_alu 0xfffd
	v_add_co_ci_u32_e64 v51, null, s1, v51, vcc_lo
	s_wait_loadcnt 0x0
	v_mul_f32_e32 v12, v52, v53
	global_store_b32 v[26:27], v12, off
	s_clause 0x2
	global_load_b32 v52, v[6:7], off
	global_load_b32 v53, v[32:33], off
	;; [unrolled: 1-line block ×3, first 2 shown]
	v_add_nc_u32_e32 v12, s2, v44
	s_delay_alu instid0(VALU_DEP_1) | instskip(NEXT) | instid1(VALU_DEP_1)
	v_lshlrev_b64_e32 v[44:45], 2, v[12:13]
	v_add_co_u32 v44, vcc_lo, s0, v44
	s_wait_alu 0xfffd
	s_delay_alu instid0(VALU_DEP_2)
	v_add_co_ci_u32_e64 v45, null, s1, v45, vcc_lo
	s_wait_loadcnt 0x0
	v_fmac_f32_e32 v52, v53, v54
	global_store_b32 v[6:7], v52, off
	s_clause 0x2
	global_load_b32 v32, v[32:33], off
	global_load_b32 v33, v[44:45], off
	global_load_b32 v52, v[0:1], off
	s_wait_loadcnt 0x1
	v_fma_f32 v32, -v32, v33, 1.0
	s_delay_alu instid0(VALU_DEP_1) | instskip(SKIP_1) | instid1(VALU_DEP_2)
	v_div_scale_f32 v33, null, v32, v32, 1.0
	v_div_scale_f32 v55, vcc_lo, 1.0, v32, 1.0
	v_rcp_f32_e32 v53, v33
	s_delay_alu instid0(TRANS32_DEP_1) | instskip(NEXT) | instid1(VALU_DEP_1)
	v_fma_f32 v54, -v33, v53, 1.0
	v_fmac_f32_e32 v53, v54, v53
	s_delay_alu instid0(VALU_DEP_1) | instskip(NEXT) | instid1(VALU_DEP_1)
	v_mul_f32_e32 v54, v55, v53
	v_fma_f32 v56, -v33, v54, v55
	s_delay_alu instid0(VALU_DEP_1) | instskip(NEXT) | instid1(VALU_DEP_1)
	v_fmac_f32_e32 v54, v56, v53
	v_fma_f32 v33, -v33, v54, v55
	s_wait_alu 0xfffd
	s_delay_alu instid0(VALU_DEP_1) | instskip(NEXT) | instid1(VALU_DEP_1)
	v_div_fmas_f32 v33, v33, v53, v54
	v_div_fixup_f32 v32, v33, v32, 1.0
	s_wait_loadcnt 0x0
	s_delay_alu instid0(VALU_DEP_1)
	v_mul_f32_e32 v33, v52, v32
	global_store_b32 v[0:1], v33, off
	global_load_b32 v33, v[2:3], off
	s_wait_loadcnt 0x0
	v_mul_f32_e32 v33, v33, v32
	global_store_b32 v[2:3], v33, off
	global_load_b32 v33, v[26:27], off
	s_wait_loadcnt 0x0
	;; [unrolled: 4-line block ×5, first 2 shown]
	v_mul_f32_e32 v32, v32, v33
	global_store_b32 v[34:35], v32, off
	s_clause 0x2
	global_load_b32 v32, v[14:15], off
	global_load_b32 v33, v[40:41], off
	;; [unrolled: 1-line block ×3, first 2 shown]
	s_wait_loadcnt 0x0
	v_fmac_f32_e32 v32, v33, v52
	v_mad_co_u64_u32 v[52:53], null, s2, 11, v[12:13]
	v_mov_b32_e32 v53, v13
	global_store_b32 v[14:15], v32, off
	s_clause 0x1
	global_load_b32 v54, v[40:41], off
	global_load_b32 v55, v[44:45], off
	v_lshlrev_b64_e32 v[32:33], 2, v[52:53]
	s_delay_alu instid0(VALU_DEP_1) | instskip(SKIP_1) | instid1(VALU_DEP_2)
	v_add_co_u32 v32, vcc_lo, s0, v32
	s_wait_alu 0xfffd
	v_add_co_ci_u32_e64 v33, null, s1, v33, vcc_lo
	s_wait_loadcnt 0x0
	v_mul_f32_e32 v12, v54, v55
	global_store_b32 v[32:33], v12, off
	s_clause 0x2
	global_load_b32 v12, v[24:25], off
	global_load_b32 v53, v[40:41], off
	global_load_b32 v54, v[50:51], off
	s_wait_loadcnt 0x0
	v_fmac_f32_e32 v12, v53, v54
	global_store_b32 v[24:25], v12, off
	s_clause 0x2
	global_load_b32 v12, v[40:41], off
	global_load_b32 v40, v[46:47], off
	;; [unrolled: 1-line block ×3, first 2 shown]
	s_wait_loadcnt 0x1
	v_fma_f32 v12, -v12, v40, 1.0
	s_delay_alu instid0(VALU_DEP_1) | instskip(SKIP_1) | instid1(VALU_DEP_2)
	v_div_scale_f32 v40, null, v12, v12, 1.0
	v_div_scale_f32 v55, vcc_lo, 1.0, v12, 1.0
	v_rcp_f32_e32 v53, v40
	s_delay_alu instid0(TRANS32_DEP_1) | instskip(NEXT) | instid1(VALU_DEP_1)
	v_fma_f32 v54, -v40, v53, 1.0
	v_fmac_f32_e32 v53, v54, v53
	s_delay_alu instid0(VALU_DEP_1) | instskip(NEXT) | instid1(VALU_DEP_1)
	v_mul_f32_e32 v54, v55, v53
	v_fma_f32 v56, -v40, v54, v55
	s_delay_alu instid0(VALU_DEP_1) | instskip(NEXT) | instid1(VALU_DEP_1)
	v_fmac_f32_e32 v54, v56, v53
	v_fma_f32 v40, -v40, v54, v55
	s_wait_alu 0xfffd
	s_delay_alu instid0(VALU_DEP_1) | instskip(NEXT) | instid1(VALU_DEP_1)
	v_div_fmas_f32 v40, v40, v53, v54
	v_div_fixup_f32 v55, v40, v12, 1.0
	s_wait_loadcnt 0x0
	s_delay_alu instid0(VALU_DEP_1)
	v_mul_f32_e32 v12, v41, v55
	global_store_b32 v[14:15], v12, off
	global_load_b32 v12, v[16:17], off
	s_wait_loadcnt 0x0
	v_mul_f32_e32 v12, v12, v55
	global_store_b32 v[16:17], v12, off
	global_load_b32 v12, v[32:33], off
	s_wait_loadcnt 0x0
	;; [unrolled: 4-line block ×3, first 2 shown]
	v_mul_f32_e32 v12, v55, v12
	global_store_b32 v[24:25], v12, off
	global_load_b32 v56, v[36:37], off
	v_add_nc_u32_e32 v12, s5, v52
	s_lshl_b32 s5, s2, 2
	s_delay_alu instid0(VALU_DEP_1) | instskip(SKIP_2) | instid1(VALU_DEP_2)
	v_mad_co_u64_u32 v[52:53], null, s2, 6, v[12:13]
	v_mov_b32_e32 v53, v13
	v_lshlrev_b64_e32 v[40:41], 2, v[12:13]
	v_lshlrev_b64_e32 v[53:54], 2, v[52:53]
	s_delay_alu instid0(VALU_DEP_2) | instskip(SKIP_1) | instid1(VALU_DEP_3)
	v_add_co_u32 v40, vcc_lo, s0, v40
	s_wait_alu 0xfffd
	v_add_co_ci_u32_e64 v41, null, s1, v41, vcc_lo
	s_delay_alu instid0(VALU_DEP_3)
	v_add_co_u32 v53, vcc_lo, s0, v53
	s_wait_alu 0xfffd
	v_add_co_ci_u32_e64 v54, null, s1, v54, vcc_lo
	s_wait_loadcnt 0x0
	v_mul_f32_e32 v12, v55, v56
	global_store_b32 v[36:37], v12, off
	s_clause 0x2
	global_load_b32 v55, v[40:41], off
	global_load_b32 v56, v[53:54], off
	;; [unrolled: 1-line block ×3, first 2 shown]
	v_add_nc_u32_e32 v12, s7, v52
	s_delay_alu instid0(VALU_DEP_1) | instskip(SKIP_2) | instid1(VALU_DEP_2)
	v_lshlrev_b64_e32 v[42:43], 2, v[12:13]
	s_wait_alu 0xfffe
	v_add_nc_u32_e32 v12, s5, v12
	v_add_co_u32 v42, vcc_lo, s0, v42
	s_wait_alu 0xfffd
	s_delay_alu instid0(VALU_DEP_3)
	v_add_co_ci_u32_e64 v43, null, s1, v43, vcc_lo
	s_wait_loadcnt 0x0
	v_fmac_f32_e32 v55, v56, v57
	global_store_b32 v[40:41], v55, off
	s_clause 0x2
	global_load_b32 v52, v[42:43], off
	global_load_b32 v55, v[53:54], off
	;; [unrolled: 1-line block ×3, first 2 shown]
	v_lshlrev_b64_e32 v[44:45], 2, v[12:13]
	v_add_nc_u32_e32 v12, s7, v12
	s_delay_alu instid0(VALU_DEP_2) | instskip(SKIP_1) | instid1(VALU_DEP_3)
	v_add_co_u32 v44, vcc_lo, s0, v44
	s_wait_alu 0xfffd
	v_add_co_ci_u32_e64 v45, null, s1, v45, vcc_lo
	s_wait_loadcnt 0x0
	v_fmac_f32_e32 v52, v55, v56
	global_store_b32 v[42:43], v52, off
	s_clause 0x2
	global_load_b32 v52, v[44:45], off
	global_load_b32 v55, v[53:54], off
	;; [unrolled: 1-line block ×3, first 2 shown]
	s_wait_loadcnt 0x0
	v_fmac_f32_e32 v52, v55, v46
	global_store_b32 v[44:45], v52, off
	s_clause 0x2
	global_load_b32 v46, v[53:54], off
	global_load_b32 v47, v[50:51], off
	;; [unrolled: 1-line block ×3, first 2 shown]
	s_wait_loadcnt 0x1
	v_fma_f32 v46, -v46, v47, 1.0
	s_delay_alu instid0(VALU_DEP_1) | instskip(SKIP_1) | instid1(VALU_DEP_2)
	v_div_scale_f32 v47, null, v46, v46, 1.0
	v_div_scale_f32 v53, vcc_lo, 1.0, v46, 1.0
	v_rcp_f32_e32 v51, v47
	s_delay_alu instid0(TRANS32_DEP_1) | instskip(NEXT) | instid1(VALU_DEP_1)
	v_fma_f32 v52, -v47, v51, 1.0
	v_fmac_f32_e32 v51, v52, v51
	s_delay_alu instid0(VALU_DEP_1) | instskip(NEXT) | instid1(VALU_DEP_1)
	v_mul_f32_e32 v52, v53, v51
	v_fma_f32 v54, -v47, v52, v53
	s_delay_alu instid0(VALU_DEP_1) | instskip(NEXT) | instid1(VALU_DEP_1)
	v_fmac_f32_e32 v52, v54, v51
	v_fma_f32 v47, -v47, v52, v53
	s_wait_alu 0xfffd
	s_delay_alu instid0(VALU_DEP_1) | instskip(NEXT) | instid1(VALU_DEP_1)
	v_div_fmas_f32 v47, v47, v51, v52
	v_div_fixup_f32 v52, v47, v46, 1.0
	v_lshlrev_b64_e32 v[46:47], 2, v[12:13]
	v_add_nc_u32_e32 v12, s7, v12
	s_wait_loadcnt 0x0
	s_delay_alu instid0(VALU_DEP_3) | instskip(NEXT) | instid1(VALU_DEP_3)
	v_mul_f32_e32 v50, v50, v52
	v_add_co_u32 v46, vcc_lo, s0, v46
	s_wait_alu 0xfffd
	v_add_co_ci_u32_e64 v47, null, s1, v47, vcc_lo
	global_store_b32 v[40:41], v50, off
	global_load_b32 v50, v[46:47], off
	s_wait_loadcnt 0x0
	v_mul_f32_e32 v50, v50, v52
	global_store_b32 v[46:47], v50, off
	global_load_b32 v50, v[42:43], off
	s_wait_loadcnt 0x0
	v_mul_f32_e32 v50, v52, v50
	global_store_b32 v[42:43], v50, off
	global_load_b32 v53, v[44:45], off
	v_lshlrev_b64_e32 v[50:51], 2, v[12:13]
	s_delay_alu instid0(VALU_DEP_1) | instskip(SKIP_1) | instid1(VALU_DEP_2)
	v_add_co_u32 v50, vcc_lo, s0, v50
	s_wait_alu 0xfffd
	v_add_co_ci_u32_e64 v51, null, s1, v51, vcc_lo
	s_wait_loadcnt 0x0
	v_mul_f32_e32 v53, v52, v53
	global_store_b32 v[44:45], v53, off
	global_load_b32 v53, v[50:51], off
	s_wait_loadcnt 0x0
	v_mul_f32_e32 v52, v52, v53
	global_store_b32 v[50:51], v52, off
	s_clause 0x2
	global_load_b32 v52, v[4:5], off
	global_load_b32 v53, v[48:49], off
	;; [unrolled: 1-line block ×3, first 2 shown]
	s_wait_loadcnt 0x0
	v_fmac_f32_e32 v52, v53, v54
	global_store_b32 v[4:5], v52, off
	s_clause 0x2
	global_load_b32 v52, v[8:9], off
	global_load_b32 v53, v[48:49], off
	;; [unrolled: 1-line block ×3, first 2 shown]
	s_wait_loadcnt 0x0
	v_fmac_f32_e32 v52, v53, v54
	global_store_b32 v[8:9], v52, off
	s_clause 0x2
	global_load_b32 v48, v[48:49], off
	global_load_b32 v49, v[28:29], off
	;; [unrolled: 1-line block ×3, first 2 shown]
	s_wait_loadcnt 0x1
	v_fma_f32 v48, -v48, v49, 1.0
	s_delay_alu instid0(VALU_DEP_1) | instskip(SKIP_1) | instid1(VALU_DEP_2)
	v_div_scale_f32 v49, null, v48, v48, 1.0
	v_div_scale_f32 v55, vcc_lo, 1.0, v48, 1.0
	v_rcp_f32_e32 v53, v49
	s_delay_alu instid0(TRANS32_DEP_1) | instskip(NEXT) | instid1(VALU_DEP_1)
	v_fma_f32 v54, -v49, v53, 1.0
	v_fmac_f32_e32 v53, v54, v53
	s_delay_alu instid0(VALU_DEP_1) | instskip(NEXT) | instid1(VALU_DEP_1)
	v_mul_f32_e32 v54, v55, v53
	v_fma_f32 v56, -v49, v54, v55
	s_delay_alu instid0(VALU_DEP_1) | instskip(NEXT) | instid1(VALU_DEP_1)
	v_fmac_f32_e32 v54, v56, v53
	v_fma_f32 v49, -v49, v54, v55
	s_wait_alu 0xfffd
	s_delay_alu instid0(VALU_DEP_1) | instskip(NEXT) | instid1(VALU_DEP_1)
	v_div_fmas_f32 v49, v49, v53, v54
	v_div_fixup_f32 v48, v49, v48, 1.0
	s_wait_loadcnt 0x0
	s_delay_alu instid0(VALU_DEP_1)
	v_mul_f32_e32 v49, v52, v48
	global_store_b32 v[4:5], v49, off
	global_load_b32 v49, v[8:9], off
	s_wait_loadcnt 0x0
	v_mul_f32_e32 v49, v49, v48
	global_store_b32 v[8:9], v49, off
	global_load_b32 v49, v[10:11], off
	s_wait_loadcnt 0x0
	;; [unrolled: 4-line block ×4, first 2 shown]
	v_mul_f32_e32 v48, v48, v49
	global_store_b32 v[38:39], v48, off
	s_clause 0x2
	global_load_b32 v48, v[0:1], off
	global_load_b32 v49, v[34:35], off
	;; [unrolled: 1-line block ×3, first 2 shown]
	s_wait_loadcnt 0x0
	v_fmac_f32_e32 v48, v49, v18
	global_store_b32 v[0:1], v48, off
	s_clause 0x2
	global_load_b32 v18, v[2:3], off
	global_load_b32 v19, v[34:35], off
	global_load_b32 v28, v[28:29], off
	s_wait_loadcnt 0x0
	v_fmac_f32_e32 v18, v19, v28
	global_store_b32 v[2:3], v18, off
	s_clause 0x2
	global_load_b32 v18, v[34:35], off
	global_load_b32 v19, v[30:31], off
	;; [unrolled: 1-line block ×3, first 2 shown]
	s_wait_loadcnt 0x1
	v_fma_f32 v18, -v18, v19, 1.0
	s_delay_alu instid0(VALU_DEP_1) | instskip(SKIP_1) | instid1(VALU_DEP_2)
	v_div_scale_f32 v19, null, v18, v18, 1.0
	v_div_scale_f32 v31, vcc_lo, 1.0, v18, 1.0
	v_rcp_f32_e32 v29, v19
	s_delay_alu instid0(TRANS32_DEP_1) | instskip(NEXT) | instid1(VALU_DEP_1)
	v_fma_f32 v30, -v19, v29, 1.0
	v_fmac_f32_e32 v29, v30, v29
	s_delay_alu instid0(VALU_DEP_1) | instskip(NEXT) | instid1(VALU_DEP_1)
	v_mul_f32_e32 v30, v31, v29
	v_fma_f32 v34, -v19, v30, v31
	s_delay_alu instid0(VALU_DEP_1) | instskip(NEXT) | instid1(VALU_DEP_1)
	v_fmac_f32_e32 v30, v34, v29
	v_fma_f32 v19, -v19, v30, v31
	s_wait_alu 0xfffd
	s_delay_alu instid0(VALU_DEP_1) | instskip(NEXT) | instid1(VALU_DEP_1)
	v_div_fmas_f32 v19, v19, v29, v30
	v_div_fixup_f32 v30, v19, v18, 1.0
	s_wait_loadcnt 0x0
	s_delay_alu instid0(VALU_DEP_1)
	v_mul_f32_e32 v18, v28, v30
	global_store_b32 v[0:1], v18, off
	global_load_b32 v18, v[2:3], off
	s_wait_loadcnt 0x0
	v_mul_f32_e32 v18, v18, v30
	global_store_b32 v[2:3], v18, off
	global_load_b32 v18, v[26:27], off
	s_wait_loadcnt 0x0
	v_mul_f32_e32 v18, v30, v18
	global_store_b32 v[26:27], v18, off
	global_load_b32 v18, v[6:7], off
	s_wait_loadcnt 0x0
	v_mul_f32_e32 v18, v30, v18
	global_store_b32 v[6:7], v18, off
	global_load_b32 v31, v[20:21], off
	v_mad_co_u64_u32 v[18:19], null, s2, -12, v[12:13]
	v_mov_b32_e32 v19, v13
	s_delay_alu instid0(VALU_DEP_1) | instskip(NEXT) | instid1(VALU_DEP_1)
	v_lshlrev_b64_e32 v[28:29], 2, v[18:19]
	v_add_co_u32 v28, vcc_lo, s0, v28
	s_wait_alu 0xfffd
	s_delay_alu instid0(VALU_DEP_2)
	v_add_co_ci_u32_e64 v29, null, s1, v29, vcc_lo
	s_wait_loadcnt 0x0
	v_mul_f32_e32 v12, v30, v31
	global_store_b32 v[20:21], v12, off
	s_clause 0x2
	global_load_b32 v30, v[4:5], off
	global_load_b32 v31, v[38:39], off
	;; [unrolled: 1-line block ×3, first 2 shown]
	v_add_nc_u32_e32 v12, s4, v18
	s_delay_alu instid0(VALU_DEP_1) | instskip(SKIP_1) | instid1(VALU_DEP_2)
	v_lshlrev_b64_e32 v[18:19], 2, v[12:13]
	v_add_nc_u32_e32 v12, s5, v12
	v_add_co_u32 v18, vcc_lo, s0, v18
	s_wait_alu 0xfffd
	s_delay_alu instid0(VALU_DEP_3)
	v_add_co_ci_u32_e64 v19, null, s1, v19, vcc_lo
	s_wait_loadcnt 0x0
	v_fmac_f32_e32 v30, v31, v34
	global_store_b32 v[4:5], v30, off
	s_clause 0x2
	global_load_b32 v34, v[8:9], off
	global_load_b32 v35, v[38:39], off
	global_load_b32 v48, v[18:19], off
	v_lshlrev_b64_e32 v[30:31], 2, v[12:13]
	v_add_nc_u32_e32 v12, s6, v12
	s_delay_alu instid0(VALU_DEP_2) | instskip(SKIP_1) | instid1(VALU_DEP_3)
	v_add_co_u32 v30, vcc_lo, s0, v30
	s_wait_alu 0xfffd
	v_add_co_ci_u32_e64 v31, null, s1, v31, vcc_lo
	s_wait_loadcnt 0x0
	v_fmac_f32_e32 v34, v35, v48
	global_store_b32 v[8:9], v34, off
	s_clause 0x2
	global_load_b32 v48, v[10:11], off
	global_load_b32 v49, v[38:39], off
	global_load_b32 v52, v[30:31], off
	v_lshlrev_b64_e32 v[34:35], 2, v[12:13]
	v_add_nc_u32_e32 v12, s3, v12
	s_delay_alu instid0(VALU_DEP_2) | instskip(SKIP_1) | instid1(VALU_DEP_3)
	v_add_co_u32 v34, vcc_lo, s0, v34
	s_wait_alu 0xfffd
	v_add_co_ci_u32_e64 v35, null, s1, v35, vcc_lo
	s_delay_alu instid0(VALU_DEP_3) | instskip(NEXT) | instid1(VALU_DEP_1)
	v_lshlrev_b64_e32 v[12:13], 2, v[12:13]
	v_add_co_u32 v12, vcc_lo, s0, v12
	s_wait_alu 0xfffd
	s_delay_alu instid0(VALU_DEP_2)
	v_add_co_ci_u32_e64 v13, null, s1, v13, vcc_lo
	s_wait_loadcnt 0x0
	v_fmac_f32_e32 v48, v49, v52
	global_store_b32 v[10:11], v48, off
	s_clause 0x2
	global_load_b32 v48, v[22:23], off
	global_load_b32 v49, v[38:39], off
	global_load_b32 v52, v[34:35], off
	s_wait_loadcnt 0x0
	v_fmac_f32_e32 v48, v49, v52
	global_store_b32 v[22:23], v48, off
	s_clause 0x2
	global_load_b32 v38, v[38:39], off
	global_load_b32 v39, v[12:13], off
	;; [unrolled: 1-line block ×3, first 2 shown]
	s_wait_loadcnt 0x1
	v_fma_f32 v38, -v38, v39, 1.0
	s_delay_alu instid0(VALU_DEP_1) | instskip(SKIP_1) | instid1(VALU_DEP_2)
	v_div_scale_f32 v39, null, v38, v38, 1.0
	v_div_scale_f32 v53, vcc_lo, 1.0, v38, 1.0
	v_rcp_f32_e32 v49, v39
	s_delay_alu instid0(TRANS32_DEP_1) | instskip(NEXT) | instid1(VALU_DEP_1)
	v_fma_f32 v52, -v39, v49, 1.0
	v_fmac_f32_e32 v49, v52, v49
	s_delay_alu instid0(VALU_DEP_1) | instskip(NEXT) | instid1(VALU_DEP_1)
	v_mul_f32_e32 v52, v53, v49
	v_fma_f32 v54, -v39, v52, v53
	s_delay_alu instid0(VALU_DEP_1) | instskip(NEXT) | instid1(VALU_DEP_1)
	v_fmac_f32_e32 v52, v54, v49
	v_fma_f32 v39, -v39, v52, v53
	s_wait_alu 0xfffd
	s_delay_alu instid0(VALU_DEP_1) | instskip(NEXT) | instid1(VALU_DEP_1)
	v_div_fmas_f32 v39, v39, v49, v52
	v_div_fixup_f32 v38, v39, v38, 1.0
	s_wait_loadcnt 0x0
	s_delay_alu instid0(VALU_DEP_1)
	v_mul_f32_e32 v39, v48, v38
	global_store_b32 v[4:5], v39, off
	global_load_b32 v39, v[8:9], off
	s_wait_loadcnt 0x0
	v_mul_f32_e32 v39, v39, v38
	global_store_b32 v[8:9], v39, off
	global_load_b32 v39, v[10:11], off
	s_wait_loadcnt 0x0
	;; [unrolled: 4-line block ×3, first 2 shown]
	v_mul_f32_e32 v38, v38, v39
	global_store_b32 v[22:23], v38, off
	s_clause 0x2
	global_load_b32 v38, v[0:1], off
	global_load_b32 v39, v[20:21], off
	global_load_b32 v48, v[28:29], off
	s_wait_loadcnt 0x0
	v_fmac_f32_e32 v38, v39, v48
	global_store_b32 v[0:1], v38, off
	s_clause 0x2
	global_load_b32 v38, v[2:3], off
	global_load_b32 v39, v[20:21], off
	global_load_b32 v48, v[12:13], off
	s_wait_loadcnt 0x0
	v_fmac_f32_e32 v38, v39, v48
	;; [unrolled: 7-line block ×4, first 2 shown]
	global_store_b32 v[6:7], v38, off
	s_clause 0x2
	global_load_b32 v20, v[20:21], off
	global_load_b32 v21, v[18:19], off
	;; [unrolled: 1-line block ×3, first 2 shown]
	s_wait_loadcnt 0x1
	v_fma_f32 v20, -v20, v21, 1.0
	s_delay_alu instid0(VALU_DEP_1) | instskip(SKIP_1) | instid1(VALU_DEP_2)
	v_div_scale_f32 v21, null, v20, v20, 1.0
	v_div_scale_f32 v49, vcc_lo, 1.0, v20, 1.0
	v_rcp_f32_e32 v39, v21
	s_delay_alu instid0(TRANS32_DEP_1) | instskip(NEXT) | instid1(VALU_DEP_1)
	v_fma_f32 v48, -v21, v39, 1.0
	v_fmac_f32_e32 v39, v48, v39
	s_delay_alu instid0(VALU_DEP_1) | instskip(NEXT) | instid1(VALU_DEP_1)
	v_mul_f32_e32 v48, v49, v39
	v_fma_f32 v52, -v21, v48, v49
	s_delay_alu instid0(VALU_DEP_1) | instskip(NEXT) | instid1(VALU_DEP_1)
	v_fmac_f32_e32 v48, v52, v39
	v_fma_f32 v21, -v21, v48, v49
	s_wait_alu 0xfffd
	s_delay_alu instid0(VALU_DEP_1) | instskip(NEXT) | instid1(VALU_DEP_1)
	v_div_fmas_f32 v21, v21, v39, v48
	v_div_fixup_f32 v20, v21, v20, 1.0
	s_wait_loadcnt 0x0
	s_delay_alu instid0(VALU_DEP_1)
	v_mul_f32_e32 v21, v38, v20
	global_store_b32 v[0:1], v21, off
	global_load_b32 v21, v[2:3], off
	s_wait_loadcnt 0x0
	v_mul_f32_e32 v21, v21, v20
	global_store_b32 v[2:3], v21, off
	global_load_b32 v21, v[26:27], off
	s_wait_loadcnt 0x0
	;; [unrolled: 4-line block ×3, first 2 shown]
	v_mul_f32_e32 v20, v20, v21
	global_store_b32 v[6:7], v20, off
	s_clause 0x2
	global_load_b32 v20, v[14:15], off
	global_load_b32 v21, v[36:37], off
	global_load_b32 v38, v[28:29], off
	s_wait_loadcnt 0x0
	v_fmac_f32_e32 v20, v21, v38
	global_store_b32 v[14:15], v20, off
	s_clause 0x2
	global_load_b32 v20, v[16:17], off
	global_load_b32 v21, v[36:37], off
	global_load_b32 v38, v[12:13], off
	s_wait_loadcnt 0x0
	v_fmac_f32_e32 v20, v21, v38
	;; [unrolled: 7-line block ×4, first 2 shown]
	global_store_b32 v[24:25], v20, off
	s_clause 0x2
	global_load_b32 v20, v[36:37], off
	global_load_b32 v21, v[30:31], off
	;; [unrolled: 1-line block ×3, first 2 shown]
	s_wait_loadcnt 0x1
	v_fma_f32 v20, -v20, v21, 1.0
	s_delay_alu instid0(VALU_DEP_1) | instskip(SKIP_1) | instid1(VALU_DEP_2)
	v_div_scale_f32 v21, null, v20, v20, 1.0
	v_div_scale_f32 v39, vcc_lo, 1.0, v20, 1.0
	v_rcp_f32_e32 v37, v21
	s_delay_alu instid0(TRANS32_DEP_1) | instskip(NEXT) | instid1(VALU_DEP_1)
	v_fma_f32 v38, -v21, v37, 1.0
	v_fmac_f32_e32 v37, v38, v37
	s_delay_alu instid0(VALU_DEP_1) | instskip(NEXT) | instid1(VALU_DEP_1)
	v_mul_f32_e32 v38, v39, v37
	v_fma_f32 v48, -v21, v38, v39
	s_delay_alu instid0(VALU_DEP_1) | instskip(NEXT) | instid1(VALU_DEP_1)
	v_fmac_f32_e32 v38, v48, v37
	v_fma_f32 v21, -v21, v38, v39
	s_wait_alu 0xfffd
	s_delay_alu instid0(VALU_DEP_1) | instskip(NEXT) | instid1(VALU_DEP_1)
	v_div_fmas_f32 v21, v21, v37, v38
	v_div_fixup_f32 v20, v21, v20, 1.0
	s_wait_loadcnt 0x0
	s_delay_alu instid0(VALU_DEP_1)
	v_mul_f32_e32 v21, v36, v20
	global_store_b32 v[14:15], v21, off
	global_load_b32 v21, v[16:17], off
	s_wait_loadcnt 0x0
	v_mul_f32_e32 v21, v21, v20
	global_store_b32 v[16:17], v21, off
	global_load_b32 v21, v[32:33], off
	s_wait_loadcnt 0x0
	;; [unrolled: 4-line block ×3, first 2 shown]
	v_mul_f32_e32 v20, v20, v21
	global_store_b32 v[24:25], v20, off
	s_clause 0x2
	global_load_b32 v20, v[40:41], off
	global_load_b32 v21, v[50:51], off
	global_load_b32 v28, v[28:29], off
	s_wait_loadcnt 0x0
	v_fmac_f32_e32 v20, v21, v28
	global_store_b32 v[40:41], v20, off
	s_clause 0x2
	global_load_b32 v20, v[46:47], off
	global_load_b32 v21, v[50:51], off
	global_load_b32 v12, v[12:13], off
	s_wait_loadcnt 0x0
	v_fmac_f32_e32 v20, v21, v12
	;; [unrolled: 7-line block ×4, first 2 shown]
	global_store_b32 v[44:45], v12, off
	s_clause 0x2
	global_load_b32 v12, v[50:51], off
	global_load_b32 v13, v[34:35], off
	;; [unrolled: 1-line block ×3, first 2 shown]
	s_wait_loadcnt 0x1
	v_fma_f32 v12, -v12, v13, 1.0
	s_delay_alu instid0(VALU_DEP_1) | instskip(SKIP_1) | instid1(VALU_DEP_2)
	v_div_scale_f32 v13, null, v12, v12, 1.0
	v_div_scale_f32 v21, vcc_lo, 1.0, v12, 1.0
	v_rcp_f32_e32 v19, v13
	s_delay_alu instid0(TRANS32_DEP_1) | instskip(NEXT) | instid1(VALU_DEP_1)
	v_fma_f32 v20, -v13, v19, 1.0
	v_fmac_f32_e32 v19, v20, v19
	s_delay_alu instid0(VALU_DEP_1) | instskip(NEXT) | instid1(VALU_DEP_1)
	v_mul_f32_e32 v20, v21, v19
	v_fma_f32 v28, -v13, v20, v21
	s_delay_alu instid0(VALU_DEP_1) | instskip(NEXT) | instid1(VALU_DEP_1)
	v_fmac_f32_e32 v20, v28, v19
	v_fma_f32 v13, -v13, v20, v21
	s_wait_alu 0xfffd
	s_delay_alu instid0(VALU_DEP_1) | instskip(NEXT) | instid1(VALU_DEP_1)
	v_div_fmas_f32 v13, v13, v19, v20
	v_div_fixup_f32 v12, v13, v12, 1.0
	s_wait_loadcnt 0x0
	s_delay_alu instid0(VALU_DEP_1)
	v_mul_f32_e32 v13, v18, v12
	global_store_b32 v[40:41], v13, off
	global_load_b32 v13, v[46:47], off
	s_wait_loadcnt 0x0
	v_mul_f32_e32 v13, v13, v12
	global_store_b32 v[46:47], v13, off
	global_load_b32 v13, v[42:43], off
	s_wait_loadcnt 0x0
	v_mul_f32_e32 v13, v12, v13
	global_store_b32 v[42:43], v13, off
	global_load_b32 v13, v[44:45], off
	s_wait_loadcnt 0x0
	v_mul_f32_e32 v12, v12, v13
	global_store_b32 v[44:45], v12, off
	s_clause 0x2
	global_load_b32 v12, v[4:5], off
	global_load_b32 v13, v[22:23], off
	global_load_b32 v18, v[40:41], off
	s_wait_loadcnt 0x0
	v_fmac_f32_e32 v12, v13, v18
	global_store_b32 v[4:5], v12, off
	s_clause 0x2
	global_load_b32 v12, v[8:9], off
	global_load_b32 v13, v[22:23], off
	global_load_b32 v18, v[42:43], off
	s_wait_loadcnt 0x0
	v_fmac_f32_e32 v12, v13, v18
	global_store_b32 v[8:9], v12, off
	s_clause 0x2
	global_load_b32 v12, v[10:11], off
	global_load_b32 v13, v[22:23], off
	global_load_b32 v18, v[44:45], off
	s_wait_loadcnt 0x0
	v_fmac_f32_e32 v12, v13, v18
	global_store_b32 v[10:11], v12, off
	s_clause 0x2
	global_load_b32 v12, v[22:23], off
	global_load_b32 v13, v[46:47], off
	global_load_b32 v18, v[4:5], off
	s_wait_loadcnt 0x1
	v_fma_f32 v12, -v12, v13, 1.0
	s_delay_alu instid0(VALU_DEP_1) | instskip(SKIP_1) | instid1(VALU_DEP_2)
	v_div_scale_f32 v13, null, v12, v12, 1.0
	v_div_scale_f32 v21, vcc_lo, 1.0, v12, 1.0
	v_rcp_f32_e32 v19, v13
	s_delay_alu instid0(TRANS32_DEP_1) | instskip(NEXT) | instid1(VALU_DEP_1)
	v_fma_f32 v20, -v13, v19, 1.0
	v_fmac_f32_e32 v19, v20, v19
	s_delay_alu instid0(VALU_DEP_1) | instskip(NEXT) | instid1(VALU_DEP_1)
	v_mul_f32_e32 v20, v21, v19
	v_fma_f32 v22, -v13, v20, v21
	s_delay_alu instid0(VALU_DEP_1) | instskip(NEXT) | instid1(VALU_DEP_1)
	v_fmac_f32_e32 v20, v22, v19
	v_fma_f32 v13, -v13, v20, v21
	s_wait_alu 0xfffd
	s_delay_alu instid0(VALU_DEP_1) | instskip(NEXT) | instid1(VALU_DEP_1)
	v_div_fmas_f32 v13, v13, v19, v20
	v_div_fixup_f32 v12, v13, v12, 1.0
	s_wait_loadcnt 0x0
	s_delay_alu instid0(VALU_DEP_1)
	v_mul_f32_e32 v13, v18, v12
	global_store_b32 v[4:5], v13, off
	global_load_b32 v13, v[8:9], off
	s_wait_loadcnt 0x0
	v_mul_f32_e32 v13, v13, v12
	global_store_b32 v[8:9], v13, off
	global_load_b32 v13, v[10:11], off
	s_wait_loadcnt 0x0
	v_mul_f32_e32 v12, v12, v13
	global_store_b32 v[10:11], v12, off
	s_clause 0x2
	global_load_b32 v12, v[0:1], off
	global_load_b32 v13, v[6:7], off
	global_load_b32 v18, v[40:41], off
	s_wait_loadcnt 0x0
	v_fmac_f32_e32 v12, v13, v18
	global_store_b32 v[0:1], v12, off
	s_clause 0x2
	global_load_b32 v12, v[2:3], off
	global_load_b32 v13, v[6:7], off
	global_load_b32 v18, v[46:47], off
	s_wait_loadcnt 0x0
	v_fmac_f32_e32 v12, v13, v18
	global_store_b32 v[2:3], v12, off
	s_clause 0x2
	global_load_b32 v12, v[26:27], off
	global_load_b32 v13, v[44:45], off
	global_load_b32 v18, v[6:7], off
	s_wait_loadcnt 0x0
	v_fmac_f32_e32 v12, v18, v13
	global_store_b32 v[26:27], v12, off
	s_clause 0x2
	global_load_b32 v6, v[6:7], off
	global_load_b32 v7, v[42:43], off
	global_load_b32 v12, v[0:1], off
	s_wait_loadcnt 0x1
	v_fma_f32 v6, -v6, v7, 1.0
	s_delay_alu instid0(VALU_DEP_1) | instskip(SKIP_1) | instid1(VALU_DEP_2)
	v_div_scale_f32 v7, null, v6, v6, 1.0
	v_div_scale_f32 v19, vcc_lo, 1.0, v6, 1.0
	v_rcp_f32_e32 v13, v7
	s_delay_alu instid0(TRANS32_DEP_1) | instskip(NEXT) | instid1(VALU_DEP_1)
	v_fma_f32 v18, -v7, v13, 1.0
	v_fmac_f32_e32 v13, v18, v13
	s_delay_alu instid0(VALU_DEP_1) | instskip(NEXT) | instid1(VALU_DEP_1)
	v_mul_f32_e32 v18, v19, v13
	v_fma_f32 v20, -v7, v18, v19
	s_delay_alu instid0(VALU_DEP_1) | instskip(NEXT) | instid1(VALU_DEP_1)
	v_fmac_f32_e32 v18, v20, v13
	v_fma_f32 v7, -v7, v18, v19
	s_wait_alu 0xfffd
	s_delay_alu instid0(VALU_DEP_1) | instskip(NEXT) | instid1(VALU_DEP_1)
	v_div_fmas_f32 v7, v7, v13, v18
	v_div_fixup_f32 v6, v7, v6, 1.0
	s_wait_loadcnt 0x0
	s_delay_alu instid0(VALU_DEP_1)
	v_mul_f32_e32 v7, v12, v6
	global_store_b32 v[0:1], v7, off
	global_load_b32 v7, v[2:3], off
	s_wait_loadcnt 0x0
	v_mul_f32_e32 v7, v7, v6
	global_store_b32 v[2:3], v7, off
	global_load_b32 v7, v[26:27], off
	s_wait_loadcnt 0x0
	v_mul_f32_e32 v6, v6, v7
	global_store_b32 v[26:27], v6, off
	s_clause 0x2
	global_load_b32 v6, v[14:15], off
	global_load_b32 v7, v[24:25], off
	global_load_b32 v12, v[40:41], off
	s_wait_loadcnt 0x0
	v_fmac_f32_e32 v6, v7, v12
	global_store_b32 v[14:15], v6, off
	s_clause 0x2
	global_load_b32 v6, v[16:17], off
	global_load_b32 v7, v[24:25], off
	global_load_b32 v12, v[46:47], off
	s_wait_loadcnt 0x0
	v_fmac_f32_e32 v6, v7, v12
	global_store_b32 v[16:17], v6, off
	s_clause 0x2
	global_load_b32 v6, v[32:33], off
	global_load_b32 v7, v[42:43], off
	global_load_b32 v12, v[24:25], off
	s_wait_loadcnt 0x0
	v_fmac_f32_e32 v6, v12, v7
	global_store_b32 v[32:33], v6, off
	s_clause 0x2
	global_load_b32 v6, v[24:25], off
	global_load_b32 v7, v[44:45], off
	global_load_b32 v12, v[14:15], off
	s_wait_loadcnt 0x1
	v_fma_f32 v6, -v6, v7, 1.0
	s_delay_alu instid0(VALU_DEP_1) | instskip(SKIP_1) | instid1(VALU_DEP_2)
	v_div_scale_f32 v7, null, v6, v6, 1.0
	v_div_scale_f32 v19, vcc_lo, 1.0, v6, 1.0
	v_rcp_f32_e32 v13, v7
	s_delay_alu instid0(TRANS32_DEP_1) | instskip(NEXT) | instid1(VALU_DEP_1)
	v_fma_f32 v18, -v7, v13, 1.0
	v_fmac_f32_e32 v13, v18, v13
	s_delay_alu instid0(VALU_DEP_1) | instskip(NEXT) | instid1(VALU_DEP_1)
	v_mul_f32_e32 v18, v19, v13
	v_fma_f32 v20, -v7, v18, v19
	s_delay_alu instid0(VALU_DEP_1) | instskip(NEXT) | instid1(VALU_DEP_1)
	v_fmac_f32_e32 v18, v20, v13
	v_fma_f32 v7, -v7, v18, v19
	s_wait_alu 0xfffd
	s_delay_alu instid0(VALU_DEP_1) | instskip(NEXT) | instid1(VALU_DEP_1)
	v_div_fmas_f32 v7, v7, v13, v18
	v_div_fixup_f32 v6, v7, v6, 1.0
	s_wait_loadcnt 0x0
	s_delay_alu instid0(VALU_DEP_1)
	v_mul_f32_e32 v7, v12, v6
	global_store_b32 v[14:15], v7, off
	global_load_b32 v7, v[16:17], off
	s_wait_loadcnt 0x0
	v_mul_f32_e32 v7, v7, v6
	global_store_b32 v[16:17], v7, off
	global_load_b32 v7, v[32:33], off
	s_wait_loadcnt 0x0
	v_mul_f32_e32 v6, v6, v7
	global_store_b32 v[32:33], v6, off
	s_clause 0x2
	global_load_b32 v6, v[4:5], off
	global_load_b32 v7, v[10:11], off
	;; [unrolled: 1-line block ×3, first 2 shown]
	s_wait_loadcnt 0x0
	v_fmac_f32_e32 v6, v7, v12
	global_store_b32 v[4:5], v6, off
	s_clause 0x2
	global_load_b32 v6, v[8:9], off
	global_load_b32 v7, v[32:33], off
	;; [unrolled: 1-line block ×3, first 2 shown]
	s_wait_loadcnt 0x0
	v_fmac_f32_e32 v6, v12, v7
	global_store_b32 v[8:9], v6, off
	s_clause 0x2
	global_load_b32 v6, v[10:11], off
	global_load_b32 v7, v[16:17], off
	;; [unrolled: 1-line block ×3, first 2 shown]
	s_wait_loadcnt 0x1
	v_fma_f32 v6, -v6, v7, 1.0
	s_delay_alu instid0(VALU_DEP_1) | instskip(SKIP_1) | instid1(VALU_DEP_2)
	v_div_scale_f32 v7, null, v6, v6, 1.0
	v_div_scale_f32 v13, vcc_lo, 1.0, v6, 1.0
	v_rcp_f32_e32 v11, v7
	s_delay_alu instid0(TRANS32_DEP_1) | instskip(NEXT) | instid1(VALU_DEP_1)
	v_fma_f32 v12, -v7, v11, 1.0
	v_fmac_f32_e32 v11, v12, v11
	s_delay_alu instid0(VALU_DEP_1) | instskip(NEXT) | instid1(VALU_DEP_1)
	v_mul_f32_e32 v12, v13, v11
	v_fma_f32 v18, -v7, v12, v13
	s_delay_alu instid0(VALU_DEP_1) | instskip(NEXT) | instid1(VALU_DEP_1)
	v_fmac_f32_e32 v12, v18, v11
	v_fma_f32 v7, -v7, v12, v13
	s_wait_alu 0xfffd
	s_delay_alu instid0(VALU_DEP_1) | instskip(NEXT) | instid1(VALU_DEP_1)
	v_div_fmas_f32 v7, v7, v11, v12
	v_div_fixup_f32 v6, v7, v6, 1.0
	s_wait_loadcnt 0x0
	s_delay_alu instid0(VALU_DEP_1)
	v_mul_f32_e32 v7, v10, v6
	global_store_b32 v[4:5], v7, off
	global_load_b32 v7, v[8:9], off
	s_wait_loadcnt 0x0
	v_mul_f32_e32 v6, v7, v6
	global_store_b32 v[8:9], v6, off
	s_clause 0x2
	global_load_b32 v6, v[0:1], off
	global_load_b32 v7, v[26:27], off
	;; [unrolled: 1-line block ×3, first 2 shown]
	s_wait_loadcnt 0x0
	v_fmac_f32_e32 v6, v7, v10
	global_store_b32 v[0:1], v6, off
	s_clause 0x2
	global_load_b32 v6, v[2:3], off
	global_load_b32 v7, v[26:27], off
	;; [unrolled: 1-line block ×3, first 2 shown]
	s_wait_loadcnt 0x0
	v_fmac_f32_e32 v6, v7, v10
	global_store_b32 v[2:3], v6, off
	s_clause 0x2
	global_load_b32 v6, v[26:27], off
	global_load_b32 v7, v[32:33], off
	;; [unrolled: 1-line block ×3, first 2 shown]
	s_wait_loadcnt 0x1
	v_fma_f32 v6, -v6, v7, 1.0
	s_delay_alu instid0(VALU_DEP_1) | instskip(SKIP_1) | instid1(VALU_DEP_2)
	v_div_scale_f32 v7, null, v6, v6, 1.0
	v_div_scale_f32 v13, vcc_lo, 1.0, v6, 1.0
	v_rcp_f32_e32 v11, v7
	s_delay_alu instid0(TRANS32_DEP_1) | instskip(NEXT) | instid1(VALU_DEP_1)
	v_fma_f32 v12, -v7, v11, 1.0
	v_fmac_f32_e32 v11, v12, v11
	s_delay_alu instid0(VALU_DEP_1) | instskip(NEXT) | instid1(VALU_DEP_1)
	v_mul_f32_e32 v12, v13, v11
	v_fma_f32 v14, -v7, v12, v13
	s_delay_alu instid0(VALU_DEP_1) | instskip(NEXT) | instid1(VALU_DEP_1)
	v_fmac_f32_e32 v12, v14, v11
	v_fma_f32 v7, -v7, v12, v13
	s_wait_alu 0xfffd
	s_delay_alu instid0(VALU_DEP_1) | instskip(NEXT) | instid1(VALU_DEP_1)
	v_div_fmas_f32 v7, v7, v11, v12
	v_div_fixup_f32 v6, v7, v6, 1.0
	s_wait_loadcnt 0x0
	s_delay_alu instid0(VALU_DEP_1)
	v_mul_f32_e32 v7, v10, v6
	global_store_b32 v[0:1], v7, off
	global_load_b32 v7, v[2:3], off
	s_wait_loadcnt 0x0
	v_mul_f32_e32 v6, v7, v6
	global_store_b32 v[2:3], v6, off
	s_clause 0x2
	global_load_b32 v6, v[4:5], off
	global_load_b32 v7, v[8:9], off
	;; [unrolled: 1-line block ×3, first 2 shown]
	s_wait_loadcnt 0x0
	v_fmac_f32_e32 v6, v7, v0
	global_store_b32 v[4:5], v6, off
	s_clause 0x1
	global_load_b32 v0, v[8:9], off
	global_load_b32 v1, v[2:3], off
	s_wait_loadcnt 0x0
	v_fma_f32 v0, -v0, v1, 1.0
	s_delay_alu instid0(VALU_DEP_1) | instskip(NEXT) | instid1(VALU_DEP_1)
	v_div_scale_f32 v1, null, v0, v0, 1.0
	v_rcp_f32_e32 v2, v1
	s_delay_alu instid0(TRANS32_DEP_1) | instskip(NEXT) | instid1(VALU_DEP_1)
	v_fma_f32 v3, -v1, v2, 1.0
	v_fmac_f32_e32 v2, v3, v2
	v_div_scale_f32 v3, vcc_lo, 1.0, v0, 1.0
	s_delay_alu instid0(VALU_DEP_1) | instskip(NEXT) | instid1(VALU_DEP_1)
	v_mul_f32_e32 v7, v3, v2
	v_fma_f32 v8, -v1, v7, v3
	s_delay_alu instid0(VALU_DEP_1) | instskip(NEXT) | instid1(VALU_DEP_1)
	v_fmac_f32_e32 v7, v8, v2
	v_fma_f32 v1, -v1, v7, v3
	s_wait_alu 0xfffd
	s_delay_alu instid0(VALU_DEP_1) | instskip(NEXT) | instid1(VALU_DEP_1)
	v_div_fmas_f32 v1, v1, v2, v7
	v_div_fixup_f32 v0, v1, v0, 1.0
	s_delay_alu instid0(VALU_DEP_1)
	v_mul_f32_e32 v0, v6, v0
	global_store_b32 v[4:5], v0, off
	s_endpgm
	.section	.rodata,"a",@progbits
	.p2align	6, 0x0
	.amdhsa_kernel _Z12qssab_kernelIfEvPT_S1_S1_
		.amdhsa_group_segment_fixed_size 0
		.amdhsa_private_segment_fixed_size 0
		.amdhsa_kernarg_size 280
		.amdhsa_user_sgpr_count 2
		.amdhsa_user_sgpr_dispatch_ptr 0
		.amdhsa_user_sgpr_queue_ptr 0
		.amdhsa_user_sgpr_kernarg_segment_ptr 1
		.amdhsa_user_sgpr_dispatch_id 0
		.amdhsa_user_sgpr_private_segment_size 0
		.amdhsa_wavefront_size32 1
		.amdhsa_uses_dynamic_stack 0
		.amdhsa_enable_private_segment 0
		.amdhsa_system_sgpr_workgroup_id_x 1
		.amdhsa_system_sgpr_workgroup_id_y 0
		.amdhsa_system_sgpr_workgroup_id_z 0
		.amdhsa_system_sgpr_workgroup_info 0
		.amdhsa_system_vgpr_workitem_id 0
		.amdhsa_next_free_vgpr 58
		.amdhsa_next_free_sgpr 10
		.amdhsa_reserve_vcc 1
		.amdhsa_float_round_mode_32 0
		.amdhsa_float_round_mode_16_64 0
		.amdhsa_float_denorm_mode_32 3
		.amdhsa_float_denorm_mode_16_64 3
		.amdhsa_fp16_overflow 0
		.amdhsa_workgroup_processor_mode 1
		.amdhsa_memory_ordered 1
		.amdhsa_forward_progress 1
		.amdhsa_inst_pref_size 77
		.amdhsa_round_robin_scheduling 0
		.amdhsa_exception_fp_ieee_invalid_op 0
		.amdhsa_exception_fp_denorm_src 0
		.amdhsa_exception_fp_ieee_div_zero 0
		.amdhsa_exception_fp_ieee_overflow 0
		.amdhsa_exception_fp_ieee_underflow 0
		.amdhsa_exception_fp_ieee_inexact 0
		.amdhsa_exception_int_div_zero 0
	.end_amdhsa_kernel
	.section	.text._Z12qssab_kernelIfEvPT_S1_S1_,"axG",@progbits,_Z12qssab_kernelIfEvPT_S1_S1_,comdat
.Lfunc_end17:
	.size	_Z12qssab_kernelIfEvPT_S1_S1_, .Lfunc_end17-_Z12qssab_kernelIfEvPT_S1_S1_
                                        ; -- End function
	.set _Z12qssab_kernelIfEvPT_S1_S1_.num_vgpr, 58
	.set _Z12qssab_kernelIfEvPT_S1_S1_.num_agpr, 0
	.set _Z12qssab_kernelIfEvPT_S1_S1_.numbered_sgpr, 10
	.set _Z12qssab_kernelIfEvPT_S1_S1_.num_named_barrier, 0
	.set _Z12qssab_kernelIfEvPT_S1_S1_.private_seg_size, 0
	.set _Z12qssab_kernelIfEvPT_S1_S1_.uses_vcc, 1
	.set _Z12qssab_kernelIfEvPT_S1_S1_.uses_flat_scratch, 0
	.set _Z12qssab_kernelIfEvPT_S1_S1_.has_dyn_sized_stack, 0
	.set _Z12qssab_kernelIfEvPT_S1_S1_.has_recursion, 0
	.set _Z12qssab_kernelIfEvPT_S1_S1_.has_indirect_call, 0
	.section	.AMDGPU.csdata,"",@progbits
; Kernel info:
; codeLenInByte = 9808
; TotalNumSgprs: 12
; NumVgprs: 58
; ScratchSize: 0
; MemoryBound: 1
; FloatMode: 240
; IeeeMode: 1
; LDSByteSize: 0 bytes/workgroup (compile time only)
; SGPRBlocks: 0
; VGPRBlocks: 7
; NumSGPRsForWavesPerEU: 12
; NumVGPRsForWavesPerEU: 58
; Occupancy: 16
; WaveLimiterHint : 1
; COMPUTE_PGM_RSRC2:SCRATCH_EN: 0
; COMPUTE_PGM_RSRC2:USER_SGPR: 2
; COMPUTE_PGM_RSRC2:TRAP_HANDLER: 0
; COMPUTE_PGM_RSRC2:TGID_X_EN: 1
; COMPUTE_PGM_RSRC2:TGID_Y_EN: 0
; COMPUTE_PGM_RSRC2:TGID_Z_EN: 0
; COMPUTE_PGM_RSRC2:TIDIG_COMP_CNT: 0
	.section	.text._Z12qssa2_kernelIfEvPT_S1_PKS0_,"axG",@progbits,_Z12qssa2_kernelIfEvPT_S1_PKS0_,comdat
	.protected	_Z12qssa2_kernelIfEvPT_S1_PKS0_ ; -- Begin function _Z12qssa2_kernelIfEvPT_S1_PKS0_
	.globl	_Z12qssa2_kernelIfEvPT_S1_PKS0_
	.p2align	8
	.type	_Z12qssa2_kernelIfEvPT_S1_PKS0_,@function
_Z12qssa2_kernelIfEvPT_S1_PKS0_:        ; @_Z12qssa2_kernelIfEvPT_S1_PKS0_
; %bb.0:
	s_clause 0x1
	s_load_b32 s2, s[0:1], 0x24
	s_load_b96 s[4:6], s[0:1], 0x10
	s_wait_kmcnt 0x0
	s_and_b32 s2, s2, 0xffff
	s_delay_alu instid0(SALU_CYCLE_1)
	s_mul_i32 s6, s6, s2
	s_mul_i32 s2, ttmp9, s2
	s_mul_i32 s3, s6, 43
	s_lshl_b32 s8, s6, 2
	v_mov_b32_e32 v1, 0
	v_add3_u32 v0, s3, s2, v0
	s_mul_i32 s7, s6, -5
	s_mul_i32 s9, s6, 3
	s_load_b128 s[0:3], s[0:1], 0x0
	s_delay_alu instid0(VALU_DEP_1) | instskip(SKIP_1) | instid1(VALU_DEP_1)
	v_mad_co_u64_u32 v[2:3], null, s6, -11, v[0:1]
	v_lshlrev_b64_e32 v[40:41], 2, v[0:1]
	v_add_co_u32 v42, vcc_lo, s4, v40
	s_delay_alu instid0(VALU_DEP_3) | instskip(NEXT) | instid1(VALU_DEP_3)
	v_add_nc_u32_e32 v0, s8, v2
	v_add_co_ci_u32_e64 v43, null, s5, v41, vcc_lo
	v_mov_b32_e32 v3, v1
	s_delay_alu instid0(VALU_DEP_3) | instskip(SKIP_1) | instid1(VALU_DEP_3)
	v_mad_co_u64_u32 v[10:11], null, s6, 40, v[0:1]
	v_lshlrev_b64_e32 v[34:35], 2, v[0:1]
	v_lshlrev_b64_e32 v[2:3], 2, v[2:3]
	s_delay_alu instid0(VALU_DEP_3) | instskip(NEXT) | instid1(VALU_DEP_2)
	v_dual_mov_b32 v11, v1 :: v_dual_add_nc_u32 v0, s8, v10
	v_add_co_u32 v2, vcc_lo, s4, v2
	s_wait_alu 0xfffd
	s_delay_alu instid0(VALU_DEP_3) | instskip(NEXT) | instid1(VALU_DEP_3)
	v_add_co_ci_u32_e64 v3, null, s5, v3, vcc_lo
	v_lshlrev_b64_e32 v[4:5], 2, v[0:1]
	v_subrev_nc_u32_e32 v0, s6, v0
	v_add_co_u32 v49, vcc_lo, s4, v34
	s_wait_alu 0xfffd
	v_add_co_ci_u32_e64 v50, null, s5, v35, vcc_lo
	s_delay_alu instid0(VALU_DEP_3) | instskip(SKIP_2) | instid1(VALU_DEP_3)
	v_mad_co_u64_u32 v[16:17], null, 0xffffffc6, s6, v[0:1]
	v_lshlrev_b64_e32 v[6:7], 2, v[0:1]
	v_lshlrev_b64_e32 v[24:25], 2, v[10:11]
	v_dual_mov_b32 v17, v1 :: v_dual_add_nc_u32 v0, s8, v16
	s_delay_alu instid0(VALU_DEP_2) | instskip(SKIP_1) | instid1(VALU_DEP_3)
	v_add_co_u32 v51, vcc_lo, s4, v24
	s_wait_alu 0xfffd
	v_add_co_ci_u32_e64 v52, null, s5, v25, vcc_lo
	s_delay_alu instid0(VALU_DEP_3)
	v_lshlrev_b64_e32 v[22:23], 2, v[0:1]
	v_subrev_nc_u32_e32 v0, s6, v0
	v_add_co_u32 v53, vcc_lo, s4, v4
	v_lshlrev_b64_e32 v[16:17], 2, v[16:17]
	s_wait_alu 0xfffd
	v_add_co_ci_u32_e64 v54, null, s5, v5, vcc_lo
	v_lshlrev_b64_e32 v[26:27], 2, v[0:1]
	v_add_nc_u32_e32 v0, s8, v0
	v_add_co_u32 v55, vcc_lo, s4, v6
	s_wait_alu 0xfffd
	v_add_co_ci_u32_e64 v56, null, s5, v7, vcc_lo
	s_delay_alu instid0(VALU_DEP_3)
	v_mad_co_u64_u32 v[28:29], null, 0xffffffee, s6, v[0:1]
	v_lshlrev_b64_e32 v[30:31], 2, v[0:1]
	v_mov_b32_e32 v29, v1
	v_add_co_u32 v57, vcc_lo, s4, v16
	s_wait_alu 0xfffd
	v_add_co_ci_u32_e64 v58, null, s5, v17, vcc_lo
	v_add_nc_u32_e32 v0, s8, v28
	s_delay_alu instid0(VALU_DEP_1) | instskip(SKIP_1) | instid1(VALU_DEP_1)
	v_lshlrev_b64_e32 v[32:33], 2, v[0:1]
	v_subrev_nc_u32_e32 v0, s6, v0
	v_lshlrev_b64_e32 v[36:37], 2, v[0:1]
	v_add_nc_u32_e32 v0, s8, v0
	s_delay_alu instid0(VALU_DEP_1) | instskip(SKIP_1) | instid1(VALU_DEP_1)
	v_lshlrev_b64_e32 v[44:45], 2, v[0:1]
	v_add_nc_u32_e32 v0, s7, v0
	v_mad_co_u64_u32 v[46:47], null, 0x4b, s6, v[0:1]
	v_lshlrev_b64_e32 v[47:48], 2, v[0:1]
	s_delay_alu instid0(VALU_DEP_2) | instskip(NEXT) | instid1(VALU_DEP_1)
	v_add_nc_u32_e32 v0, s8, v46
	v_lshlrev_b64_e32 v[8:9], 2, v[0:1]
	v_subrev_nc_u32_e32 v0, s6, v0
	s_delay_alu instid0(VALU_DEP_1) | instskip(SKIP_1) | instid1(VALU_DEP_2)
	v_mad_co_u64_u32 v[38:39], null, 0xffffffe7, s6, v[0:1]
	v_lshlrev_b64_e32 v[10:11], 2, v[0:1]
	v_add_nc_u32_e32 v0, s9, v38
	s_delay_alu instid0(VALU_DEP_1) | instskip(SKIP_1) | instid1(VALU_DEP_1)
	v_lshlrev_b64_e32 v[12:13], 2, v[0:1]
	v_add_nc_u32_e32 v0, s8, v0
	v_lshlrev_b64_e32 v[14:15], 2, v[0:1]
	v_add_nc_u32_e32 v0, s7, v0
	s_lshl_b32 s7, s6, 1
	s_delay_alu instid0(VALU_DEP_1)
	v_mad_co_u64_u32 v[20:21], null, s6, 31, v[0:1]
	v_add_co_u32 v21, vcc_lo, s4, v22
	s_wait_alu 0xfffd
	v_add_co_ci_u32_e64 v22, null, s5, v23, vcc_lo
	s_clause 0x7
	global_load_b32 v70, v[42:43], off
	global_load_b32 v71, v[2:3], off
	;; [unrolled: 1-line block ×8, first 2 shown]
	v_lshlrev_b64_e32 v[21:22], 2, v[28:29]
	v_add_co_u32 v26, vcc_lo, s4, v26
	v_lshlrev_b64_e32 v[18:19], 2, v[0:1]
	v_add_nc_u32_e32 v0, s8, v20
	s_wait_alu 0xfffd
	v_add_co_ci_u32_e64 v27, null, s5, v27, vcc_lo
	v_add_co_u32 v28, vcc_lo, s4, v30
	s_wait_alu 0xfffd
	v_add_co_ci_u32_e64 v29, null, s5, v31, vcc_lo
	v_add_co_u32 v30, vcc_lo, s4, v21
	v_lshlrev_b64_e32 v[16:17], 2, v[0:1]
	v_add_nc_u32_e32 v0, s9, v0
	s_wait_alu 0xfffd
	v_add_co_ci_u32_e64 v31, null, s5, v22, vcc_lo
	v_add_co_u32 v32, vcc_lo, s4, v32
	s_wait_alu 0xfffd
	v_add_co_ci_u32_e64 v33, null, s5, v33, vcc_lo
	v_add_co_u32 v36, vcc_lo, s4, v36
	s_wait_alu 0xfffd
	v_add_co_ci_u32_e64 v37, null, s5, v37, vcc_lo
	v_mad_co_u64_u32 v[42:43], null, 0xffffffcd, s6, v[0:1]
	s_clause 0x3
	global_load_b32 v43, v[26:27], off
	global_load_b32 v73, v[30:31], off
	global_load_b32 v52, v[32:33], off
	global_load_b32 v53, v[36:37], off
	v_lshlrev_b64_e32 v[2:3], 2, v[0:1]
	v_add_co_u32 v26, vcc_lo, s4, v44
	s_wait_alu 0xfffd
	v_add_co_ci_u32_e64 v27, null, s5, v45, vcc_lo
	v_add_co_u32 v32, vcc_lo, s4, v47
	s_wait_alu 0xfffd
	v_add_co_ci_u32_e64 v33, null, s5, v48, vcc_lo
	v_mov_b32_e32 v47, v1
	s_wait_loadcnt 0x9
	v_fmac_f32_e32 v71, v70, v39
	s_wait_loadcnt 0x7
	v_fmac_f32_e32 v68, v70, v49
	;; [unrolled: 2-line block ×3, first 2 shown]
	s_delay_alu instid0(VALU_DEP_2) | instskip(SKIP_1) | instid1(VALU_DEP_2)
	v_fmac_f32_e32 v68, v71, v50
	s_wait_loadcnt 0x1
	v_dual_fmac_f32 v72, v71, v43 :: v_dual_fmac_f32 v73, v70, v52
	s_wait_loadcnt 0x0
	s_delay_alu instid0(VALU_DEP_1) | instskip(NEXT) | instid1(VALU_DEP_1)
	v_dual_fmac_f32 v73, v71, v53 :: v_dual_add_nc_u32 v0, s9, v42
	v_mad_co_u64_u32 v[21:22], null, s6, 52, v[0:1]
	v_lshlrev_b64_e32 v[22:23], 2, v[0:1]
	s_delay_alu instid0(VALU_DEP_2) | instskip(NEXT) | instid1(VALU_DEP_1)
	v_lshl_add_u32 v0, s6, 3, v21
	v_mad_co_u64_u32 v[30:31], null, 0xffffffac, s6, v[0:1]
	v_mov_b32_e32 v31, v1
	s_delay_alu instid0(VALU_DEP_1)
	v_lshlrev_b64_e32 v[36:37], 2, v[30:31]
	s_clause 0x2
	global_load_b32 v31, v[28:29], off
	global_load_b32 v44, v[26:27], off
	;; [unrolled: 1-line block ×3, first 2 shown]
	v_lshlrev_b64_e32 v[28:29], 2, v[46:47]
	s_wait_kmcnt 0x0
	v_add_co_u32 v32, vcc_lo, s0, v36
	s_wait_alu 0xfffd
	v_add_co_ci_u32_e64 v33, null, s1, v37, vcc_lo
	s_delay_alu instid0(VALU_DEP_3)
	v_add_co_u32 v26, vcc_lo, s4, v28
	s_wait_alu 0xfffd
	v_add_co_ci_u32_e64 v27, null, s5, v29, vcc_lo
	global_load_b32 v36, v[32:33], off
	global_load_b32 v69, v[26:27], off
	v_lshlrev_b64_e32 v[26:27], 2, v[0:1]
	s_wait_loadcnt 0x4
	v_fmac_f32_e32 v72, v68, v31
	s_wait_loadcnt 0x3
	v_fmac_f32_e32 v73, v68, v44
	s_wait_loadcnt 0x2
	s_delay_alu instid0(VALU_DEP_1) | instskip(NEXT) | instid1(VALU_DEP_1)
	v_dual_fmac_f32 v73, v72, v45 :: v_dual_add_nc_u32 v0, s6, v30
	v_lshlrev_b64_e32 v[30:31], 2, v[0:1]
	v_add_nc_u32_e32 v0, s6, v0
	s_wait_loadcnt 0x1
	s_delay_alu instid0(VALU_DEP_3) | instskip(NEXT) | instid1(VALU_DEP_3)
	v_mul_f32_e32 v39, v73, v36
	v_add_co_u32 v36, vcc_lo, s0, v30
	s_wait_alu 0xfffd
	v_add_co_ci_u32_e64 v37, null, s1, v31, vcc_lo
	global_store_b32 v[32:33], v39, off
	v_lshlrev_b64_e32 v[32:33], 2, v[0:1]
	s_wait_alu 0xfffe
	v_add_nc_u32_e32 v0, s7, v0
	global_load_b32 v39, v[36:37], off
	v_add_co_u32 v43, vcc_lo, s0, v32
	s_wait_alu 0xfffd
	v_add_co_ci_u32_e64 v44, null, s1, v33, vcc_lo
	v_add_co_u32 v34, vcc_lo, s0, v34
	s_wait_alu 0xfffd
	v_add_co_ci_u32_e64 v35, null, s1, v35, vcc_lo
	s_wait_loadcnt 0x0
	v_mul_f32_e32 v39, v73, v39
	global_store_b32 v[36:37], v39, off
	global_load_b32 v36, v[43:44], off
	s_wait_loadcnt 0x0
	v_mul_f32_e32 v36, v73, v36
	global_store_b32 v[43:44], v36, off
	global_load_b32 v39, v[34:35], off
	v_lshlrev_b64_e32 v[36:37], 2, v[0:1]
	v_add_nc_u32_e32 v0, s6, v0
	s_delay_alu instid0(VALU_DEP_2) | instskip(SKIP_1) | instid1(VALU_DEP_3)
	v_add_co_u32 v43, vcc_lo, s0, v36
	s_wait_alu 0xfffd
	v_add_co_ci_u32_e64 v44, null, s1, v37, vcc_lo
	s_wait_loadcnt 0x0
	v_mul_f32_e32 v39, v73, v39
	global_store_b32 v[34:35], v39, off
	global_load_b32 v39, v[43:44], off
	v_lshlrev_b64_e32 v[34:35], 2, v[0:1]
	v_add_nc_u32_e32 v0, s6, v0
	s_delay_alu instid0(VALU_DEP_2) | instskip(SKIP_1) | instid1(VALU_DEP_3)
	v_add_co_u32 v45, vcc_lo, s0, v34
	s_wait_alu 0xfffd
	v_add_co_ci_u32_e64 v46, null, s1, v35, vcc_lo
	s_delay_alu instid0(VALU_DEP_3)
	v_lshlrev_b64_e32 v[34:35], 2, v[0:1]
	s_wait_loadcnt 0x0
	v_dual_mul_f32 v39, v73, v39 :: v_dual_add_nc_u32 v0, s6, v0
	global_store_b32 v[43:44], v39, off
	global_load_b32 v39, v[45:46], off
	v_add_co_u32 v43, vcc_lo, s0, v34
	s_wait_alu 0xfffd
	v_add_co_ci_u32_e64 v44, null, s1, v35, vcc_lo
	s_wait_loadcnt 0x0
	v_mul_f32_e32 v39, v73, v39
	global_store_b32 v[45:46], v39, off
	global_load_b32 v39, v[43:44], off
	v_lshlrev_b64_e32 v[45:46], 2, v[0:1]
	v_add_nc_u32_e32 v0, s6, v0
	s_delay_alu instid0(VALU_DEP_2) | instskip(SKIP_1) | instid1(VALU_DEP_3)
	v_add_co_u32 v45, vcc_lo, s0, v45
	s_wait_alu 0xfffd
	v_add_co_ci_u32_e64 v46, null, s1, v46, vcc_lo
	s_wait_loadcnt 0x0
	v_mul_f32_e32 v39, v73, v39
	global_store_b32 v[43:44], v39, off
	global_load_b32 v39, v[45:46], off
	v_lshlrev_b64_e32 v[43:44], 2, v[0:1]
	v_add_nc_u32_e32 v0, s6, v0
	s_delay_alu instid0(VALU_DEP_2) | instskip(SKIP_1) | instid1(VALU_DEP_3)
	;; [unrolled: 10-line block ×3, first 2 shown]
	v_add_co_u32 v45, vcc_lo, s0, v45
	s_wait_alu 0xfffd
	v_add_co_ci_u32_e64 v46, null, s1, v46, vcc_lo
	s_wait_loadcnt 0x0
	v_mul_f32_e32 v39, v70, v39
	global_store_b32 v[43:44], v39, off
	global_load_b32 v39, v[45:46], off
	s_wait_loadcnt 0x0
	v_mul_f32_e32 v43, v70, v39
	v_add_co_u32 v39, vcc_lo, s0, v40
	s_wait_alu 0xfffd
	v_add_co_ci_u32_e64 v40, null, s1, v41, vcc_lo
	global_store_b32 v[45:46], v43, off
	v_lshlrev_b64_e32 v[43:44], 2, v[0:1]
	global_load_b32 v41, v[39:40], off
	v_add_co_u32 v43, vcc_lo, s0, v43
	s_wait_alu 0xfffd
	v_add_co_ci_u32_e64 v44, null, s1, v44, vcc_lo
	s_wait_loadcnt 0x0
	v_mul_f32_e32 v41, v70, v41
	global_store_b32 v[39:40], v41, off
	global_load_b32 v41, v[43:44], off
	s_wait_loadcnt 0x0
	v_dual_mul_f32 v41, v70, v41 :: v_dual_add_nc_u32 v0, s6, v0
	global_store_b32 v[43:44], v41, off
	v_lshlrev_b64_e32 v[39:40], 2, v[0:1]
	v_add_nc_u32_e32 v0, s6, v0
	s_delay_alu instid0(VALU_DEP_2) | instskip(SKIP_1) | instid1(VALU_DEP_3)
	v_add_co_u32 v39, vcc_lo, s0, v39
	s_wait_alu 0xfffd
	v_add_co_ci_u32_e64 v40, null, s1, v40, vcc_lo
	s_delay_alu instid0(VALU_DEP_3)
	v_lshlrev_b64_e32 v[43:44], 2, v[0:1]
	v_add_nc_u32_e32 v0, s6, v0
	global_load_b32 v41, v[39:40], off
	v_add_co_u32 v43, vcc_lo, s0, v43
	s_wait_alu 0xfffd
	v_add_co_ci_u32_e64 v44, null, s1, v44, vcc_lo
	s_wait_loadcnt 0x0
	v_mul_f32_e32 v41, v70, v41
	global_store_b32 v[39:40], v41, off
	global_load_b32 v41, v[43:44], off
	v_lshlrev_b64_e32 v[39:40], 2, v[0:1]
	v_add_nc_u32_e32 v0, s6, v0
	s_delay_alu instid0(VALU_DEP_2) | instskip(SKIP_1) | instid1(VALU_DEP_3)
	v_add_co_u32 v39, vcc_lo, s0, v39
	s_wait_alu 0xfffd
	v_add_co_ci_u32_e64 v40, null, s1, v40, vcc_lo
	s_wait_loadcnt 0x0
	v_mul_f32_e32 v41, v70, v41
	global_store_b32 v[43:44], v41, off
	global_load_b32 v41, v[39:40], off
	v_lshlrev_b64_e32 v[43:44], 2, v[0:1]
	v_add_nc_u32_e32 v0, s6, v0
	s_delay_alu instid0(VALU_DEP_2) | instskip(SKIP_1) | instid1(VALU_DEP_3)
	v_add_co_u32 v46, vcc_lo, s0, v43
	s_wait_alu 0xfffd
	v_add_co_ci_u32_e64 v47, null, s1, v44, vcc_lo
	s_delay_alu instid0(VALU_DEP_3) | instskip(SKIP_1) | instid1(VALU_DEP_1)
	v_lshlrev_b64_e32 v[44:45], 2, v[0:1]
	v_dual_mov_b32 v43, v1 :: v_dual_add_nc_u32 v0, s6, v0
	v_lshlrev_b64_e32 v[64:65], 2, v[42:43]
	s_wait_loadcnt 0x0
	v_mul_f32_e32 v41, v72, v41
	global_store_b32 v[39:40], v41, off
	global_load_b32 v39, v[46:47], off
	s_wait_loadcnt 0x0
	v_mul_f32_e32 v41, v72, v39
	v_add_co_u32 v39, vcc_lo, s0, v44
	s_wait_alu 0xfffd
	v_add_co_ci_u32_e64 v40, null, s1, v45, vcc_lo
	global_store_b32 v[46:47], v41, off
	v_lshlrev_b64_e32 v[46:47], 2, v[0:1]
	v_add_nc_u32_e32 v0, s6, v0
	global_load_b32 v41, v[39:40], off
	v_add_co_u32 v48, vcc_lo, s0, v46
	s_wait_alu 0xfffd
	v_add_co_ci_u32_e64 v49, null, s1, v47, vcc_lo
	s_wait_loadcnt 0x0
	v_mul_f32_e32 v41, v72, v41
	global_store_b32 v[39:40], v41, off
	global_load_b32 v41, v[48:49], off
	v_lshlrev_b64_e32 v[39:40], 2, v[0:1]
	v_add_nc_u32_e32 v0, s6, v0
	s_delay_alu instid0(VALU_DEP_2) | instskip(SKIP_1) | instid1(VALU_DEP_3)
	v_add_co_u32 v39, vcc_lo, s0, v39
	s_wait_alu 0xfffd
	v_add_co_ci_u32_e64 v40, null, s1, v40, vcc_lo
	s_wait_loadcnt 0x0
	v_mul_f32_e32 v41, v72, v41
	global_store_b32 v[48:49], v41, off
	global_load_b32 v41, v[39:40], off
	v_lshlrev_b64_e32 v[48:49], 2, v[0:1]
	v_add_nc_u32_e32 v0, s6, v0
	s_delay_alu instid0(VALU_DEP_2) | instskip(SKIP_1) | instid1(VALU_DEP_3)
	v_add_co_u32 v50, vcc_lo, s0, v48
	s_wait_alu 0xfffd
	v_add_co_ci_u32_e64 v51, null, s1, v49, vcc_lo
	s_delay_alu instid0(VALU_DEP_3)
	v_lshlrev_b64_e32 v[48:49], 2, v[0:1]
	s_wait_loadcnt 0x0
	v_dual_mul_f32 v41, v72, v41 :: v_dual_add_nc_u32 v0, s7, v0
	global_store_b32 v[39:40], v41, off
	global_load_b32 v39, v[50:51], off
	s_wait_loadcnt 0x0
	v_mul_f32_e32 v41, v72, v39
	v_add_co_u32 v39, vcc_lo, s0, v48
	s_wait_alu 0xfffd
	v_add_co_ci_u32_e64 v40, null, s1, v49, vcc_lo
	global_store_b32 v[50:51], v41, off
	global_load_b32 v41, v[39:40], off
	s_wait_loadcnt 0x0
	v_mul_f32_e32 v43, v72, v41
	v_add_co_u32 v41, vcc_lo, s0, v64
	s_wait_alu 0xfffd
	v_add_co_ci_u32_e64 v42, null, s1, v65, vcc_lo
	global_store_b32 v[39:40], v43, off
	v_lshlrev_b64_e32 v[39:40], 2, v[0:1]
	v_add_nc_u32_e32 v0, s9, v0
	global_load_b32 v43, v[41:42], off
	v_add_co_u32 v39, vcc_lo, s0, v39
	s_wait_alu 0xfffd
	v_add_co_ci_u32_e64 v40, null, s1, v40, vcc_lo
	v_lshlrev_b64_e32 v[50:51], 2, v[0:1]
	v_add_nc_u32_e32 v0, s6, v0
	s_delay_alu instid0(VALU_DEP_1)
	v_lshlrev_b64_e32 v[52:53], 2, v[0:1]
	s_wait_loadcnt 0x0
	v_dual_mul_f32 v43, v72, v43 :: v_dual_add_nc_u32 v0, s6, v0
	global_store_b32 v[41:42], v43, off
	global_load_b32 v41, v[39:40], off
	s_wait_loadcnt 0x0
	v_mul_f32_e32 v43, v72, v41
	v_add_co_u32 v41, vcc_lo, s0, v50
	s_wait_alu 0xfffd
	v_add_co_ci_u32_e64 v42, null, s1, v51, vcc_lo
	global_store_b32 v[39:40], v43, off
	global_load_b32 v39, v[41:42], off
	s_wait_loadcnt 0x0
	v_mul_f32_e32 v43, v71, v39
	v_add_co_u32 v39, vcc_lo, s0, v52
	s_wait_alu 0xfffd
	v_add_co_ci_u32_e64 v40, null, s1, v53, vcc_lo
	global_store_b32 v[41:42], v43, off
	v_lshlrev_b64_e32 v[41:42], 2, v[0:1]
	v_add_nc_u32_e32 v0, s6, v0
	global_load_b32 v43, v[39:40], off
	v_add_co_u32 v41, vcc_lo, s0, v41
	s_wait_alu 0xfffd
	v_add_co_ci_u32_e64 v42, null, s1, v42, vcc_lo
	v_lshlrev_b64_e32 v[58:59], 2, v[0:1]
	s_wait_loadcnt 0x0
	v_dual_mul_f32 v43, v71, v43 :: v_dual_add_nc_u32 v0, s6, v0
	global_store_b32 v[39:40], v43, off
	global_load_b32 v39, v[41:42], off
	s_wait_loadcnt 0x0
	v_mul_f32_e32 v43, v71, v39
	v_add_co_u32 v39, vcc_lo, s0, v58
	s_wait_alu 0xfffd
	v_add_co_ci_u32_e64 v40, null, s1, v59, vcc_lo
	global_store_b32 v[41:42], v43, off
	v_lshlrev_b64_e32 v[41:42], 2, v[0:1]
	v_add_nc_u32_e32 v0, s6, v0
	global_load_b32 v43, v[39:40], off
	v_add_co_u32 v41, vcc_lo, s0, v41
	s_wait_alu 0xfffd
	v_add_co_ci_u32_e64 v42, null, s1, v42, vcc_lo
	s_wait_loadcnt 0x0
	v_mul_f32_e32 v43, v71, v43
	global_store_b32 v[39:40], v43, off
	global_load_b32 v43, v[41:42], off
	v_lshlrev_b64_e32 v[39:40], 2, v[0:1]
	v_add_nc_u32_e32 v0, s6, v0
	s_delay_alu instid0(VALU_DEP_2) | instskip(SKIP_1) | instid1(VALU_DEP_3)
	v_add_co_u32 v39, vcc_lo, s0, v39
	s_wait_alu 0xfffd
	v_add_co_ci_u32_e64 v40, null, s1, v40, vcc_lo
	s_wait_loadcnt 0x0
	v_mul_f32_e32 v43, v71, v43
	global_store_b32 v[41:42], v43, off
	global_load_b32 v43, v[39:40], off
	v_lshlrev_b64_e32 v[41:42], 2, v[0:1]
	v_add_nc_u32_e32 v0, s7, v0
	s_delay_alu instid0(VALU_DEP_2) | instskip(SKIP_1) | instid1(VALU_DEP_3)
	v_add_co_u32 v41, vcc_lo, s0, v41
	s_wait_alu 0xfffd
	v_add_co_ci_u32_e64 v42, null, s1, v42, vcc_lo
	s_delay_alu instid0(VALU_DEP_3)
	v_lshlrev_b64_e32 v[62:63], 2, v[0:1]
	s_wait_loadcnt 0x0
	v_dual_mul_f32 v43, v71, v43 :: v_dual_add_nc_u32 v0, s9, v0
	global_store_b32 v[39:40], v43, off
	global_load_b32 v40, v[41:42], off
	v_mov_b32_e32 v39, v1
	s_delay_alu instid0(VALU_DEP_1) | instskip(NEXT) | instid1(VALU_DEP_1)
	v_lshlrev_b64_e32 v[38:39], 2, v[38:39]
	v_add_co_u32 v54, vcc_lo, s0, v38
	s_wait_alu 0xfffd
	s_delay_alu instid0(VALU_DEP_2)
	v_add_co_ci_u32_e64 v55, null, s1, v39, vcc_lo
	s_wait_loadcnt 0x0
	v_mul_f32_e32 v40, v71, v40
	global_store_b32 v[41:42], v40, off
	global_load_b32 v40, v[54:55], off
	s_wait_loadcnt 0x0
	v_mul_f32_e32 v42, v71, v40
	v_add_co_u32 v40, vcc_lo, s0, v62
	s_wait_alu 0xfffd
	v_add_co_ci_u32_e64 v41, null, s1, v63, vcc_lo
	global_store_b32 v[54:55], v42, off
	global_load_b32 v42, v[40:41], off
	s_wait_loadcnt 0x0
	v_mul_f32_e32 v54, v71, v42
	v_add_co_u32 v42, vcc_lo, s0, v18
	s_wait_alu 0xfffd
	v_add_co_ci_u32_e64 v43, null, s1, v19, vcc_lo
	;; [unrolled: 7-line block ×3, first 2 shown]
	global_store_b32 v[42:43], v54, off
	v_lshlrev_b64_e32 v[42:43], 2, v[0:1]
	v_add_nc_u32_e32 v0, s6, v0
	global_load_b32 v54, v[40:41], off
	v_add_co_u32 v42, vcc_lo, s0, v42
	s_wait_alu 0xfffd
	v_add_co_ci_u32_e64 v43, null, s1, v43, vcc_lo
	v_add_co_u32 v74, vcc_lo, s0, v24
	s_wait_alu 0xfffd
	v_add_co_ci_u32_e64 v75, null, s1, v25, vcc_lo
	v_lshlrev_b64_e32 v[76:77], 2, v[0:1]
	v_add_nc_u32_e32 v0, s6, v0
	s_delay_alu instid0(VALU_DEP_1) | instskip(SKIP_1) | instid1(VALU_DEP_1)
	v_lshlrev_b64_e32 v[66:67], 2, v[0:1]
	v_add_nc_u32_e32 v0, s7, v0
	v_lshlrev_b64_e32 v[60:61], 2, v[0:1]
	v_add_nc_u32_e32 v0, s6, v0
	s_delay_alu instid0(VALU_DEP_1)
	v_lshlrev_b64_e32 v[56:57], 2, v[0:1]
	v_add_nc_u32_e32 v0, s6, v0
	s_wait_loadcnt 0x0
	v_mul_f32_e32 v54, v71, v54
	global_store_b32 v[40:41], v54, off
	global_load_b32 v40, v[42:43], off
	v_lshlrev_b64_e32 v[54:55], 2, v[0:1]
	s_wait_loadcnt 0x0
	v_mul_f32_e32 v40, v71, v40
	global_store_b32 v[42:43], v40, off
	global_load_b32 v78, v[74:75], off
	v_mad_co_u64_u32 v[42:43], null, s6, 6, v[0:1]
	s_delay_alu instid0(VALU_DEP_1) | instskip(NEXT) | instid1(VALU_DEP_1)
	v_add_nc_u32_e32 v0, s9, v42
	v_lshlrev_b64_e32 v[40:41], 2, v[0:1]
	v_add_nc_u32_e32 v0, s7, v0
	s_delay_alu instid0(VALU_DEP_1) | instskip(SKIP_2) | instid1(VALU_DEP_2)
	v_lshlrev_b64_e32 v[24:25], 2, v[0:1]
	s_wait_loadcnt 0x0
	v_dual_mul_f32 v43, v73, v78 :: v_dual_add_nc_u32 v0, s7, v0
	v_add_co_u32 v78, vcc_lo, s0, v24
	s_wait_alu 0xfffd
	s_delay_alu instid0(VALU_DEP_3)
	v_add_co_ci_u32_e64 v79, null, s1, v25, vcc_lo
	global_store_b32 v[74:75], v43, off
	v_add_co_u32 v28, vcc_lo, s0, v28
	global_load_b32 v43, v[78:79], off
	s_wait_alu 0xfffd
	v_add_co_ci_u32_e64 v29, null, s1, v29, vcc_lo
	v_lshlrev_b64_e32 v[74:75], 2, v[0:1]
	v_add_co_u32 v30, vcc_lo, s2, v30
	s_wait_alu 0xfffd
	v_add_co_ci_u32_e64 v31, null, s3, v31, vcc_lo
	v_add_nc_u32_e32 v0, s6, v0
	s_delay_alu instid0(VALU_DEP_4)
	v_add_co_u32 v74, vcc_lo, s0, v74
	s_wait_alu 0xfffd
	v_add_co_ci_u32_e64 v75, null, s1, v75, vcc_lo
	s_wait_loadcnt 0x0
	v_mul_f32_e32 v43, v73, v43
	global_store_b32 v[78:79], v43, off
	global_load_b32 v43, v[28:29], off
	global_load_b32 v78, v[30:31], off
	s_wait_loadcnt 0x1
	v_mul_f32_e32 v43, v70, v43
	s_wait_loadcnt 0x0
	v_mul_f32_e32 v78, v70, v78
	global_store_b32 v[28:29], v43, off
	global_load_b32 v43, v[74:75], off
	v_add_co_u32 v28, vcc_lo, s2, v32
	s_wait_alu 0xfffd
	v_add_co_ci_u32_e64 v29, null, s3, v33, vcc_lo
	v_add_co_u32 v32, vcc_lo, s0, v10
	s_wait_alu 0xfffd
	v_add_co_ci_u32_e64 v33, null, s1, v11, vcc_lo
	global_store_b32 v[30:31], v78, off
	global_load_b32 v30, v[28:29], off
	v_add_co_u32 v36, vcc_lo, s2, v36
	s_wait_alu 0xfffd
	v_add_co_ci_u32_e64 v37, null, s3, v37, vcc_lo
	v_add_co_u32 v78, vcc_lo, s0, v8
	s_wait_alu 0xfffd
	v_add_co_ci_u32_e64 v79, null, s1, v9, vcc_lo
	s_wait_loadcnt 0x1
	v_mul_f32_e32 v43, v70, v43
	global_store_b32 v[74:75], v43, off
	global_load_b32 v31, v[32:33], off
	s_wait_loadcnt 0x1
	v_mul_f32_e32 v30, v72, v30
	global_store_b32 v[28:29], v30, off
	global_load_b32 v43, v[36:37], off
	;; [unrolled: 4-line block ×3, first 2 shown]
	v_lshlrev_b64_e32 v[30:31], 2, v[0:1]
	v_add_nc_u32_e32 v0, s8, v0
	v_add_co_u32 v32, vcc_lo, s4, v64
	s_wait_alu 0xfffd
	v_add_co_ci_u32_e64 v33, null, s5, v65, vcc_lo
	v_add_co_u32 v22, vcc_lo, s4, v22
	v_lshlrev_b64_e32 v[28:29], 2, v[0:1]
	v_add_nc_u32_e32 v0, s7, v0
	s_wait_alu 0xfffd
	v_add_co_ci_u32_e64 v23, null, s5, v23, vcc_lo
	s_clause 0x1
	global_load_b32 v74, v[32:33], off
	global_load_b32 v80, v[22:23], off
	v_lshlrev_b64_e32 v[22:23], 2, v[0:1]
	v_add_co_u32 v32, vcc_lo, s2, v34
	s_wait_alu 0xfffd
	v_add_co_ci_u32_e64 v33, null, s3, v35, vcc_lo
	s_wait_loadcnt 0x3
	v_mul_f32_e32 v43, v70, v43
	v_add_co_u32 v34, vcc_lo, s0, v22
	s_wait_alu 0xfffd
	v_add_co_ci_u32_e64 v35, null, s1, v23, vcc_lo
	global_store_b32 v[36:37], v43, off
	global_load_b32 v23, v[32:33], off
	v_mov_b32_e32 v22, v1
	v_add_nc_u32_e32 v0, s6, v0
	s_delay_alu instid0(VALU_DEP_2) | instskip(NEXT) | instid1(VALU_DEP_1)
	v_lshlrev_b64_e32 v[21:22], 2, v[21:22]
	v_add_co_u32 v21, vcc_lo, s4, v21
	s_wait_alu 0xfffd
	s_delay_alu instid0(VALU_DEP_2)
	v_add_co_ci_u32_e64 v22, null, s5, v22, vcc_lo
	v_add_co_u32 v26, vcc_lo, s4, v26
	s_wait_alu 0xfffd
	v_add_co_ci_u32_e64 v27, null, s5, v27, vcc_lo
	s_wait_loadcnt 0x3
	v_mul_f32_e32 v64, v71, v75
	global_store_b32 v[78:79], v64, off
	global_load_b32 v36, v[34:35], off
	s_clause 0x1
	global_load_b32 v64, v[21:22], off
	global_load_b32 v65, v[26:27], off
	v_lshlrev_b64_e32 v[21:22], 2, v[0:1]
	v_add_co_u32 v26, vcc_lo, s2, v44
	s_wait_alu 0xfffd
	v_add_co_ci_u32_e64 v27, null, s3, v45, vcc_lo
	v_add_nc_u32_e32 v0, s6, v0
	s_wait_loadcnt 0x3
	v_dual_fmac_f32 v74, v71, v80 :: v_dual_mul_f32 v23, v70, v23
	global_store_b32 v[32:33], v23, off
	s_wait_loadcnt 0x2
	v_mul_f32_e32 v43, v74, v36
	v_add_co_u32 v36, vcc_lo, s0, v21
	s_wait_alu 0xfffd
	v_add_co_ci_u32_e64 v37, null, s1, v22, vcc_lo
	global_store_b32 v[34:35], v43, off
	global_load_b32 v21, v[26:27], off
	v_lshlrev_b64_e32 v[22:23], 2, v[0:1]
	global_load_b32 v34, v[36:37], off
	v_add_co_u32 v32, vcc_lo, s2, v46
	s_wait_alu 0xfffd
	v_add_co_ci_u32_e64 v33, null, s3, v47, vcc_lo
	s_wait_loadcnt 0x1
	v_dual_mul_f32 v21, v70, v21 :: v_dual_add_nc_u32 v0, s7, v0
	s_wait_loadcnt 0x0
	v_mul_f32_e32 v43, v74, v34
	v_add_co_u32 v34, vcc_lo, s0, v22
	s_wait_alu 0xfffd
	v_add_co_ci_u32_e64 v35, null, s1, v23, vcc_lo
	global_store_b32 v[26:27], v21, off
	global_load_b32 v26, v[32:33], off
	global_store_b32 v[36:37], v43, off
	global_load_b32 v27, v[34:35], off
	v_mov_b32_e32 v21, v1
	s_delay_alu instid0(VALU_DEP_1)
	v_lshlrev_b64_e32 v[43:44], 2, v[20:21]
	v_add_co_u32 v20, vcc_lo, s2, v48
	s_wait_alu 0xfffd
	v_add_co_ci_u32_e64 v21, null, s3, v49, vcc_lo
	s_wait_loadcnt 0x1
	v_mul_f32_e32 v36, v70, v26
	v_add_co_u32 v26, vcc_lo, s0, v43
	s_wait_loadcnt 0x0
	v_mul_f32_e32 v37, v74, v27
	s_wait_alu 0xfffd
	v_add_co_ci_u32_e64 v27, null, s1, v44, vcc_lo
	global_store_b32 v[32:33], v36, off
	global_load_b32 v36, v[20:21], off
	global_store_b32 v[34:35], v37, off
	global_load_b32 v37, v[26:27], off
	v_lshlrev_b64_e32 v[32:33], 2, v[0:1]
	v_add_co_u32 v34, vcc_lo, s2, v50
	s_wait_alu 0xfffd
	v_add_co_ci_u32_e64 v35, null, s3, v51, vcc_lo
	v_add_nc_u32_e32 v0, s6, v0
	s_delay_alu instid0(VALU_DEP_4)
	v_add_co_u32 v32, vcc_lo, s0, v32
	s_wait_alu 0xfffd
	v_add_co_ci_u32_e64 v33, null, s1, v33, vcc_lo
	s_wait_loadcnt 0x0
	v_dual_mul_f32 v36, v73, v36 :: v_dual_mul_f32 v37, v74, v37
	global_store_b32 v[20:21], v36, off
	global_load_b32 v36, v[34:35], off
	global_store_b32 v[26:27], v37, off
	global_load_b32 v37, v[32:33], off
	v_lshlrev_b64_e32 v[20:21], 2, v[0:1]
	v_add_co_u32 v26, vcc_lo, s2, v52
	s_wait_alu 0xfffd
	v_add_co_ci_u32_e64 v27, null, s3, v53, vcc_lo
	v_add_nc_u32_e32 v0, s8, v0
	s_delay_alu instid0(VALU_DEP_4)
	v_add_co_u32 v20, vcc_lo, s0, v20
	s_wait_alu 0xfffd
	v_add_co_ci_u32_e64 v21, null, s1, v21, vcc_lo
	s_wait_loadcnt 0x0
	v_dual_mul_f32 v36, v72, v36 :: v_dual_mul_f32 v37, v74, v37
	global_store_b32 v[34:35], v36, off
	global_load_b32 v36, v[26:27], off
	global_store_b32 v[32:33], v37, off
	global_load_b32 v37, v[20:21], off
	v_lshlrev_b64_e32 v[32:33], 2, v[0:1]
	v_add_co_u32 v34, vcc_lo, s2, v58
	s_wait_alu 0xfffd
	v_add_co_ci_u32_e64 v35, null, s3, v59, vcc_lo
	v_add_nc_u32_e32 v0, s7, v0
	s_delay_alu instid0(VALU_DEP_4)
	v_add_co_u32 v32, vcc_lo, s0, v32
	s_wait_alu 0xfffd
	v_add_co_ci_u32_e64 v33, null, s1, v33, vcc_lo
	s_wait_loadcnt 0x0
	v_dual_mul_f32 v36, v73, v36 :: v_dual_mul_f32 v37, v74, v37
	global_store_b32 v[26:27], v36, off
	global_load_b32 v26, v[34:35], off
	global_store_b32 v[20:21], v37, off
	global_load_b32 v27, v[32:33], off
	v_add_co_u32 v20, vcc_lo, s2, v62
	s_wait_alu 0xfffd
	v_add_co_ci_u32_e64 v21, null, s3, v63, vcc_lo
	s_wait_loadcnt 0x1
	v_mul_f32_e32 v36, v70, v26
	v_add_co_u32 v26, vcc_lo, s0, v2
	s_wait_loadcnt 0x0
	v_mul_f32_e32 v37, v73, v27
	s_wait_alu 0xfffd
	v_add_co_ci_u32_e64 v27, null, s1, v3, vcc_lo
	global_store_b32 v[34:35], v36, off
	global_load_b32 v36, v[20:21], off
	global_store_b32 v[32:33], v37, off
	global_load_b32 v37, v[26:27], off
	v_lshlrev_b64_e32 v[32:33], 2, v[0:1]
	v_add_co_u32 v34, vcc_lo, s2, v18
	s_wait_alu 0xfffd
	v_add_co_ci_u32_e64 v35, null, s3, v19, vcc_lo
	v_add_nc_u32_e32 v0, s6, v0
	s_delay_alu instid0(VALU_DEP_4)
	v_add_co_u32 v32, vcc_lo, s0, v32
	s_wait_alu 0xfffd
	v_add_co_ci_u32_e64 v33, null, s1, v33, vcc_lo
	s_wait_loadcnt 0x1
	v_mul_f32_e32 v36, v72, v36
	s_wait_loadcnt 0x0
	v_mul_f32_e32 v37, v72, v37
	global_store_b32 v[20:21], v36, off
	global_load_b32 v45, v[34:35], off
	global_store_b32 v[26:27], v37, off
	global_load_b32 v46, v[32:33], off
	v_lshlrev_b64_e32 v[20:21], 2, v[0:1]
	v_add_nc_u32_e32 v0, s9, v0
	v_add_co_u32 v36, vcc_lo, s2, v12
	s_wait_alu 0xfffd
	v_add_co_ci_u32_e64 v37, null, s3, v13, vcc_lo
	s_delay_alu instid0(VALU_DEP_3) | instskip(SKIP_1) | instid1(VALU_DEP_2)
	v_lshlrev_b64_e32 v[26:27], 2, v[0:1]
	v_add_nc_u32_e32 v0, s6, v0
	v_add_co_u32 v26, vcc_lo, s0, v26
	s_wait_alu 0xfffd
	s_delay_alu instid0(VALU_DEP_3)
	v_add_co_ci_u32_e64 v27, null, s1, v27, vcc_lo
	s_wait_loadcnt 0x0
	v_dual_mul_f32 v45, v72, v45 :: v_dual_mul_f32 v46, v71, v46
	global_store_b32 v[34:35], v45, off
	global_load_b32 v34, v[36:37], off
	global_store_b32 v[32:33], v46, off
	global_load_b32 v35, v[26:27], off
	v_lshlrev_b64_e32 v[32:33], 2, v[0:1]
	v_add_co_u32 v45, vcc_lo, s2, v76
	s_wait_alu 0xfffd
	v_add_co_ci_u32_e64 v46, null, s3, v77, vcc_lo
	v_add_nc_u32_e32 v0, s7, v0
	s_delay_alu instid0(VALU_DEP_4)
	v_add_co_u32 v47, vcc_lo, s0, v32
	s_wait_alu 0xfffd
	v_add_co_ci_u32_e64 v48, null, s1, v33, vcc_lo
	v_add_co_u32 v49, vcc_lo, s2, v66
	s_wait_alu 0xfffd
	v_add_co_ci_u32_e64 v50, null, s3, v67, vcc_lo
	s_wait_loadcnt 0x0
	v_dual_mul_f32 v34, v72, v34 :: v_dual_mul_f32 v35, v73, v35
	global_store_b32 v[36:37], v34, off
	global_load_b32 v36, v[45:46], off
	global_store_b32 v[26:27], v35, off
	global_load_b32 v37, v[47:48], off
	v_lshlrev_b64_e32 v[34:35], 2, v[0:1]
	v_add_nc_u32_e32 v0, s6, v0
	s_delay_alu instid0(VALU_DEP_1) | instskip(SKIP_1) | instid1(VALU_DEP_2)
	v_lshlrev_b64_e32 v[26:27], 2, v[0:1]
	v_add_nc_u32_e32 v0, s7, v0
	v_add_co_u32 v51, vcc_lo, s0, v26
	s_wait_alu 0xfffd
	s_delay_alu instid0(VALU_DEP_3)
	v_add_co_ci_u32_e64 v52, null, s1, v27, vcc_lo
	s_wait_loadcnt 0x0
	v_dual_mul_f32 v36, v74, v36 :: v_dual_mul_f32 v37, v72, v37
	global_store_b32 v[45:46], v36, off
	global_load_b32 v53, v[49:50], off
	global_store_b32 v[47:48], v37, off
	global_load_b32 v47, v[51:52], off
	v_lshlrev_b64_e32 v[36:37], 2, v[0:1]
	v_add_nc_u32_e32 v0, s9, v0
	v_add_co_u32 v45, vcc_lo, s2, v14
	s_wait_alu 0xfffd
	v_add_co_ci_u32_e64 v46, null, s3, v15, vcc_lo
	s_delay_alu instid0(VALU_DEP_3) | instskip(SKIP_4) | instid1(VALU_DEP_3)
	v_lshlrev_b64_e32 v[26:27], 2, v[0:1]
	s_wait_loadcnt 0x1
	v_dual_mul_f32 v53, v70, v53 :: v_dual_add_nc_u32 v0, s7, v0
	s_wait_loadcnt 0x0
	v_mul_f32_e32 v58, v68, v47
	v_add_co_u32 v47, vcc_lo, s0, v26
	s_wait_alu 0xfffd
	v_add_co_ci_u32_e64 v48, null, s1, v27, vcc_lo
	global_store_b32 v[49:50], v53, off
	global_load_b32 v53, v[45:46], off
	global_store_b32 v[51:52], v58, off
	global_load_b32 v51, v[47:48], off
	v_add_co_u32 v38, vcc_lo, s4, v38
	s_wait_alu 0xfffd
	v_add_co_ci_u32_e64 v39, null, s5, v39, vcc_lo
	v_add_co_u32 v49, vcc_lo, s4, v12
	s_wait_alu 0xfffd
	v_add_co_ci_u32_e64 v50, null, s5, v13, vcc_lo
	;; [unrolled: 3-line block ×4, first 2 shown]
	s_clause 0x3
	global_load_b32 v12, v[38:39], off
	global_load_b32 v49, v[49:50], off
	;; [unrolled: 1-line block ×4, first 2 shown]
	v_lshlrev_b64_e32 v[13:14], 2, v[0:1]
	v_add_co_u32 v18, vcc_lo, s2, v60
	s_wait_alu 0xfffd
	v_add_co_ci_u32_e64 v19, null, s3, v61, vcc_lo
	s_delay_alu instid0(VALU_DEP_3)
	v_add_co_u32 v38, vcc_lo, s0, v13
	s_wait_alu 0xfffd
	v_add_co_ci_u32_e64 v39, null, s1, v14, vcc_lo
	v_add_co_u32 v13, vcc_lo, s4, v43
	s_wait_alu 0xfffd
	v_add_co_ci_u32_e64 v14, null, s5, v44, vcc_lo
	s_wait_loadcnt 0x5
	v_mul_f32_e32 v15, v70, v53
	s_wait_loadcnt 0x4
	v_mul_f32_e32 v51, v70, v51
	global_store_b32 v[45:46], v15, off
	global_load_b32 v45, v[18:19], off
	global_store_b32 v[47:48], v51, off
	global_load_b32 v46, v[38:39], off
	v_add_co_u32 v15, vcc_lo, s4, v16
	s_wait_alu 0xfffd
	v_add_co_ci_u32_e64 v16, null, s5, v17, vcc_lo
	s_clause 0x1
	global_load_b32 v13, v[13:14], off
	global_load_b32 v14, v[15:16], off
	v_add_co_u32 v43, vcc_lo, s2, v56
	s_wait_loadcnt 0x6
	v_fmac_f32_e32 v12, v71, v49
	s_wait_alu 0xfffd
	v_add_co_ci_u32_e64 v44, null, s3, v57, vcc_lo
	s_wait_loadcnt 0x5
	s_delay_alu instid0(VALU_DEP_2) | instskip(SKIP_1) | instid1(VALU_DEP_1)
	v_fmac_f32_e32 v12, v68, v50
	s_wait_loadcnt 0x4
	v_fmac_f32_e32 v12, v72, v52
	v_add_nc_u32_e32 v0, s6, v0
	s_delay_alu instid0(VALU_DEP_1) | instskip(SKIP_2) | instid1(VALU_DEP_2)
	v_lshlrev_b64_e32 v[15:16], 2, v[0:1]
	s_wait_loadcnt 0x3
	v_dual_mul_f32 v17, v70, v45 :: v_dual_add_nc_u32 v0, s6, v0
	v_add_co_u32 v45, vcc_lo, s0, v15
	s_wait_loadcnt 0x2
	v_mul_f32_e32 v47, v12, v46
	s_wait_alu 0xfffd
	v_add_co_ci_u32_e64 v46, null, s1, v16, vcc_lo
	global_store_b32 v[18:19], v17, off
	global_load_b32 v19, v[43:44], off
	global_store_b32 v[38:39], v47, off
	global_load_b32 v47, v[45:46], off
	v_lshlrev_b64_e32 v[17:18], 2, v[0:1]
	v_add_co_u32 v38, vcc_lo, s2, v54
	s_wait_alu 0xfffd
	v_add_co_ci_u32_e64 v39, null, s3, v55, vcc_lo
	v_add_nc_u32_e32 v0, s6, v0
	s_delay_alu instid0(VALU_DEP_4)
	v_add_co_u32 v17, vcc_lo, s0, v17
	s_wait_alu 0xfffd
	v_add_co_ci_u32_e64 v18, null, s1, v18, vcc_lo
	v_add_co_u32 v6, vcc_lo, s2, v6
	s_wait_alu 0xfffd
	v_add_co_ci_u32_e64 v7, null, s3, v7, vcc_lo
	s_wait_loadcnt 0x2
	v_fmac_f32_e32 v13, v70, v14
	s_wait_loadcnt 0x1
	v_mul_f32_e32 v19, v70, v19
	s_wait_loadcnt 0x0
	v_mul_f32_e32 v47, v12, v47
	global_store_b32 v[43:44], v19, off
	global_load_b32 v19, v[38:39], off
	global_store_b32 v[45:46], v47, off
	global_load_b32 v43, v[17:18], off
	v_lshlrev_b64_e32 v[44:45], 2, v[0:1]
	v_add_nc_u32_e32 v0, s6, v0
	s_delay_alu instid0(VALU_DEP_2) | instskip(SKIP_1) | instid1(VALU_DEP_3)
	v_add_co_u32 v46, vcc_lo, s0, v44
	s_wait_alu 0xfffd
	v_add_co_ci_u32_e64 v47, null, s1, v45, vcc_lo
	v_add_co_u32 v4, vcc_lo, s2, v4
	s_wait_alu 0xfffd
	v_add_co_ci_u32_e64 v5, null, s3, v5, vcc_lo
	s_wait_loadcnt 0x1
	v_mul_f32_e32 v19, v70, v19
	s_wait_loadcnt 0x0
	v_mul_f32_e32 v43, v12, v43
	global_store_b32 v[38:39], v19, off
	global_load_b32 v19, v[6:7], off
	global_store_b32 v[17:18], v43, off
	global_load_b32 v43, v[46:47], off
	v_lshlrev_b64_e32 v[17:18], 2, v[0:1]
	v_add_nc_u32_e32 v0, s8, v0
	s_delay_alu instid0(VALU_DEP_1) | instskip(SKIP_1) | instid1(VALU_DEP_1)
	v_lshlrev_b64_e32 v[38:39], 2, v[0:1]
	v_add_nc_u32_e32 v0, s7, v0
	v_lshlrev_b64_e32 v[48:49], 2, v[0:1]
	v_add_nc_u32_e32 v0, s6, v0
	s_delay_alu instid0(VALU_DEP_2) | instskip(SKIP_1) | instid1(VALU_DEP_3)
	v_add_co_u32 v48, vcc_lo, s0, v48
	s_wait_alu 0xfffd
	v_add_co_ci_u32_e64 v49, null, s1, v49, vcc_lo
	s_wait_loadcnt 0x1
	v_mul_f32_e32 v19, v72, v19
	s_wait_loadcnt 0x0
	v_mul_f32_e32 v43, v12, v43
	global_store_b32 v[6:7], v19, off
	global_load_b32 v19, v[4:5], off
	global_store_b32 v[46:47], v43, off
	global_load_b32 v46, v[48:49], off
	v_mov_b32_e32 v43, v1
	s_delay_alu instid0(VALU_DEP_1) | instskip(SKIP_2) | instid1(VALU_DEP_3)
	v_lshlrev_b64_e32 v[6:7], 2, v[42:43]
	v_lshlrev_b64_e32 v[42:43], 2, v[0:1]
	v_add_nc_u32_e32 v0, s6, v0
	v_add_co_u32 v6, vcc_lo, s2, v6
	s_wait_alu 0xfffd
	s_delay_alu instid0(VALU_DEP_4) | instskip(NEXT) | instid1(VALU_DEP_4)
	v_add_co_ci_u32_e64 v7, null, s3, v7, vcc_lo
	v_add_co_u32 v42, vcc_lo, s0, v42
	s_wait_alu 0xfffd
	v_add_co_ci_u32_e64 v43, null, s1, v43, vcc_lo
	v_add_co_u32 v40, vcc_lo, s2, v40
	s_wait_alu 0xfffd
	v_add_co_ci_u32_e64 v41, null, s3, v41, vcc_lo
	s_wait_loadcnt 0x0
	v_dual_mul_f32 v19, v71, v19 :: v_dual_mul_f32 v46, v68, v46
	global_store_b32 v[4:5], v19, off
	global_load_b32 v19, v[6:7], off
	global_store_b32 v[48:49], v46, off
	global_load_b32 v46, v[42:43], off
	v_lshlrev_b64_e32 v[4:5], 2, v[0:1]
	s_wait_loadcnt 0x1
	v_dual_mul_f32 v19, v74, v19 :: v_dual_add_nc_u32 v0, s6, v0
	s_wait_loadcnt 0x0
	v_mul_f32_e32 v48, v68, v46
	s_delay_alu instid0(VALU_DEP_3)
	v_add_co_u32 v46, vcc_lo, s0, v4
	s_wait_alu 0xfffd
	v_add_co_ci_u32_e64 v47, null, s1, v5, vcc_lo
	global_store_b32 v[42:43], v48, off
	global_store_b32 v[6:7], v19, off
	global_load_b32 v19, v[40:41], off
	global_load_b32 v42, v[46:47], off
	v_lshlrev_b64_e32 v[6:7], 2, v[0:1]
	v_add_co_u32 v24, vcc_lo, s2, v24
	s_wait_alu 0xfffd
	v_add_co_ci_u32_e64 v25, null, s3, v25, vcc_lo
	v_add_nc_u32_e32 v0, s6, v0
	s_delay_alu instid0(VALU_DEP_4)
	v_add_co_u32 v6, vcc_lo, s0, v6
	s_wait_alu 0xfffd
	v_add_co_ci_u32_e64 v7, null, s1, v7, vcc_lo
	v_add_co_u32 v30, vcc_lo, s2, v30
	s_wait_alu 0xfffd
	v_add_co_ci_u32_e64 v31, null, s3, v31, vcc_lo
	s_wait_loadcnt 0x0
	v_dual_mul_f32 v19, v74, v19 :: v_dual_mul_f32 v42, v68, v42
	global_store_b32 v[40:41], v19, off
	global_store_b32 v[46:47], v42, off
	global_load_b32 v42, v[6:7], off
	global_load_b32 v19, v[24:25], off
	v_lshlrev_b64_e32 v[40:41], 2, v[0:1]
	s_delay_alu instid0(VALU_DEP_1) | instskip(SKIP_1) | instid1(VALU_DEP_2)
	v_add_co_u32 v40, vcc_lo, s0, v40
	s_wait_alu 0xfffd
	v_add_co_ci_u32_e64 v41, null, s1, v41, vcc_lo
	s_wait_loadcnt 0x1
	v_mul_f32_e32 v42, v68, v42
	s_wait_loadcnt 0x0
	v_mul_f32_e32 v19, v68, v19
	global_store_b32 v[6:7], v42, off
	v_add_co_u32 v6, vcc_lo, s4, v8
	s_wait_alu 0xfffd
	v_add_co_ci_u32_e64 v7, null, s5, v9, vcc_lo
	v_add_co_u32 v8, vcc_lo, s4, v10
	s_wait_alu 0xfffd
	v_add_co_ci_u32_e64 v9, null, s5, v11, vcc_lo
	global_store_b32 v[24:25], v19, off
	global_load_b32 v19, v[30:31], off
	global_load_b32 v24, v[40:41], off
	s_clause 0x1
	global_load_b32 v10, v[6:7], off
	global_load_b32 v11, v[8:9], off
	v_add_co_u32 v8, vcc_lo, s2, v28
	s_wait_alu 0xfffd
	v_add_co_ci_u32_e64 v9, null, s3, v29, vcc_lo
	s_wait_loadcnt 0x3
	v_mul_f32_e32 v19, v70, v19
	s_wait_loadcnt 0x1
	v_fmac_f32_e32 v69, v70, v10
	global_store_b32 v[30:31], v19, off
	s_wait_loadcnt 0x0
	v_dual_fmac_f32 v69, v71, v11 :: v_dual_mul_f32 v24, v68, v24
	global_load_b32 v19, v[8:9], off
	v_fmac_f32_e32 v64, v69, v65
	v_add_nc_u32_e32 v0, s6, v0
	global_store_b32 v[40:41], v24, off
	v_lshlrev_b64_e32 v[6:7], 2, v[0:1]
	v_add_nc_u32_e32 v0, s6, v0
	s_delay_alu instid0(VALU_DEP_2) | instskip(SKIP_1) | instid1(VALU_DEP_3)
	v_add_co_u32 v6, vcc_lo, s0, v6
	s_wait_alu 0xfffd
	v_add_co_ci_u32_e64 v7, null, s1, v7, vcc_lo
	s_delay_alu instid0(VALU_DEP_3)
	v_lshlrev_b64_e32 v[10:11], 2, v[0:1]
	v_add_co_u32 v22, vcc_lo, s2, v22
	global_load_b32 v24, v[6:7], off
	s_wait_alu 0xfffd
	v_add_co_ci_u32_e64 v23, null, s3, v23, vcc_lo
	v_add_co_u32 v10, vcc_lo, s0, v10
	s_wait_alu 0xfffd
	v_add_co_ci_u32_e64 v11, null, s1, v11, vcc_lo
	s_wait_loadcnt 0x1
	v_dual_mul_f32 v19, v69, v19 :: v_dual_add_nc_u32 v0, s6, v0
	global_store_b32 v[8:9], v19, off
	global_load_b32 v19, v[22:23], off
	v_add_co_u32 v8, vcc_lo, s2, v20
	s_wait_alu 0xfffd
	v_add_co_ci_u32_e64 v9, null, s3, v21, vcc_lo
	s_wait_loadcnt 0x1
	v_mul_f32_e32 v24, v68, v24
	global_store_b32 v[6:7], v24, off
	global_load_b32 v24, v[10:11], off
	v_lshlrev_b64_e32 v[6:7], 2, v[0:1]
	s_wait_loadcnt 0x1
	v_dual_mul_f32 v21, v71, v19 :: v_dual_add_nc_u32 v0, s6, v0
	s_delay_alu instid0(VALU_DEP_2) | instskip(SKIP_1) | instid1(VALU_DEP_3)
	v_add_co_u32 v19, vcc_lo, s0, v6
	s_wait_alu 0xfffd
	v_add_co_ci_u32_e64 v20, null, s1, v7, vcc_lo
	global_store_b32 v[22:23], v21, off
	global_load_b32 v23, v[8:9], off
	v_add_co_u32 v21, vcc_lo, s2, v32
	s_wait_alu 0xfffd
	v_add_co_ci_u32_e64 v22, null, s3, v33, vcc_lo
	s_wait_loadcnt 0x1
	v_mul_f32_e32 v24, v68, v24
	global_store_b32 v[10:11], v24, off
	global_load_b32 v24, v[19:20], off
	v_lshlrev_b64_e32 v[10:11], 2, v[0:1]
	s_wait_loadcnt 0x1
	v_dual_mul_f32 v25, v71, v23 :: v_dual_add_nc_u32 v0, s6, v0
	s_delay_alu instid0(VALU_DEP_2)
	v_add_co_u32 v23, vcc_lo, s0, v10
	global_store_b32 v[8:9], v25, off
	global_load_b32 v25, v[21:22], off
	v_lshlrev_b64_e32 v[8:9], 2, v[0:1]
	v_add_nc_u32_e32 v0, s6, v0
	s_wait_loadcnt 0x1
	v_mul_f32_e32 v28, v68, v24
	s_wait_alu 0xfffd
	v_add_co_ci_u32_e64 v24, null, s1, v11, vcc_lo
	global_store_b32 v[19:20], v28, off
	global_load_b32 v28, v[23:24], off
	v_add_co_u32 v19, vcc_lo, s2, v34
	s_wait_alu 0xfffd
	v_add_co_ci_u32_e64 v20, null, s3, v35, vcc_lo
	s_wait_loadcnt 0x1
	v_mul_f32_e32 v25, v68, v25
	global_store_b32 v[21:22], v25, off
	global_load_b32 v25, v[19:20], off
	v_lshlrev_b64_e32 v[21:22], 2, v[0:1]
	v_add_nc_u32_e32 v0, s7, v0
	s_wait_loadcnt 0x1
	v_mul_f32_e32 v30, v68, v28
	v_add_co_u32 v28, vcc_lo, s0, v8
	s_wait_alu 0xfffd
	v_add_co_ci_u32_e64 v29, null, s1, v9, vcc_lo
	global_store_b32 v[23:24], v30, off
	v_add_co_u32 v23, vcc_lo, s2, v36
	global_load_b32 v30, v[28:29], off
	s_wait_alu 0xfffd
	v_add_co_ci_u32_e64 v24, null, s3, v37, vcc_lo
	v_add_co_u32 v21, vcc_lo, s0, v21
	s_wait_alu 0xfffd
	v_add_co_ci_u32_e64 v22, null, s1, v22, vcc_lo
	s_wait_loadcnt 0x1
	v_mul_f32_e32 v25, v12, v25
	global_store_b32 v[19:20], v25, off
	global_load_b32 v31, v[23:24], off
	v_lshlrev_b64_e32 v[19:20], 2, v[0:1]
	v_add_co_u32 v25, vcc_lo, s2, v26
	s_wait_alu 0xfffd
	v_add_co_ci_u32_e64 v26, null, s3, v27, vcc_lo
	v_add_nc_u32_e32 v0, s6, v0
	s_delay_alu instid0(VALU_DEP_4)
	v_add_co_u32 v19, vcc_lo, s0, v19
	s_wait_alu 0xfffd
	v_add_co_ci_u32_e64 v20, null, s1, v20, vcc_lo
	v_add_co_u32 v15, vcc_lo, s2, v15
	s_wait_alu 0xfffd
	v_add_co_ci_u32_e64 v16, null, s3, v16, vcc_lo
	s_wait_loadcnt 0x1
	v_mul_f32_e32 v30, v68, v30
	global_store_b32 v[28:29], v30, off
	global_load_b32 v28, v[21:22], off
	s_wait_loadcnt 0x1
	v_mul_f32_e32 v27, v72, v31
	global_store_b32 v[23:24], v27, off
	global_load_b32 v23, v[25:26], off
	;; [unrolled: 4-line block ×3, first 2 shown]
	v_lshlrev_b64_e32 v[21:22], 2, v[0:1]
	v_add_nc_u32_e32 v0, s6, v0
	s_delay_alu instid0(VALU_DEP_2) | instskip(SKIP_1) | instid1(VALU_DEP_3)
	v_add_co_u32 v21, vcc_lo, s0, v21
	s_wait_alu 0xfffd
	v_add_co_ci_u32_e64 v22, null, s1, v22, vcc_lo
	s_wait_loadcnt 0x1
	v_mul_f32_e32 v23, v68, v23
	global_store_b32 v[25:26], v23, off
	global_load_b32 v25, v[15:16], off
	v_add_co_u32 v23, vcc_lo, s2, v44
	s_wait_loadcnt 0x1
	v_mul_f32_e32 v24, v68, v24
	global_store_b32 v[19:20], v24, off
	global_load_b32 v26, v[21:22], off
	v_lshlrev_b64_e32 v[19:20], 2, v[0:1]
	s_wait_alu 0xfffd
	v_add_co_ci_u32_e64 v24, null, s3, v45, vcc_lo
	v_add_nc_u32_e32 v0, s6, v0
	s_delay_alu instid0(VALU_DEP_3)
	v_add_co_u32 v19, vcc_lo, s0, v19
	s_wait_alu 0xfffd
	v_add_co_ci_u32_e64 v20, null, s1, v20, vcc_lo
	v_add_co_u32 v2, vcc_lo, s4, v2
	s_wait_alu 0xfffd
	v_add_co_ci_u32_e64 v3, null, s5, v3, vcc_lo
	s_wait_loadcnt 0x1
	v_mul_f32_e32 v25, v72, v25
	global_store_b32 v[15:16], v25, off
	global_load_b32 v25, v[23:24], off
	v_add_co_u32 v15, vcc_lo, s2, v17
	s_wait_alu 0xfffd
	v_add_co_ci_u32_e64 v16, null, s3, v18, vcc_lo
	s_wait_loadcnt 0x1
	v_mul_f32_e32 v26, v68, v26
	global_store_b32 v[21:22], v26, off
	global_load_b32 v21, v[19:20], off
	global_load_b32 v22, v[2:3], off
	v_lshlrev_b64_e32 v[2:3], 2, v[0:1]
	v_add_nc_u32_e32 v0, s6, v0
	s_delay_alu instid0(VALU_DEP_2) | instskip(SKIP_1) | instid1(VALU_DEP_3)
	v_add_co_u32 v2, vcc_lo, s0, v2
	s_wait_alu 0xfffd
	v_add_co_ci_u32_e64 v3, null, s1, v3, vcc_lo
	s_wait_loadcnt 0x2
	v_mul_f32_e32 v17, v72, v25
	global_store_b32 v[23:24], v17, off
	s_wait_loadcnt 0x1
	v_mul_f32_e32 v18, v68, v21
	global_load_b32 v21, v[15:16], off
	s_wait_loadcnt 0x1
	v_fmac_f32_e32 v13, v68, v22
	global_store_b32 v[19:20], v18, off
	global_load_b32 v23, v[2:3], off
	v_lshlrev_b64_e32 v[17:18], 2, v[0:1]
	v_add_co_u32 v19, vcc_lo, s2, v38
	s_wait_alu 0xfffd
	v_add_co_ci_u32_e64 v20, null, s3, v39, vcc_lo
	v_add_nc_u32_e32 v0, s6, v0
	s_delay_alu instid0(VALU_DEP_4)
	v_add_co_u32 v17, vcc_lo, s0, v17
	s_wait_alu 0xfffd
	v_add_co_ci_u32_e64 v18, null, s1, v18, vcc_lo
	v_add_co_u32 v4, vcc_lo, s2, v4
	s_wait_alu 0xfffd
	v_add_co_ci_u32_e64 v5, null, s3, v5, vcc_lo
	s_wait_loadcnt 0x1
	v_mul_f32_e32 v14, v13, v21
	s_wait_loadcnt 0x0
	v_mul_f32_e32 v21, v13, v23
	global_store_b32 v[15:16], v14, off
	global_load_b32 v14, v[19:20], off
	global_store_b32 v[2:3], v21, off
	global_load_b32 v15, v[17:18], off
	v_lshlrev_b64_e32 v[2:3], 2, v[0:1]
	v_add_nc_u32_e32 v0, s6, v0
	s_wait_loadcnt 0x1
	v_mul_f32_e32 v16, v72, v14
	s_delay_alu instid0(VALU_DEP_3)
	v_add_co_u32 v14, vcc_lo, s0, v2
	s_wait_loadcnt 0x0
	v_mul_f32_e32 v21, v13, v15
	s_wait_alu 0xfffd
	v_add_co_ci_u32_e64 v15, null, s1, v3, vcc_lo
	global_store_b32 v[19:20], v16, off
	global_load_b32 v19, v[4:5], off
	global_store_b32 v[17:18], v21, off
	global_load_b32 v18, v[14:15], off
	v_lshlrev_b64_e32 v[16:17], 2, v[0:1]
	v_add_co_u32 v6, vcc_lo, s2, v6
	s_wait_alu 0xfffd
	v_add_co_ci_u32_e64 v7, null, s3, v7, vcc_lo
	v_add_nc_u32_e32 v0, s6, v0
	s_delay_alu instid0(VALU_DEP_4)
	v_add_co_u32 v16, vcc_lo, s0, v16
	s_wait_alu 0xfffd
	v_add_co_ci_u32_e64 v17, null, s1, v17, vcc_lo
	v_add_co_u32 v10, vcc_lo, s2, v10
	s_wait_alu 0xfffd
	v_add_co_ci_u32_e64 v11, null, s3, v11, vcc_lo
	s_wait_loadcnt 0x0
	v_dual_mul_f32 v19, v12, v19 :: v_dual_mul_f32 v18, v13, v18
	global_store_b32 v[4:5], v19, off
	global_load_b32 v19, v[6:7], off
	global_store_b32 v[14:15], v18, off
	global_load_b32 v14, v[16:17], off
	v_lshlrev_b64_e32 v[4:5], 2, v[0:1]
	v_add_nc_u32_e32 v0, s6, v0
	s_delay_alu instid0(VALU_DEP_2) | instskip(SKIP_1) | instid1(VALU_DEP_3)
	v_add_co_u32 v4, vcc_lo, s0, v4
	s_wait_alu 0xfffd
	v_add_co_ci_u32_e64 v5, null, s1, v5, vcc_lo
	v_add_co_u32 v8, vcc_lo, s2, v8
	s_wait_alu 0xfffd
	v_add_co_ci_u32_e64 v9, null, s3, v9, vcc_lo
	s_wait_loadcnt 0x1
	v_mul_f32_e32 v15, v13, v19
	s_wait_loadcnt 0x0
	v_mul_f32_e32 v14, v13, v14
	global_store_b32 v[6:7], v15, off
	global_load_b32 v15, v[10:11], off
	global_store_b32 v[16:17], v14, off
	global_load_b32 v14, v[4:5], off
	v_lshlrev_b64_e32 v[6:7], 2, v[0:1]
	v_add_nc_u32_e32 v0, s6, v0
	s_delay_alu instid0(VALU_DEP_2) | instskip(SKIP_1) | instid1(VALU_DEP_3)
	v_add_co_u32 v6, vcc_lo, s0, v6
	s_wait_alu 0xfffd
	v_add_co_ci_u32_e64 v7, null, s1, v7, vcc_lo
	v_add_co_u32 v2, vcc_lo, s2, v2
	s_wait_alu 0xfffd
	v_add_co_ci_u32_e64 v3, null, s3, v3, vcc_lo
	s_wait_loadcnt 0x0
	v_dual_mul_f32 v15, v70, v15 :: v_dual_mul_f32 v14, v13, v14
	global_store_b32 v[10:11], v15, off
	global_load_b32 v10, v[8:9], off
	global_store_b32 v[4:5], v14, off
	global_load_b32 v11, v[6:7], off
	v_lshlrev_b64_e32 v[4:5], 2, v[0:1]
	v_add_nc_u32_e32 v0, s6, v0
	s_delay_alu instid0(VALU_DEP_2) | instskip(SKIP_1) | instid1(VALU_DEP_3)
	v_add_co_u32 v4, vcc_lo, s0, v4
	s_wait_alu 0xfffd
	v_add_co_ci_u32_e64 v5, null, s1, v5, vcc_lo
	s_wait_loadcnt 0x1
	v_mul_f32_e32 v10, v13, v10
	s_wait_loadcnt 0x0
	v_mul_f32_e32 v11, v13, v11
	global_store_b32 v[8:9], v10, off
	global_load_b32 v10, v[2:3], off
	global_store_b32 v[6:7], v11, off
	global_load_b32 v11, v[4:5], off
	v_lshlrev_b64_e32 v[6:7], 2, v[0:1]
	v_add_nc_u32_e32 v0, s6, v0
	s_delay_alu instid0(VALU_DEP_1) | instskip(SKIP_1) | instid1(VALU_DEP_2)
	v_lshlrev_b64_e32 v[8:9], 2, v[0:1]
	v_add_nc_u32_e32 v0, s6, v0
	v_add_co_u32 v8, vcc_lo, s2, v8
	s_wait_alu 0xfffd
	s_delay_alu instid0(VALU_DEP_3)
	v_add_co_ci_u32_e64 v9, null, s3, v9, vcc_lo
	v_add_co_u32 v6, vcc_lo, s0, v6
	s_wait_alu 0xfffd
	v_add_co_ci_u32_e64 v7, null, s1, v7, vcc_lo
	s_wait_loadcnt 0x0
	v_dual_mul_f32 v10, v70, v10 :: v_dual_mul_f32 v11, v13, v11
	global_store_b32 v[2:3], v10, off
	global_load_b32 v24, v[8:9], off
	global_store_b32 v[4:5], v11, off
	global_load_b32 v25, v[6:7], off
	v_lshlrev_b64_e32 v[2:3], 2, v[0:1]
	v_add_nc_u32_e32 v0, s6, v0
	s_delay_alu instid0(VALU_DEP_1) | instskip(SKIP_1) | instid1(VALU_DEP_4)
	v_lshlrev_b64_e32 v[4:5], 2, v[0:1]
	v_add_nc_u32_e32 v0, s6, v0
	v_add_co_u32 v2, vcc_lo, s2, v2
	s_wait_alu 0xfffd
	v_add_co_ci_u32_e64 v3, null, s3, v3, vcc_lo
	s_delay_alu instid0(VALU_DEP_3) | instskip(SKIP_1) | instid1(VALU_DEP_1)
	v_lshlrev_b64_e32 v[10:11], 2, v[0:1]
	v_add_nc_u32_e32 v0, s6, v0
	v_lshlrev_b64_e32 v[14:15], 2, v[0:1]
	v_add_nc_u32_e32 v0, s6, v0
	s_delay_alu instid0(VALU_DEP_1) | instskip(SKIP_1) | instid1(VALU_DEP_1)
	v_lshlrev_b64_e32 v[16:17], 2, v[0:1]
	v_add_nc_u32_e32 v0, s6, v0
	v_lshlrev_b64_e32 v[18:19], 2, v[0:1]
	v_add_nc_u32_e32 v0, s6, v0
	s_delay_alu instid0(VALU_DEP_1) | instskip(SKIP_1) | instid1(VALU_DEP_1)
	v_lshlrev_b64_e32 v[20:21], 2, v[0:1]
	v_add_nc_u32_e32 v0, s7, v0
	v_lshlrev_b64_e32 v[22:23], 2, v[0:1]
	v_add_nc_u32_e32 v0, s6, v0
	s_wait_loadcnt 0x1
	v_mul_f32_e32 v26, v12, v24
	s_delay_alu instid0(VALU_DEP_3)
	v_add_co_u32 v24, vcc_lo, s0, v22
	s_wait_loadcnt 0x0
	v_mul_f32_e32 v13, v13, v25
	s_wait_alu 0xfffd
	v_add_co_ci_u32_e64 v25, null, s1, v23, vcc_lo
	global_store_b32 v[8:9], v26, off
	global_load_b32 v8, v[2:3], off
	global_store_b32 v[6:7], v13, off
	global_load_b32 v9, v[24:25], off
	v_lshlrev_b64_e32 v[6:7], 2, v[0:1]
	v_add_co_u32 v4, vcc_lo, s2, v4
	s_wait_alu 0xfffd
	v_add_co_ci_u32_e64 v5, null, s3, v5, vcc_lo
	v_add_nc_u32_e32 v0, s6, v0
	s_delay_alu instid0(VALU_DEP_4)
	v_add_co_u32 v6, vcc_lo, s0, v6
	s_wait_alu 0xfffd
	v_add_co_ci_u32_e64 v7, null, s1, v7, vcc_lo
	s_wait_loadcnt 0x0
	v_dual_mul_f32 v8, v69, v8 :: v_dual_mul_f32 v9, v70, v9
	global_store_b32 v[2:3], v8, off
	global_load_b32 v13, v[4:5], off
	global_store_b32 v[24:25], v9, off
	global_load_b32 v24, v[6:7], off
	v_lshlrev_b64_e32 v[2:3], 2, v[0:1]
	v_add_co_u32 v8, vcc_lo, s2, v10
	s_wait_alu 0xfffd
	v_add_co_ci_u32_e64 v9, null, s3, v11, vcc_lo
	v_add_nc_u32_e32 v0, s6, v0
	s_delay_alu instid0(VALU_DEP_4)
	v_add_co_u32 v10, vcc_lo, s0, v2
	s_wait_alu 0xfffd
	v_add_co_ci_u32_e64 v11, null, s1, v3, vcc_lo
	s_wait_loadcnt 0x1
	v_mul_f32_e32 v13, v68, v13
	s_wait_loadcnt 0x0
	v_mul_f32_e32 v24, v72, v24
	global_store_b32 v[4:5], v13, off
	global_load_b32 v13, v[8:9], off
	global_store_b32 v[6:7], v24, off
	global_load_b32 v24, v[10:11], off
	v_lshlrev_b64_e32 v[4:5], 2, v[0:1]
	v_add_co_u32 v6, vcc_lo, s2, v14
	s_wait_alu 0xfffd
	v_add_co_ci_u32_e64 v7, null, s3, v15, vcc_lo
	v_add_nc_u32_e32 v0, s6, v0
	s_delay_alu instid0(VALU_DEP_4)
	v_add_co_u32 v4, vcc_lo, s0, v4
	s_wait_alu 0xfffd
	v_add_co_ci_u32_e64 v5, null, s1, v5, vcc_lo
	v_add_co_u32 v15, vcc_lo, s2, v16
	s_wait_alu 0xfffd
	v_add_co_ci_u32_e64 v16, null, s3, v17, vcc_lo
	s_wait_loadcnt 0x0
	v_dual_mul_f32 v13, v68, v13 :: v_dual_mul_f32 v14, v71, v24
	global_store_b32 v[8:9], v13, off
	global_load_b32 v24, v[6:7], off
	global_store_b32 v[10:11], v14, off
	global_load_b32 v25, v[4:5], off
	v_lshlrev_b64_e32 v[8:9], 2, v[0:1]
	v_add_nc_u32_e32 v0, s6, v0
	s_delay_alu instid0(VALU_DEP_1) | instskip(SKIP_1) | instid1(VALU_DEP_1)
	v_lshlrev_b64_e32 v[10:11], 2, v[0:1]
	v_add_nc_u32_e32 v0, s6, v0
	v_lshlrev_b64_e32 v[13:14], 2, v[0:1]
	v_add_nc_u32_e32 v0, s6, v0
	s_delay_alu instid0(VALU_DEP_2) | instskip(SKIP_1) | instid1(VALU_DEP_3)
	v_add_co_u32 v13, vcc_lo, s0, v13
	s_wait_alu 0xfffd
	v_add_co_ci_u32_e64 v14, null, s1, v14, vcc_lo
	s_wait_loadcnt 0x0
	v_dual_mul_f32 v17, v70, v24 :: v_dual_mul_f32 v24, v71, v25
	global_store_b32 v[6:7], v17, off
	global_load_b32 v17, v[15:16], off
	global_store_b32 v[4:5], v24, off
	global_load_b32 v24, v[13:14], off
	v_lshlrev_b64_e32 v[4:5], 2, v[0:1]
	v_add_co_u32 v6, vcc_lo, s2, v18
	s_wait_alu 0xfffd
	v_add_co_ci_u32_e64 v7, null, s3, v19, vcc_lo
	v_add_nc_u32_e32 v0, s6, v0
	s_delay_alu instid0(VALU_DEP_4)
	v_add_co_u32 v4, vcc_lo, s0, v4
	s_wait_alu 0xfffd
	v_add_co_ci_u32_e64 v5, null, s1, v5, vcc_lo
	s_wait_loadcnt 0x0
	v_dual_mul_f32 v17, v72, v17 :: v_dual_mul_f32 v18, v69, v24
	global_store_b32 v[15:16], v17, off
	global_load_b32 v17, v[6:7], off
	global_store_b32 v[13:14], v18, off
	global_load_b32 v18, v[4:5], off
	v_lshlrev_b64_e32 v[13:14], 2, v[0:1]
	v_add_co_u32 v15, vcc_lo, s2, v20
	s_wait_alu 0xfffd
	v_add_co_ci_u32_e64 v16, null, s3, v21, vcc_lo
	v_add_nc_u32_e32 v0, s6, v0
	s_delay_alu instid0(VALU_DEP_4)
	;; [unrolled: 15-line block ×3, first 2 shown]
	v_add_co_u32 v4, vcc_lo, s0, v4
	s_wait_alu 0xfffd
	v_add_co_ci_u32_e64 v5, null, s1, v5, vcc_lo
	v_add_co_u32 v2, vcc_lo, s2, v2
	s_wait_alu 0xfffd
	v_add_co_ci_u32_e64 v3, null, s3, v3, vcc_lo
	s_wait_loadcnt 0x0
	v_dual_mul_f32 v17, v68, v17 :: v_dual_mul_f32 v18, v69, v18
	global_store_b32 v[15:16], v17, off
	global_load_b32 v15, v[6:7], off
	global_store_b32 v[13:14], v18, off
	global_load_b32 v16, v[4:5], off
	v_lshlrev_b64_e32 v[13:14], 2, v[0:1]
	v_add_nc_u32_e32 v0, s6, v0
	s_delay_alu instid0(VALU_DEP_2) | instskip(SKIP_1) | instid1(VALU_DEP_3)
	v_add_co_u32 v13, vcc_lo, s0, v13
	s_wait_alu 0xfffd
	v_add_co_ci_u32_e64 v14, null, s1, v14, vcc_lo
	s_wait_loadcnt 0x1
	v_mul_f32_e32 v15, v69, v15
	s_wait_loadcnt 0x0
	v_mul_f32_e32 v16, v69, v16
	global_store_b32 v[6:7], v15, off
	global_load_b32 v15, v[2:3], off
	global_store_b32 v[4:5], v16, off
	global_load_b32 v16, v[13:14], off
	v_lshlrev_b64_e32 v[4:5], 2, v[0:1]
	v_add_co_u32 v6, vcc_lo, s2, v8
	s_wait_alu 0xfffd
	v_add_co_ci_u32_e64 v7, null, s3, v9, vcc_lo
	v_add_nc_u32_e32 v0, s6, v0
	s_delay_alu instid0(VALU_DEP_4)
	v_add_co_u32 v4, vcc_lo, s0, v4
	s_wait_alu 0xfffd
	v_add_co_ci_u32_e64 v5, null, s1, v5, vcc_lo
	s_wait_loadcnt 0x0
	v_dual_mul_f32 v8, v12, v15 :: v_dual_mul_f32 v9, v69, v16
	global_store_b32 v[2:3], v8, off
	global_load_b32 v15, v[6:7], off
	global_store_b32 v[13:14], v9, off
	global_load_b32 v13, v[4:5], off
	v_lshlrev_b64_e32 v[2:3], 2, v[0:1]
	v_add_co_u32 v8, vcc_lo, s2, v10
	s_wait_alu 0xfffd
	v_add_co_ci_u32_e64 v9, null, s3, v11, vcc_lo
	v_add_nc_u32_e32 v0, s6, v0
	s_delay_alu instid0(VALU_DEP_4)
	v_add_co_u32 v2, vcc_lo, s0, v2
	s_wait_alu 0xfffd
	v_add_co_ci_u32_e64 v3, null, s1, v3, vcc_lo
	s_wait_loadcnt 0x0
	v_dual_mul_f32 v10, v68, v15 :: v_dual_mul_f32 v11, v69, v13
	global_store_b32 v[6:7], v10, off
	global_load_b32 v13, v[8:9], off
	global_store_b32 v[4:5], v11, off
	global_load_b32 v14, v[2:3], off
	v_lshlrev_b64_e32 v[4:5], 2, v[0:1]
	v_add_nc_u32_e32 v0, s6, v0
	s_delay_alu instid0(VALU_DEP_1) | instskip(SKIP_1) | instid1(VALU_DEP_1)
	v_lshlrev_b64_e32 v[6:7], 2, v[0:1]
	v_add_nc_u32_e32 v0, s7, v0
	v_lshlrev_b64_e32 v[10:11], 2, v[0:1]
	v_add_nc_u32_e32 v0, s6, v0
	s_delay_alu instid0(VALU_DEP_2) | instskip(SKIP_1) | instid1(VALU_DEP_3)
	v_add_co_u32 v10, vcc_lo, s2, v10
	s_wait_alu 0xfffd
	v_add_co_ci_u32_e64 v11, null, s3, v11, vcc_lo
	v_add_co_u32 v4, vcc_lo, s0, v4
	s_wait_alu 0xfffd
	v_add_co_ci_u32_e64 v5, null, s1, v5, vcc_lo
	s_wait_loadcnt 0x0
	v_dual_mul_f32 v13, v64, v13 :: v_dual_mul_f32 v14, v69, v14
	global_store_b32 v[8:9], v13, off
	global_load_b32 v8, v[10:11], off
	global_store_b32 v[2:3], v14, off
	global_load_b32 v9, v[4:5], off
	v_lshlrev_b64_e32 v[2:3], 2, v[0:1]
	v_add_nc_u32_e32 v0, s6, v0
	s_delay_alu instid0(VALU_DEP_2) | instskip(SKIP_1) | instid1(VALU_DEP_3)
	v_add_co_u32 v2, vcc_lo, s2, v2
	s_wait_alu 0xfffd
	v_add_co_ci_u32_e64 v3, null, s3, v3, vcc_lo
	v_add_co_u32 v6, vcc_lo, s0, v6
	s_wait_alu 0xfffd
	v_add_co_ci_u32_e64 v7, null, s1, v7, vcc_lo
	s_wait_loadcnt 0x1
	v_mul_f32_e32 v8, v69, v8
	s_wait_loadcnt 0x0
	v_mul_f32_e32 v9, v69, v9
	global_store_b32 v[10:11], v8, off
	global_load_b32 v10, v[2:3], off
	global_store_b32 v[4:5], v9, off
	global_load_b32 v11, v[6:7], off
	v_lshlrev_b64_e32 v[4:5], 2, v[0:1]
	v_add_nc_u32_e32 v0, s6, v0
	s_delay_alu instid0(VALU_DEP_1) | instskip(NEXT) | instid1(VALU_DEP_3)
	v_lshlrev_b64_e32 v[8:9], 2, v[0:1]
	v_add_co_u32 v4, vcc_lo, s2, v4
	s_wait_alu 0xfffd
	s_delay_alu instid0(VALU_DEP_4)
	v_add_co_ci_u32_e64 v5, null, s3, v5, vcc_lo
	s_wait_loadcnt 0x1
	v_dual_mul_f32 v13, v69, v10 :: v_dual_add_nc_u32 v0, s6, v0
	v_add_co_u32 v10, vcc_lo, s0, v8
	s_wait_loadcnt 0x0
	v_mul_f32_e32 v14, v69, v11
	s_wait_alu 0xfffd
	v_add_co_ci_u32_e64 v11, null, s1, v9, vcc_lo
	global_store_b32 v[2:3], v13, off
	global_load_b32 v17, v[4:5], off
	global_store_b32 v[6:7], v14, off
	global_load_b32 v18, v[10:11], off
	v_lshlrev_b64_e32 v[2:3], 2, v[0:1]
	v_add_nc_u32_e32 v0, s7, v0
	v_add_co_u32 v8, vcc_lo, s2, v8
	s_wait_alu 0xfffd
	v_add_co_ci_u32_e64 v9, null, s3, v9, vcc_lo
	s_delay_alu instid0(VALU_DEP_3) | instskip(SKIP_1) | instid1(VALU_DEP_1)
	v_lshlrev_b64_e32 v[6:7], 2, v[0:1]
	v_add_nc_u32_e32 v0, s7, v0
	v_lshlrev_b64_e32 v[13:14], 2, v[0:1]
	v_add_nc_u32_e32 v0, s6, v0
	s_delay_alu instid0(VALU_DEP_1) | instskip(SKIP_1) | instid1(VALU_DEP_2)
	v_lshlrev_b64_e32 v[15:16], 2, v[0:1]
	v_add_nc_u32_e32 v0, s6, v0
	v_add_co_u32 v15, vcc_lo, s0, v15
	s_wait_alu 0xfffd
	s_delay_alu instid0(VALU_DEP_3)
	v_add_co_ci_u32_e64 v16, null, s1, v16, vcc_lo
	v_add_co_u32 v2, vcc_lo, s2, v2
	s_wait_alu 0xfffd
	v_add_co_ci_u32_e64 v3, null, s3, v3, vcc_lo
	s_wait_loadcnt 0x0
	v_dual_mul_f32 v17, v69, v17 :: v_dual_mul_f32 v18, v71, v18
	global_store_b32 v[4:5], v17, off
	global_load_b32 v17, v[8:9], off
	global_store_b32 v[10:11], v18, off
	global_load_b32 v18, v[15:16], off
	v_mad_co_u64_u32 v[4:5], null, s6, 9, v[0:1]
	v_mov_b32_e32 v5, v1
	s_delay_alu instid0(VALU_DEP_1) | instskip(SKIP_2) | instid1(VALU_DEP_2)
	v_lshlrev_b64_e32 v[10:11], 2, v[4:5]
	s_wait_loadcnt 0x1
	v_mul_f32_e32 v5, v69, v17
	v_add_co_u32 v17, vcc_lo, s0, v10
	s_wait_loadcnt 0x0
	v_mul_f32_e32 v19, v70, v18
	s_wait_alu 0xfffd
	v_add_co_ci_u32_e64 v18, null, s1, v11, vcc_lo
	global_store_b32 v[8:9], v5, off
	global_load_b32 v20, v[2:3], off
	global_store_b32 v[15:16], v19, off
	global_load_b32 v15, v[17:18], off
	v_lshlrev_b64_e32 v[8:9], 2, v[0:1]
	v_add_nc_u32_e32 v0, s6, v4
	v_add_co_u32 v6, vcc_lo, s2, v6
	s_wait_alu 0xfffd
	v_add_co_ci_u32_e64 v7, null, s3, v7, vcc_lo
	s_delay_alu instid0(VALU_DEP_3) | instskip(SKIP_1) | instid1(VALU_DEP_2)
	v_lshlrev_b64_e32 v[4:5], 2, v[0:1]
	v_add_nc_u32_e32 v0, s6, v0
	v_add_co_u32 v4, vcc_lo, s0, v4
	s_wait_alu 0xfffd
	s_delay_alu instid0(VALU_DEP_3)
	v_add_co_ci_u32_e64 v5, null, s1, v5, vcc_lo
	v_add_co_u32 v13, vcc_lo, s2, v13
	s_wait_alu 0xfffd
	v_add_co_ci_u32_e64 v14, null, s3, v14, vcc_lo
	s_wait_loadcnt 0x0
	v_dual_mul_f32 v16, v69, v20 :: v_dual_mul_f32 v15, v64, v15
	global_store_b32 v[2:3], v16, off
	global_load_b32 v16, v[6:7], off
	global_store_b32 v[17:18], v15, off
	global_load_b32 v15, v[4:5], off
	v_lshlrev_b64_e32 v[2:3], 2, v[0:1]
	v_add_nc_u32_e32 v0, s6, v0
	s_wait_loadcnt 0x1
	v_mul_f32_e32 v12, v12, v16
	s_wait_loadcnt 0x0
	v_mul_f32_e32 v17, v64, v15
	v_add_co_u32 v15, vcc_lo, s0, v2
	s_wait_alu 0xfffd
	v_add_co_ci_u32_e64 v16, null, s1, v3, vcc_lo
	global_store_b32 v[6:7], v12, off
	global_load_b32 v12, v[13:14], off
	global_store_b32 v[4:5], v17, off
	global_load_b32 v17, v[15:16], off
	v_lshlrev_b64_e32 v[4:5], 2, v[0:1]
	v_add_co_u32 v6, vcc_lo, s2, v8
	s_wait_alu 0xfffd
	v_add_co_ci_u32_e64 v7, null, s3, v9, vcc_lo
	v_add_nc_u32_e32 v0, s6, v0
	s_delay_alu instid0(VALU_DEP_4)
	v_add_co_u32 v4, vcc_lo, s0, v4
	s_wait_alu 0xfffd
	v_add_co_ci_u32_e64 v5, null, s1, v5, vcc_lo
	v_add_co_u32 v10, vcc_lo, s2, v10
	s_wait_alu 0xfffd
	v_add_co_ci_u32_e64 v11, null, s3, v11, vcc_lo
	s_wait_loadcnt 0x1
	v_mul_f32_e32 v8, v68, v12
	s_wait_loadcnt 0x0
	v_mul_f32_e32 v9, v64, v17
	global_store_b32 v[13:14], v8, off
	global_load_b32 v12, v[6:7], off
	global_store_b32 v[15:16], v9, off
	global_load_b32 v13, v[4:5], off
	v_lshlrev_b64_e32 v[8:9], 2, v[0:1]
	v_add_nc_u32_e32 v0, s6, v0
	s_delay_alu instid0(VALU_DEP_2) | instskip(SKIP_1) | instid1(VALU_DEP_3)
	v_add_co_u32 v8, vcc_lo, s0, v8
	s_wait_alu 0xfffd
	v_add_co_ci_u32_e64 v9, null, s1, v9, vcc_lo
	v_add_co_u32 v2, vcc_lo, s2, v2
	s_wait_alu 0xfffd
	v_add_co_ci_u32_e64 v3, null, s3, v3, vcc_lo
	s_wait_loadcnt 0x1
	v_mul_f32_e32 v12, v64, v12
	s_wait_loadcnt 0x0
	v_mul_f32_e32 v13, v64, v13
	global_store_b32 v[6:7], v12, off
	global_load_b32 v6, v[10:11], off
	global_store_b32 v[4:5], v13, off
	global_load_b32 v7, v[8:9], off
	v_lshlrev_b64_e32 v[4:5], 2, v[0:1]
	v_add_nc_u32_e32 v0, s6, v0
	s_delay_alu instid0(VALU_DEP_1) | instskip(SKIP_2) | instid1(VALU_DEP_4)
	v_lshlrev_b64_e32 v[0:1], 2, v[0:1]
	s_wait_loadcnt 0x1
	v_mul_f32_e32 v12, v69, v6
	v_add_co_u32 v6, vcc_lo, s0, v4
	s_wait_loadcnt 0x0
	v_mul_f32_e32 v13, v64, v7
	s_wait_alu 0xfffd
	v_add_co_ci_u32_e64 v7, null, s1, v5, vcc_lo
	global_store_b32 v[10:11], v12, off
	global_load_b32 v10, v[2:3], off
	global_store_b32 v[8:9], v13, off
	global_load_b32 v8, v[6:7], off
	v_add_co_u32 v4, vcc_lo, s2, v4
	s_wait_alu 0xfffd
	v_add_co_ci_u32_e64 v5, null, s3, v5, vcc_lo
	v_add_co_u32 v0, vcc_lo, s0, v0
	s_wait_alu 0xfffd
	v_add_co_ci_u32_e64 v1, null, s1, v1, vcc_lo
	s_wait_loadcnt 0x0
	v_dual_mul_f32 v9, v69, v10 :: v_dual_mul_f32 v8, v64, v8
	global_store_b32 v[2:3], v9, off
	global_store_b32 v[6:7], v8, off
	global_load_b32 v2, v[4:5], off
	global_load_b32 v3, v[0:1], off
	s_wait_loadcnt 0x0
	v_dual_mul_f32 v2, v69, v2 :: v_dual_mul_f32 v3, v64, v3
	global_store_b32 v[4:5], v2, off
	global_store_b32 v[0:1], v3, off
	s_endpgm
	.section	.rodata,"a",@progbits
	.p2align	6, 0x0
	.amdhsa_kernel _Z12qssa2_kernelIfEvPT_S1_PKS0_
		.amdhsa_group_segment_fixed_size 0
		.amdhsa_private_segment_fixed_size 0
		.amdhsa_kernarg_size 280
		.amdhsa_user_sgpr_count 2
		.amdhsa_user_sgpr_dispatch_ptr 0
		.amdhsa_user_sgpr_queue_ptr 0
		.amdhsa_user_sgpr_kernarg_segment_ptr 1
		.amdhsa_user_sgpr_dispatch_id 0
		.amdhsa_user_sgpr_private_segment_size 0
		.amdhsa_wavefront_size32 1
		.amdhsa_uses_dynamic_stack 0
		.amdhsa_enable_private_segment 0
		.amdhsa_system_sgpr_workgroup_id_x 1
		.amdhsa_system_sgpr_workgroup_id_y 0
		.amdhsa_system_sgpr_workgroup_id_z 0
		.amdhsa_system_sgpr_workgroup_info 0
		.amdhsa_system_vgpr_workitem_id 0
		.amdhsa_next_free_vgpr 81
		.amdhsa_next_free_sgpr 10
		.amdhsa_reserve_vcc 1
		.amdhsa_float_round_mode_32 0
		.amdhsa_float_round_mode_16_64 0
		.amdhsa_float_denorm_mode_32 3
		.amdhsa_float_denorm_mode_16_64 3
		.amdhsa_fp16_overflow 0
		.amdhsa_workgroup_processor_mode 1
		.amdhsa_memory_ordered 1
		.amdhsa_forward_progress 1
		.amdhsa_inst_pref_size 90
		.amdhsa_round_robin_scheduling 0
		.amdhsa_exception_fp_ieee_invalid_op 0
		.amdhsa_exception_fp_denorm_src 0
		.amdhsa_exception_fp_ieee_div_zero 0
		.amdhsa_exception_fp_ieee_overflow 0
		.amdhsa_exception_fp_ieee_underflow 0
		.amdhsa_exception_fp_ieee_inexact 0
		.amdhsa_exception_int_div_zero 0
	.end_amdhsa_kernel
	.section	.text._Z12qssa2_kernelIfEvPT_S1_PKS0_,"axG",@progbits,_Z12qssa2_kernelIfEvPT_S1_PKS0_,comdat
.Lfunc_end18:
	.size	_Z12qssa2_kernelIfEvPT_S1_PKS0_, .Lfunc_end18-_Z12qssa2_kernelIfEvPT_S1_PKS0_
                                        ; -- End function
	.set _Z12qssa2_kernelIfEvPT_S1_PKS0_.num_vgpr, 81
	.set _Z12qssa2_kernelIfEvPT_S1_PKS0_.num_agpr, 0
	.set _Z12qssa2_kernelIfEvPT_S1_PKS0_.numbered_sgpr, 10
	.set _Z12qssa2_kernelIfEvPT_S1_PKS0_.num_named_barrier, 0
	.set _Z12qssa2_kernelIfEvPT_S1_PKS0_.private_seg_size, 0
	.set _Z12qssa2_kernelIfEvPT_S1_PKS0_.uses_vcc, 1
	.set _Z12qssa2_kernelIfEvPT_S1_PKS0_.uses_flat_scratch, 0
	.set _Z12qssa2_kernelIfEvPT_S1_PKS0_.has_dyn_sized_stack, 0
	.set _Z12qssa2_kernelIfEvPT_S1_PKS0_.has_recursion, 0
	.set _Z12qssa2_kernelIfEvPT_S1_PKS0_.has_indirect_call, 0
	.section	.AMDGPU.csdata,"",@progbits
; Kernel info:
; codeLenInByte = 11516
; TotalNumSgprs: 12
; NumVgprs: 81
; ScratchSize: 0
; MemoryBound: 0
; FloatMode: 240
; IeeeMode: 1
; LDSByteSize: 0 bytes/workgroup (compile time only)
; SGPRBlocks: 0
; VGPRBlocks: 10
; NumSGPRsForWavesPerEU: 12
; NumVGPRsForWavesPerEU: 81
; Occupancy: 16
; WaveLimiterHint : 0
; COMPUTE_PGM_RSRC2:SCRATCH_EN: 0
; COMPUTE_PGM_RSRC2:USER_SGPR: 2
; COMPUTE_PGM_RSRC2:TRAP_HANDLER: 0
; COMPUTE_PGM_RSRC2:TGID_X_EN: 1
; COMPUTE_PGM_RSRC2:TGID_Y_EN: 0
; COMPUTE_PGM_RSRC2:TGID_Z_EN: 0
; COMPUTE_PGM_RSRC2:TIDIG_COMP_CNT: 0
	.section	.text._Z13rdwdot_kernelIfEvPKT_S2_PS0_S0_S2_,"axG",@progbits,_Z13rdwdot_kernelIfEvPKT_S2_PS0_S0_S2_,comdat
	.protected	_Z13rdwdot_kernelIfEvPKT_S2_PS0_S0_S2_ ; -- Begin function _Z13rdwdot_kernelIfEvPKT_S2_PS0_S0_S2_
	.globl	_Z13rdwdot_kernelIfEvPKT_S2_PS0_S0_S2_
	.p2align	8
	.type	_Z13rdwdot_kernelIfEvPKT_S2_PS0_S0_S2_,@function
_Z13rdwdot_kernelIfEvPKT_S2_PS0_S0_S2_: ; @_Z13rdwdot_kernelIfEvPKT_S2_PS0_S0_S2_
; %bb.0:
	s_clause 0x3
	s_load_b128 s[4:7], s[0:1], 0x0
	s_load_b96 s[8:10], s[0:1], 0x10
	s_load_b96 s[12:14], s[0:1], 0x20
	s_load_b32 s0, s[0:1], 0x34
	v_mov_b32_e32 v3, 0
	s_wait_kmcnt 0x0
	s_and_b32 s2, s0, 0xffff
	s_delay_alu instid0(SALU_CYCLE_1)
	v_mad_co_u64_u32 v[0:1], null, ttmp9, s2, v[0:1]
	s_mul_i32 s0, s14, s2
	s_wait_alu 0xfffe
	s_lshl_b32 s1, s0, 2
	s_mul_i32 s2, s0, 6
	s_mul_i32 s3, s0, 7
	;; [unrolled: 1-line block ×3, first 2 shown]
	s_wait_alu 0xfffe
	v_add_nc_u32_e32 v2, s1, v0
	s_lshl_b32 s14, s0, 1
	s_mul_i32 s15, s0, 3
	s_lshl_b32 s16, s0, 3
	s_delay_alu instid0(VALU_DEP_1) | instskip(SKIP_1) | instid1(VALU_DEP_2)
	v_lshlrev_b64_e32 v[4:5], 2, v[2:3]
	v_add_nc_u32_e32 v2, s0, v2
	v_add_co_u32 v6, vcc_lo, s4, v4
	s_delay_alu instid0(VALU_DEP_1)
	v_add_co_ci_u32_e64 v7, null, s5, v5, vcc_lo
	v_add_co_u32 v4, vcc_lo, s6, v4
	s_wait_alu 0xfffd
	v_add_co_ci_u32_e64 v5, null, s7, v5, vcc_lo
	global_load_b32 v1, v[6:7], off
	global_load_b32 v4, v[4:5], off
	s_wait_loadcnt 0x0
	v_sub_f32_e32 v1, v1, v4
	v_lshlrev_b64_e32 v[4:5], 2, v[2:3]
	v_add_nc_u32_e32 v2, s0, v2
	s_delay_alu instid0(VALU_DEP_2) | instskip(SKIP_1) | instid1(VALU_DEP_3)
	v_add_co_u32 v6, vcc_lo, s4, v4
	s_wait_alu 0xfffd
	v_add_co_ci_u32_e64 v7, null, s5, v5, vcc_lo
	v_add_co_u32 v4, vcc_lo, s6, v4
	s_wait_alu 0xfffd
	v_add_co_ci_u32_e64 v5, null, s7, v5, vcc_lo
	global_load_b32 v6, v[6:7], off
	global_load_b32 v4, v[4:5], off
	s_wait_loadcnt 0x0
	v_sub_f32_e32 v4, v6, v4
	s_delay_alu instid0(VALU_DEP_1) | instskip(SKIP_2) | instid1(VALU_DEP_2)
	v_add_f32_e32 v1, v1, v4
	v_lshlrev_b64_e32 v[4:5], 2, v[2:3]
	v_add_nc_u32_e32 v2, s0, v2
	v_add_co_u32 v6, vcc_lo, s4, v4
	s_wait_alu 0xfffd
	s_delay_alu instid0(VALU_DEP_3)
	v_add_co_ci_u32_e64 v7, null, s5, v5, vcc_lo
	v_add_co_u32 v4, vcc_lo, s6, v4
	s_wait_alu 0xfffd
	v_add_co_ci_u32_e64 v5, null, s7, v5, vcc_lo
	global_load_b32 v6, v[6:7], off
	global_load_b32 v4, v[4:5], off
	s_wait_loadcnt 0x0
	v_sub_f32_e32 v4, v6, v4
	s_delay_alu instid0(VALU_DEP_1) | instskip(SKIP_2) | instid1(VALU_DEP_2)
	v_add_f32_e32 v1, v1, v4
	v_lshlrev_b64_e32 v[4:5], 2, v[2:3]
	v_add_nc_u32_e32 v2, s1, v2
	v_add_co_u32 v6, vcc_lo, s4, v4
	s_wait_alu 0xfffd
	s_delay_alu instid0(VALU_DEP_3)
	v_add_co_ci_u32_e64 v7, null, s5, v5, vcc_lo
	v_add_co_u32 v4, vcc_lo, s6, v4
	s_wait_alu 0xfffd
	v_add_co_ci_u32_e64 v5, null, s7, v5, vcc_lo
	global_load_b32 v6, v[6:7], off
	global_load_b32 v4, v[4:5], off
	s_wait_loadcnt 0x0
	v_sub_f32_e32 v4, v6, v4
	s_delay_alu instid0(VALU_DEP_1) | instskip(SKIP_1) | instid1(VALU_DEP_1)
	v_add_f32_e32 v8, v1, v4
	v_lshlrev_b64_e32 v[4:5], 2, v[2:3]
	v_add_co_u32 v6, vcc_lo, s4, v4
	s_wait_alu 0xfffd
	s_delay_alu instid0(VALU_DEP_2)
	v_add_co_ci_u32_e64 v7, null, s5, v5, vcc_lo
	v_add_co_u32 v4, vcc_lo, s6, v4
	s_wait_alu 0xfffd
	v_add_co_ci_u32_e64 v5, null, s7, v5, vcc_lo
	global_load_b32 v1, v[6:7], off
	global_load_b32 v4, v[4:5], off
	s_wait_loadcnt 0x0
	v_dual_sub_f32 v1, v1, v4 :: v_dual_add_nc_u32 v2, s0, v2
	s_delay_alu instid0(VALU_DEP_1) | instskip(NEXT) | instid1(VALU_DEP_1)
	v_lshlrev_b64_e32 v[4:5], 2, v[2:3]
	v_add_co_u32 v6, vcc_lo, s4, v4
	s_wait_alu 0xfffd
	s_delay_alu instid0(VALU_DEP_2)
	v_add_co_ci_u32_e64 v7, null, s5, v5, vcc_lo
	v_add_co_u32 v4, vcc_lo, s6, v4
	s_wait_alu 0xfffd
	v_add_co_ci_u32_e64 v5, null, s7, v5, vcc_lo
	global_load_b32 v6, v[6:7], off
	global_load_b32 v4, v[4:5], off
	s_wait_loadcnt 0x0
	v_sub_f32_e32 v4, v6, v4
	s_delay_alu instid0(VALU_DEP_1) | instskip(NEXT) | instid1(VALU_DEP_1)
	v_dual_add_f32 v1, v1, v4 :: v_dual_add_nc_u32 v2, s0, v2
	v_lshlrev_b64_e32 v[4:5], 2, v[2:3]
	v_add_nc_u32_e32 v2, s0, v2
	s_delay_alu instid0(VALU_DEP_2) | instskip(SKIP_1) | instid1(VALU_DEP_3)
	v_add_co_u32 v6, vcc_lo, s4, v4
	s_wait_alu 0xfffd
	v_add_co_ci_u32_e64 v7, null, s5, v5, vcc_lo
	v_add_co_u32 v4, vcc_lo, s6, v4
	s_wait_alu 0xfffd
	v_add_co_ci_u32_e64 v5, null, s7, v5, vcc_lo
	global_load_b32 v6, v[6:7], off
	global_load_b32 v4, v[4:5], off
	s_wait_loadcnt 0x0
	v_sub_f32_e32 v4, v6, v4
	s_delay_alu instid0(VALU_DEP_1) | instskip(SKIP_1) | instid1(VALU_DEP_1)
	v_add_f32_e32 v6, v1, v4
	v_lshlrev_b64_e32 v[1:2], 2, v[2:3]
	v_add_co_u32 v4, vcc_lo, s4, v1
	s_wait_alu 0xfffd
	s_delay_alu instid0(VALU_DEP_2)
	v_add_co_ci_u32_e64 v5, null, s5, v2, vcc_lo
	v_add_co_u32 v1, vcc_lo, s6, v1
	s_wait_alu 0xfffd
	v_add_co_ci_u32_e64 v2, null, s7, v2, vcc_lo
	global_load_b32 v4, v[4:5], off
	global_load_b32 v1, v[1:2], off
	s_wait_loadcnt 0x0
	v_sub_f32_e32 v1, v4, v1
	s_delay_alu instid0(VALU_DEP_1) | instskip(SKIP_1) | instid1(VALU_DEP_1)
	v_add_f32_e32 v9, v6, v1
	v_mov_b32_e32 v1, v3
	v_lshlrev_b64_e32 v[1:2], 2, v[0:1]
	s_delay_alu instid0(VALU_DEP_1) | instskip(SKIP_1) | instid1(VALU_DEP_2)
	v_add_co_u32 v4, vcc_lo, s4, v1
	s_wait_alu 0xfffd
	v_add_co_ci_u32_e64 v5, null, s5, v2, vcc_lo
	v_add_co_u32 v1, vcc_lo, s6, v1
	s_wait_alu 0xfffd
	v_add_co_ci_u32_e64 v2, null, s7, v2, vcc_lo
	global_load_b32 v4, v[4:5], off
	global_load_b32 v1, v[1:2], off
	v_add_nc_u32_e32 v2, s0, v0
	s_wait_loadcnt 0x0
	v_sub_f32_e32 v6, v4, v1
	s_delay_alu instid0(VALU_DEP_2) | instskip(SKIP_1) | instid1(VALU_DEP_2)
	v_lshlrev_b64_e32 v[0:1], 2, v[2:3]
	v_add_nc_u32_e32 v2, s0, v2
	v_add_co_u32 v4, vcc_lo, s4, v0
	s_wait_alu 0xfffd
	s_delay_alu instid0(VALU_DEP_3)
	v_add_co_ci_u32_e64 v5, null, s5, v1, vcc_lo
	global_load_b32 v7, v[4:5], off
	v_add_co_u32 v4, vcc_lo, s6, v0
	s_wait_alu 0xfffd
	v_add_co_ci_u32_e64 v5, null, s7, v1, vcc_lo
	global_load_b32 v4, v[4:5], off
	s_wait_loadcnt 0x0
	v_sub_f32_e32 v4, v7, v4
	s_delay_alu instid0(VALU_DEP_1) | instskip(SKIP_2) | instid1(VALU_DEP_2)
	v_sub_f32_e32 v10, v4, v6
	v_lshlrev_b64_e32 v[4:5], 2, v[2:3]
	v_add_nc_u32_e32 v2, s2, v2
	v_add_co_u32 v6, vcc_lo, s4, v4
	s_wait_alu 0xfffd
	s_delay_alu instid0(VALU_DEP_3)
	v_add_co_ci_u32_e64 v7, null, s5, v5, vcc_lo
	v_add_co_u32 v4, vcc_lo, s6, v4
	s_wait_alu 0xfffd
	v_add_co_ci_u32_e64 v5, null, s7, v5, vcc_lo
	global_load_b32 v6, v[6:7], off
	global_load_b32 v4, v[4:5], off
	s_wait_loadcnt 0x0
	v_sub_f32_e32 v4, v6, v4
	s_delay_alu instid0(VALU_DEP_1) | instskip(NEXT) | instid1(VALU_DEP_1)
	v_add_f32_e32 v4, v10, v4
	v_sub_f32_e32 v4, v4, v8
	s_delay_alu instid0(VALU_DEP_1) | instskip(SKIP_2) | instid1(VALU_DEP_2)
	v_sub_f32_e32 v8, v4, v8
	v_lshlrev_b64_e32 v[4:5], 2, v[2:3]
	v_add_nc_u32_e32 v2, s0, v2
	v_add_co_u32 v6, vcc_lo, s4, v4
	s_wait_alu 0xfffd
	s_delay_alu instid0(VALU_DEP_3)
	v_add_co_ci_u32_e64 v7, null, s5, v5, vcc_lo
	v_add_co_u32 v4, vcc_lo, s6, v4
	s_wait_alu 0xfffd
	v_add_co_ci_u32_e64 v5, null, s7, v5, vcc_lo
	global_load_b32 v6, v[6:7], off
	global_load_b32 v4, v[4:5], off
	s_wait_loadcnt 0x0
	v_sub_f32_e32 v4, v6, v4
	s_delay_alu instid0(VALU_DEP_1) | instskip(SKIP_2) | instid1(VALU_DEP_2)
	v_sub_f32_e32 v8, v8, v4
	v_lshlrev_b64_e32 v[4:5], 2, v[2:3]
	v_add_nc_u32_e32 v2, s3, v2
	v_add_co_u32 v6, vcc_lo, s4, v4
	s_wait_alu 0xfffd
	s_delay_alu instid0(VALU_DEP_3)
	v_add_co_ci_u32_e64 v7, null, s5, v5, vcc_lo
	v_add_co_u32 v4, vcc_lo, s6, v4
	s_wait_alu 0xfffd
	v_add_co_ci_u32_e64 v5, null, s7, v5, vcc_lo
	global_load_b32 v6, v[6:7], off
	global_load_b32 v4, v[4:5], off
	s_wait_loadcnt 0x0
	v_sub_f32_e32 v4, v6, v4
	s_delay_alu instid0(VALU_DEP_1) | instskip(NEXT) | instid1(VALU_DEP_1)
	v_sub_f32_e32 v4, v8, v4
	v_sub_f32_e32 v8, v4, v9
	v_lshlrev_b64_e32 v[4:5], 2, v[2:3]
	v_add_nc_u32_e32 v2, s0, v2
	s_delay_alu instid0(VALU_DEP_2) | instskip(SKIP_1) | instid1(VALU_DEP_3)
	v_add_co_u32 v6, vcc_lo, s4, v4
	s_wait_alu 0xfffd
	v_add_co_ci_u32_e64 v7, null, s5, v5, vcc_lo
	v_add_co_u32 v4, vcc_lo, s6, v4
	s_wait_alu 0xfffd
	v_add_co_ci_u32_e64 v5, null, s7, v5, vcc_lo
	global_load_b32 v6, v[6:7], off
	global_load_b32 v4, v[4:5], off
	s_wait_loadcnt 0x0
	v_sub_f32_e32 v4, v6, v4
	s_delay_alu instid0(VALU_DEP_1) | instskip(SKIP_2) | instid1(VALU_DEP_2)
	v_sub_f32_e32 v8, v8, v4
	v_lshlrev_b64_e32 v[4:5], 2, v[2:3]
	v_add_nc_u32_e32 v2, s0, v2
	v_add_co_u32 v6, vcc_lo, s4, v4
	s_wait_alu 0xfffd
	s_delay_alu instid0(VALU_DEP_3)
	v_add_co_ci_u32_e64 v7, null, s5, v5, vcc_lo
	v_add_co_u32 v4, vcc_lo, s6, v4
	s_wait_alu 0xfffd
	v_add_co_ci_u32_e64 v5, null, s7, v5, vcc_lo
	global_load_b32 v6, v[6:7], off
	global_load_b32 v4, v[4:5], off
	s_wait_loadcnt 0x0
	v_sub_f32_e32 v4, v6, v4
	s_delay_alu instid0(VALU_DEP_1) | instskip(SKIP_2) | instid1(VALU_DEP_2)
	v_sub_f32_e32 v8, v8, v4
	v_lshlrev_b64_e32 v[4:5], 2, v[2:3]
	v_add_nc_u32_e32 v2, s11, v2
	v_add_co_u32 v6, vcc_lo, s4, v4
	s_wait_alu 0xfffd
	s_delay_alu instid0(VALU_DEP_3)
	v_add_co_ci_u32_e64 v7, null, s5, v5, vcc_lo
	v_add_co_u32 v4, vcc_lo, s6, v4
	s_wait_alu 0xfffd
	v_add_co_ci_u32_e64 v5, null, s7, v5, vcc_lo
	global_load_b32 v6, v[6:7], off
	global_load_b32 v4, v[4:5], off
	s_wait_loadcnt 0x0
	v_sub_f32_e32 v4, v6, v4
	s_delay_alu instid0(VALU_DEP_1) | instskip(SKIP_2) | instid1(VALU_DEP_2)
	v_sub_f32_e32 v8, v8, v4
	v_lshlrev_b64_e32 v[4:5], 2, v[2:3]
	v_add_nc_u32_e32 v2, s0, v2
	v_add_co_u32 v6, vcc_lo, s4, v4
	s_wait_alu 0xfffd
	s_delay_alu instid0(VALU_DEP_3)
	v_add_co_ci_u32_e64 v7, null, s5, v5, vcc_lo
	v_add_co_u32 v4, vcc_lo, s6, v4
	s_wait_alu 0xfffd
	v_add_co_ci_u32_e64 v5, null, s7, v5, vcc_lo
	global_load_b32 v6, v[6:7], off
	global_load_b32 v4, v[4:5], off
	s_wait_loadcnt 0x0
	v_sub_f32_e32 v4, v6, v4
	s_delay_alu instid0(VALU_DEP_1) | instskip(SKIP_2) | instid1(VALU_DEP_2)
	v_sub_f32_e32 v8, v8, v4
	v_lshlrev_b64_e32 v[4:5], 2, v[2:3]
	v_add_nc_u32_e32 v2, s11, v2
	v_add_co_u32 v6, vcc_lo, s4, v4
	s_wait_alu 0xfffd
	s_delay_alu instid0(VALU_DEP_3)
	v_add_co_ci_u32_e64 v7, null, s5, v5, vcc_lo
	v_add_co_u32 v4, vcc_lo, s6, v4
	s_wait_alu 0xfffd
	v_add_co_ci_u32_e64 v5, null, s7, v5, vcc_lo
	global_load_b32 v6, v[6:7], off
	global_load_b32 v4, v[4:5], off
	s_wait_loadcnt 0x0
	v_sub_f32_e32 v4, v6, v4
	s_delay_alu instid0(VALU_DEP_1) | instskip(SKIP_2) | instid1(VALU_DEP_2)
	v_sub_f32_e32 v8, v8, v4
	v_lshlrev_b64_e32 v[4:5], 2, v[2:3]
	v_add_nc_u32_e32 v2, s1, v2
	v_add_co_u32 v6, vcc_lo, s4, v4
	s_wait_alu 0xfffd
	s_delay_alu instid0(VALU_DEP_3)
	v_add_co_ci_u32_e64 v7, null, s5, v5, vcc_lo
	v_add_co_u32 v4, vcc_lo, s6, v4
	s_wait_alu 0xfffd
	v_add_co_ci_u32_e64 v5, null, s7, v5, vcc_lo
	global_load_b32 v6, v[6:7], off
	global_load_b32 v4, v[4:5], off
	s_wait_loadcnt 0x0
	v_sub_f32_e32 v4, v6, v4
	s_delay_alu instid0(VALU_DEP_1) | instskip(SKIP_2) | instid1(VALU_DEP_2)
	v_add_f32_e32 v8, v8, v4
	v_lshlrev_b64_e32 v[4:5], 2, v[2:3]
	v_add_nc_u32_e32 v2, s0, v2
	v_add_co_u32 v6, vcc_lo, s4, v4
	s_wait_alu 0xfffd
	s_delay_alu instid0(VALU_DEP_3)
	v_add_co_ci_u32_e64 v7, null, s5, v5, vcc_lo
	v_add_co_u32 v4, vcc_lo, s6, v4
	s_wait_alu 0xfffd
	v_add_co_ci_u32_e64 v5, null, s7, v5, vcc_lo
	global_load_b32 v6, v[6:7], off
	global_load_b32 v4, v[4:5], off
	s_wait_loadcnt 0x0
	v_sub_f32_e32 v4, v6, v4
	s_delay_alu instid0(VALU_DEP_1) | instskip(SKIP_2) | instid1(VALU_DEP_2)
	v_add_f32_e32 v8, v8, v4
	v_lshlrev_b64_e32 v[4:5], 2, v[2:3]
	v_add_nc_u32_e32 v2, s0, v2
	v_add_co_u32 v6, vcc_lo, s4, v4
	s_wait_alu 0xfffd
	s_delay_alu instid0(VALU_DEP_3)
	;; [unrolled: 15-line block ×5, first 2 shown]
	v_add_co_ci_u32_e64 v7, null, s5, v5, vcc_lo
	v_add_co_u32 v4, vcc_lo, s6, v4
	s_wait_alu 0xfffd
	v_add_co_ci_u32_e64 v5, null, s7, v5, vcc_lo
	global_load_b32 v6, v[6:7], off
	global_load_b32 v4, v[4:5], off
	s_wait_loadcnt 0x0
	v_sub_f32_e32 v4, v6, v4
	s_delay_alu instid0(VALU_DEP_1) | instskip(SKIP_2) | instid1(VALU_DEP_2)
	v_sub_f32_e32 v8, v8, v4
	v_lshlrev_b64_e32 v[4:5], 2, v[2:3]
	v_add_nc_u32_e32 v2, s14, v2
	v_add_co_u32 v6, vcc_lo, s4, v4
	s_wait_alu 0xfffd
	s_delay_alu instid0(VALU_DEP_3)
	v_add_co_ci_u32_e64 v7, null, s5, v5, vcc_lo
	v_add_co_u32 v4, vcc_lo, s6, v4
	s_wait_alu 0xfffd
	v_add_co_ci_u32_e64 v5, null, s7, v5, vcc_lo
	global_load_b32 v6, v[6:7], off
	global_load_b32 v4, v[4:5], off
	s_wait_loadcnt 0x0
	v_sub_f32_e32 v4, v6, v4
	s_delay_alu instid0(VALU_DEP_1) | instskip(SKIP_2) | instid1(VALU_DEP_2)
	v_sub_f32_e32 v8, v8, v4
	v_lshlrev_b64_e32 v[4:5], 2, v[2:3]
	v_add_nc_u32_e32 v2, s14, v2
	v_add_co_u32 v6, vcc_lo, s4, v4
	s_wait_alu 0xfffd
	s_delay_alu instid0(VALU_DEP_3)
	v_add_co_ci_u32_e64 v7, null, s5, v5, vcc_lo
	v_add_co_u32 v4, vcc_lo, s6, v4
	s_wait_alu 0xfffd
	v_add_co_ci_u32_e64 v5, null, s7, v5, vcc_lo
	global_load_b32 v6, v[6:7], off
	global_load_b32 v4, v[4:5], off
	s_wait_loadcnt 0x0
	v_sub_f32_e32 v4, v6, v4
	s_delay_alu instid0(VALU_DEP_1) | instskip(SKIP_2) | instid1(VALU_DEP_2)
	v_add_f32_e32 v8, v8, v4
	v_lshlrev_b64_e32 v[4:5], 2, v[2:3]
	v_add_nc_u32_e32 v2, s14, v2
	v_add_co_u32 v6, vcc_lo, s4, v4
	s_wait_alu 0xfffd
	s_delay_alu instid0(VALU_DEP_3)
	v_add_co_ci_u32_e64 v7, null, s5, v5, vcc_lo
	v_add_co_u32 v4, vcc_lo, s6, v4
	s_wait_alu 0xfffd
	v_add_co_ci_u32_e64 v5, null, s7, v5, vcc_lo
	global_load_b32 v6, v[6:7], off
	global_load_b32 v4, v[4:5], off
	s_wait_loadcnt 0x0
	v_sub_f32_e32 v4, v6, v4
	s_delay_alu instid0(VALU_DEP_1) | instskip(SKIP_2) | instid1(VALU_DEP_2)
	v_add_f32_e32 v8, v8, v4
	v_lshlrev_b64_e32 v[4:5], 2, v[2:3]
	v_add_nc_u32_e32 v2, s0, v2
	v_add_co_u32 v6, vcc_lo, s4, v4
	s_wait_alu 0xfffd
	s_delay_alu instid0(VALU_DEP_3)
	v_add_co_ci_u32_e64 v7, null, s5, v5, vcc_lo
	v_add_co_u32 v4, vcc_lo, s6, v4
	s_wait_alu 0xfffd
	v_add_co_ci_u32_e64 v5, null, s7, v5, vcc_lo
	global_load_b32 v6, v[6:7], off
	global_load_b32 v4, v[4:5], off
	s_wait_loadcnt 0x0
	v_sub_f32_e32 v4, v6, v4
	s_delay_alu instid0(VALU_DEP_1) | instskip(SKIP_2) | instid1(VALU_DEP_2)
	v_sub_f32_e32 v8, v8, v4
	v_lshlrev_b64_e32 v[4:5], 2, v[2:3]
	v_add_nc_u32_e32 v2, s0, v2
	v_add_co_u32 v6, vcc_lo, s4, v4
	s_wait_alu 0xfffd
	s_delay_alu instid0(VALU_DEP_3)
	v_add_co_ci_u32_e64 v7, null, s5, v5, vcc_lo
	v_add_co_u32 v4, vcc_lo, s6, v4
	s_wait_alu 0xfffd
	v_add_co_ci_u32_e64 v5, null, s7, v5, vcc_lo
	global_load_b32 v6, v[6:7], off
	global_load_b32 v4, v[4:5], off
	s_wait_loadcnt 0x0
	v_sub_f32_e32 v4, v6, v4
	s_delay_alu instid0(VALU_DEP_1) | instskip(SKIP_2) | instid1(VALU_DEP_2)
	v_add_f32_e32 v8, v8, v4
	v_lshlrev_b64_e32 v[4:5], 2, v[2:3]
	v_add_nc_u32_e32 v2, s14, v2
	v_add_co_u32 v6, vcc_lo, s4, v4
	s_wait_alu 0xfffd
	s_delay_alu instid0(VALU_DEP_3)
	v_add_co_ci_u32_e64 v7, null, s5, v5, vcc_lo
	v_add_co_u32 v4, vcc_lo, s6, v4
	s_wait_alu 0xfffd
	v_add_co_ci_u32_e64 v5, null, s7, v5, vcc_lo
	global_load_b32 v6, v[6:7], off
	global_load_b32 v4, v[4:5], off
	s_wait_loadcnt 0x0
	v_sub_f32_e32 v4, v6, v4
	s_delay_alu instid0(VALU_DEP_1) | instskip(SKIP_2) | instid1(VALU_DEP_2)
	v_add_f32_e32 v8, v8, v4
	v_lshlrev_b64_e32 v[4:5], 2, v[2:3]
	v_add_nc_u32_e32 v2, s0, v2
	v_add_co_u32 v6, vcc_lo, s4, v4
	s_wait_alu 0xfffd
	s_delay_alu instid0(VALU_DEP_3)
	v_add_co_ci_u32_e64 v7, null, s5, v5, vcc_lo
	v_add_co_u32 v4, vcc_lo, s6, v4
	s_wait_alu 0xfffd
	v_add_co_ci_u32_e64 v5, null, s7, v5, vcc_lo
	global_load_b32 v6, v[6:7], off
	global_load_b32 v4, v[4:5], off
	s_wait_loadcnt 0x0
	v_sub_f32_e32 v4, v6, v4
	s_delay_alu instid0(VALU_DEP_1) | instskip(NEXT) | instid1(VALU_DEP_1)
	v_add_f32_e32 v5, v8, v4
	v_add_f32_e32 v8, v4, v5
	v_lshlrev_b64_e32 v[4:5], 2, v[2:3]
	v_add_nc_u32_e32 v2, s1, v2
	s_delay_alu instid0(VALU_DEP_2) | instskip(SKIP_1) | instid1(VALU_DEP_3)
	v_add_co_u32 v6, vcc_lo, s4, v4
	s_wait_alu 0xfffd
	v_add_co_ci_u32_e64 v7, null, s5, v5, vcc_lo
	v_add_co_u32 v4, vcc_lo, s6, v4
	s_wait_alu 0xfffd
	v_add_co_ci_u32_e64 v5, null, s7, v5, vcc_lo
	global_load_b32 v6, v[6:7], off
	global_load_b32 v4, v[4:5], off
	s_wait_loadcnt 0x0
	v_sub_f32_e32 v4, v6, v4
	s_delay_alu instid0(VALU_DEP_1) | instskip(SKIP_2) | instid1(VALU_DEP_2)
	v_add_f32_e32 v8, v8, v4
	v_lshlrev_b64_e32 v[4:5], 2, v[2:3]
	v_add_nc_u32_e32 v2, s15, v2
	v_add_co_u32 v6, vcc_lo, s4, v4
	s_wait_alu 0xfffd
	s_delay_alu instid0(VALU_DEP_3)
	v_add_co_ci_u32_e64 v7, null, s5, v5, vcc_lo
	v_add_co_u32 v4, vcc_lo, s6, v4
	s_wait_alu 0xfffd
	v_add_co_ci_u32_e64 v5, null, s7, v5, vcc_lo
	global_load_b32 v6, v[6:7], off
	global_load_b32 v4, v[4:5], off
	s_wait_loadcnt 0x0
	v_sub_f32_e32 v4, v6, v4
	s_delay_alu instid0(VALU_DEP_1) | instskip(SKIP_2) | instid1(VALU_DEP_2)
	v_add_f32_e32 v8, v8, v4
	v_lshlrev_b64_e32 v[4:5], 2, v[2:3]
	v_add_nc_u32_e32 v2, s14, v2
	v_add_co_u32 v6, vcc_lo, s4, v4
	s_wait_alu 0xfffd
	s_delay_alu instid0(VALU_DEP_3)
	v_add_co_ci_u32_e64 v7, null, s5, v5, vcc_lo
	v_add_co_u32 v4, vcc_lo, s6, v4
	s_wait_alu 0xfffd
	v_add_co_ci_u32_e64 v5, null, s7, v5, vcc_lo
	global_load_b32 v6, v[6:7], off
	global_load_b32 v4, v[4:5], off
	s_wait_loadcnt 0x0
	v_sub_f32_e32 v4, v6, v4
	s_delay_alu instid0(VALU_DEP_1) | instskip(SKIP_2) | instid1(VALU_DEP_2)
	v_sub_f32_e32 v8, v8, v4
	v_lshlrev_b64_e32 v[4:5], 2, v[2:3]
	v_add_nc_u32_e32 v2, s0, v2
	v_add_co_u32 v6, vcc_lo, s4, v4
	s_wait_alu 0xfffd
	s_delay_alu instid0(VALU_DEP_3)
	v_add_co_ci_u32_e64 v7, null, s5, v5, vcc_lo
	v_add_co_u32 v4, vcc_lo, s6, v4
	s_wait_alu 0xfffd
	v_add_co_ci_u32_e64 v5, null, s7, v5, vcc_lo
	global_load_b32 v6, v[6:7], off
	global_load_b32 v4, v[4:5], off
	s_wait_loadcnt 0x0
	v_sub_f32_e32 v4, v6, v4
	s_delay_alu instid0(VALU_DEP_1) | instskip(SKIP_2) | instid1(VALU_DEP_2)
	v_add_f32_e32 v8, v8, v4
	v_lshlrev_b64_e32 v[4:5], 2, v[2:3]
	v_add_nc_u32_e32 v2, s0, v2
	v_add_co_u32 v6, vcc_lo, s4, v4
	s_wait_alu 0xfffd
	s_delay_alu instid0(VALU_DEP_3)
	v_add_co_ci_u32_e64 v7, null, s5, v5, vcc_lo
	v_add_co_u32 v4, vcc_lo, s6, v4
	s_wait_alu 0xfffd
	v_add_co_ci_u32_e64 v5, null, s7, v5, vcc_lo
	global_load_b32 v6, v[6:7], off
	global_load_b32 v4, v[4:5], off
	s_wait_loadcnt 0x0
	v_sub_f32_e32 v4, v6, v4
	s_delay_alu instid0(VALU_DEP_1) | instskip(SKIP_2) | instid1(VALU_DEP_2)
	v_add_f32_e32 v8, v8, v4
	;; [unrolled: 15-line block ×4, first 2 shown]
	v_lshlrev_b64_e32 v[4:5], 2, v[2:3]
	v_add_nc_u32_e32 v2, s0, v2
	v_add_co_u32 v6, vcc_lo, s4, v4
	s_wait_alu 0xfffd
	s_delay_alu instid0(VALU_DEP_3)
	v_add_co_ci_u32_e64 v7, null, s5, v5, vcc_lo
	v_add_co_u32 v4, vcc_lo, s6, v4
	s_wait_alu 0xfffd
	v_add_co_ci_u32_e64 v5, null, s7, v5, vcc_lo
	global_load_b32 v6, v[6:7], off
	global_load_b32 v4, v[4:5], off
	s_wait_loadcnt 0x0
	v_sub_f32_e32 v4, v6, v4
	s_delay_alu instid0(VALU_DEP_1) | instskip(SKIP_2) | instid1(VALU_DEP_2)
	v_sub_f32_e32 v8, v8, v4
	v_lshlrev_b64_e32 v[4:5], 2, v[2:3]
	v_add_nc_u32_e32 v2, s11, v2
	v_add_co_u32 v6, vcc_lo, s4, v4
	s_wait_alu 0xfffd
	s_delay_alu instid0(VALU_DEP_3)
	v_add_co_ci_u32_e64 v7, null, s5, v5, vcc_lo
	v_add_co_u32 v4, vcc_lo, s6, v4
	s_wait_alu 0xfffd
	v_add_co_ci_u32_e64 v5, null, s7, v5, vcc_lo
	global_load_b32 v6, v[6:7], off
	global_load_b32 v4, v[4:5], off
	s_wait_loadcnt 0x0
	v_sub_f32_e32 v4, v6, v4
	s_delay_alu instid0(VALU_DEP_1) | instskip(SKIP_2) | instid1(VALU_DEP_2)
	v_sub_f32_e32 v8, v8, v4
	v_lshlrev_b64_e32 v[4:5], 2, v[2:3]
	v_add_nc_u32_e32 v2, s0, v2
	v_add_co_u32 v6, vcc_lo, s4, v4
	s_wait_alu 0xfffd
	s_delay_alu instid0(VALU_DEP_3)
	v_add_co_ci_u32_e64 v7, null, s5, v5, vcc_lo
	v_add_co_u32 v4, vcc_lo, s6, v4
	s_wait_alu 0xfffd
	v_add_co_ci_u32_e64 v5, null, s7, v5, vcc_lo
	global_load_b32 v6, v[6:7], off
	global_load_b32 v4, v[4:5], off
	s_wait_loadcnt 0x0
	v_sub_f32_e32 v4, v6, v4
	s_delay_alu instid0(VALU_DEP_1) | instskip(SKIP_2) | instid1(VALU_DEP_2)
	v_add_f32_e32 v8, v8, v4
	v_lshlrev_b64_e32 v[4:5], 2, v[2:3]
	v_add_nc_u32_e32 v2, s0, v2
	v_add_co_u32 v6, vcc_lo, s4, v4
	s_wait_alu 0xfffd
	s_delay_alu instid0(VALU_DEP_3)
	v_add_co_ci_u32_e64 v7, null, s5, v5, vcc_lo
	v_add_co_u32 v4, vcc_lo, s6, v4
	s_wait_alu 0xfffd
	v_add_co_ci_u32_e64 v5, null, s7, v5, vcc_lo
	global_load_b32 v6, v[6:7], off
	global_load_b32 v4, v[4:5], off
	s_wait_loadcnt 0x0
	v_sub_f32_e32 v4, v6, v4
	s_delay_alu instid0(VALU_DEP_1) | instskip(SKIP_2) | instid1(VALU_DEP_2)
	v_sub_f32_e32 v8, v8, v4
	v_lshlrev_b64_e32 v[4:5], 2, v[2:3]
	v_add_nc_u32_e32 v2, s16, v2
	v_add_co_u32 v6, vcc_lo, s4, v4
	s_wait_alu 0xfffd
	s_delay_alu instid0(VALU_DEP_3)
	v_add_co_ci_u32_e64 v7, null, s5, v5, vcc_lo
	v_add_co_u32 v4, vcc_lo, s6, v4
	s_wait_alu 0xfffd
	v_add_co_ci_u32_e64 v5, null, s7, v5, vcc_lo
	global_load_b32 v6, v[6:7], off
	global_load_b32 v4, v[4:5], off
	s_wait_loadcnt 0x0
	v_sub_f32_e32 v4, v6, v4
	s_delay_alu instid0(VALU_DEP_1) | instskip(SKIP_2) | instid1(VALU_DEP_2)
	v_add_f32_e32 v8, v8, v4
	v_lshlrev_b64_e32 v[4:5], 2, v[2:3]
	v_add_nc_u32_e32 v2, s1, v2
	v_add_co_u32 v6, vcc_lo, s4, v4
	s_wait_alu 0xfffd
	s_delay_alu instid0(VALU_DEP_3)
	v_add_co_ci_u32_e64 v7, null, s5, v5, vcc_lo
	v_add_co_u32 v4, vcc_lo, s6, v4
	s_wait_alu 0xfffd
	v_add_co_ci_u32_e64 v5, null, s7, v5, vcc_lo
	global_load_b32 v6, v[6:7], off
	global_load_b32 v4, v[4:5], off
	s_wait_loadcnt 0x0
	v_sub_f32_e32 v4, v6, v4
	s_delay_alu instid0(VALU_DEP_1) | instskip(SKIP_2) | instid1(VALU_DEP_2)
	v_add_f32_e32 v8, v8, v4
	;; [unrolled: 15-line block ×5, first 2 shown]
	v_lshlrev_b64_e32 v[4:5], 2, v[2:3]
	v_add_nc_u32_e32 v2, s0, v2
	v_add_co_u32 v6, vcc_lo, s4, v4
	s_wait_alu 0xfffd
	s_delay_alu instid0(VALU_DEP_3)
	v_add_co_ci_u32_e64 v7, null, s5, v5, vcc_lo
	v_add_co_u32 v4, vcc_lo, s6, v4
	s_wait_alu 0xfffd
	v_add_co_ci_u32_e64 v5, null, s7, v5, vcc_lo
	global_load_b32 v6, v[6:7], off
	global_load_b32 v4, v[4:5], off
	s_wait_loadcnt 0x0
	v_sub_f32_e32 v4, v6, v4
	s_delay_alu instid0(VALU_DEP_1) | instskip(SKIP_2) | instid1(VALU_DEP_2)
	v_sub_f32_e32 v8, v8, v4
	v_lshlrev_b64_e32 v[4:5], 2, v[2:3]
	v_add_nc_u32_e32 v2, s0, v2
	v_add_co_u32 v6, vcc_lo, s4, v4
	s_wait_alu 0xfffd
	s_delay_alu instid0(VALU_DEP_3)
	v_add_co_ci_u32_e64 v7, null, s5, v5, vcc_lo
	v_add_co_u32 v4, vcc_lo, s6, v4
	s_wait_alu 0xfffd
	v_add_co_ci_u32_e64 v5, null, s7, v5, vcc_lo
	global_load_b32 v6, v[6:7], off
	global_load_b32 v4, v[4:5], off
	s_wait_loadcnt 0x0
	v_sub_f32_e32 v4, v6, v4
	s_delay_alu instid0(VALU_DEP_1) | instskip(SKIP_2) | instid1(VALU_DEP_2)
	v_sub_f32_e32 v8, v8, v4
	;; [unrolled: 15-line block ×4, first 2 shown]
	v_lshlrev_b64_e32 v[4:5], 2, v[2:3]
	v_add_nc_u32_e32 v2, s15, v2
	v_add_co_u32 v6, vcc_lo, s4, v4
	s_wait_alu 0xfffd
	s_delay_alu instid0(VALU_DEP_3)
	v_add_co_ci_u32_e64 v7, null, s5, v5, vcc_lo
	v_add_co_u32 v4, vcc_lo, s6, v4
	s_wait_alu 0xfffd
	v_add_co_ci_u32_e64 v5, null, s7, v5, vcc_lo
	global_load_b32 v6, v[6:7], off
	global_load_b32 v4, v[4:5], off
	s_wait_loadcnt 0x0
	v_sub_f32_e32 v4, v6, v4
	s_delay_alu instid0(VALU_DEP_1) | instskip(SKIP_2) | instid1(VALU_DEP_2)
	v_add_f32_e32 v8, v8, v4
	v_lshlrev_b64_e32 v[4:5], 2, v[2:3]
	v_add_nc_u32_e32 v2, s0, v2
	v_add_co_u32 v6, vcc_lo, s4, v4
	s_wait_alu 0xfffd
	s_delay_alu instid0(VALU_DEP_3)
	v_add_co_ci_u32_e64 v7, null, s5, v5, vcc_lo
	v_add_co_u32 v4, vcc_lo, s6, v4
	s_wait_alu 0xfffd
	v_add_co_ci_u32_e64 v5, null, s7, v5, vcc_lo
	global_load_b32 v6, v[6:7], off
	global_load_b32 v4, v[4:5], off
	s_wait_loadcnt 0x0
	v_sub_f32_e32 v4, v6, v4
	s_delay_alu instid0(VALU_DEP_1) | instskip(SKIP_2) | instid1(VALU_DEP_2)
	v_sub_f32_e32 v8, v8, v4
	v_lshlrev_b64_e32 v[4:5], 2, v[2:3]
	v_add_nc_u32_e32 v2, s2, v2
	v_add_co_u32 v6, vcc_lo, s4, v4
	s_wait_alu 0xfffd
	s_delay_alu instid0(VALU_DEP_3)
	v_add_co_ci_u32_e64 v7, null, s5, v5, vcc_lo
	v_add_co_u32 v4, vcc_lo, s6, v4
	s_wait_alu 0xfffd
	v_add_co_ci_u32_e64 v5, null, s7, v5, vcc_lo
	global_load_b32 v6, v[6:7], off
	global_load_b32 v4, v[4:5], off
	s_wait_loadcnt 0x0
	v_sub_f32_e32 v4, v6, v4
	s_delay_alu instid0(VALU_DEP_1) | instskip(SKIP_2) | instid1(VALU_DEP_2)
	v_add_f32_e32 v8, v8, v4
	v_lshlrev_b64_e32 v[4:5], 2, v[2:3]
	v_add_nc_u32_e32 v2, s0, v2
	v_add_co_u32 v6, vcc_lo, s4, v4
	s_wait_alu 0xfffd
	s_delay_alu instid0(VALU_DEP_3)
	v_add_co_ci_u32_e64 v7, null, s5, v5, vcc_lo
	v_add_co_u32 v4, vcc_lo, s6, v4
	s_wait_alu 0xfffd
	v_add_co_ci_u32_e64 v5, null, s7, v5, vcc_lo
	global_load_b32 v6, v[6:7], off
	global_load_b32 v4, v[4:5], off
	s_wait_loadcnt 0x0
	v_sub_f32_e32 v4, v6, v4
	s_delay_alu instid0(VALU_DEP_1) | instskip(SKIP_2) | instid1(VALU_DEP_2)
	v_add_f32_e32 v8, v8, v4
	v_lshlrev_b64_e32 v[4:5], 2, v[2:3]
	v_add_nc_u32_e32 v2, s14, v2
	v_add_co_u32 v6, vcc_lo, s4, v4
	s_wait_alu 0xfffd
	s_delay_alu instid0(VALU_DEP_3)
	v_add_co_ci_u32_e64 v7, null, s5, v5, vcc_lo
	v_add_co_u32 v4, vcc_lo, s6, v4
	s_wait_alu 0xfffd
	v_add_co_ci_u32_e64 v5, null, s7, v5, vcc_lo
	global_load_b32 v6, v[6:7], off
	global_load_b32 v4, v[4:5], off
	s_wait_loadcnt 0x0
	v_sub_f32_e32 v4, v6, v4
	s_delay_alu instid0(VALU_DEP_1) | instskip(SKIP_2) | instid1(VALU_DEP_2)
	v_add_f32_e32 v8, v8, v4
	v_lshlrev_b64_e32 v[4:5], 2, v[2:3]
	v_add_nc_u32_e32 v2, s2, v2
	v_add_co_u32 v6, vcc_lo, s4, v4
	s_wait_alu 0xfffd
	s_delay_alu instid0(VALU_DEP_3)
	v_add_co_ci_u32_e64 v7, null, s5, v5, vcc_lo
	v_add_co_u32 v4, vcc_lo, s6, v4
	s_wait_alu 0xfffd
	v_add_co_ci_u32_e64 v5, null, s7, v5, vcc_lo
	global_load_b32 v6, v[6:7], off
	global_load_b32 v4, v[4:5], off
	s_wait_loadcnt 0x0
	v_sub_f32_e32 v4, v6, v4
	s_delay_alu instid0(VALU_DEP_1) | instskip(SKIP_2) | instid1(VALU_DEP_2)
	v_add_f32_e32 v8, v8, v4
	v_lshlrev_b64_e32 v[4:5], 2, v[2:3]
	v_add_nc_u32_e32 v2, s14, v2
	v_add_co_u32 v6, vcc_lo, s4, v4
	s_wait_alu 0xfffd
	s_delay_alu instid0(VALU_DEP_3)
	v_add_co_ci_u32_e64 v7, null, s5, v5, vcc_lo
	v_add_co_u32 v4, vcc_lo, s6, v4
	s_wait_alu 0xfffd
	v_add_co_ci_u32_e64 v5, null, s7, v5, vcc_lo
	global_load_b32 v6, v[6:7], off
	global_load_b32 v4, v[4:5], off
	s_wait_loadcnt 0x0
	v_sub_f32_e32 v4, v6, v4
	s_delay_alu instid0(VALU_DEP_1) | instskip(SKIP_2) | instid1(VALU_DEP_2)
	v_add_f32_e32 v8, v8, v4
	v_lshlrev_b64_e32 v[4:5], 2, v[2:3]
	v_add_nc_u32_e32 v2, s0, v2
	v_add_co_u32 v6, vcc_lo, s4, v4
	s_wait_alu 0xfffd
	s_delay_alu instid0(VALU_DEP_3)
	v_add_co_ci_u32_e64 v7, null, s5, v5, vcc_lo
	v_add_co_u32 v4, vcc_lo, s6, v4
	s_wait_alu 0xfffd
	v_add_co_ci_u32_e64 v5, null, s7, v5, vcc_lo
	global_load_b32 v6, v[6:7], off
	global_load_b32 v4, v[4:5], off
	s_wait_loadcnt 0x0
	v_sub_f32_e32 v4, v6, v4
	s_delay_alu instid0(VALU_DEP_1) | instskip(SKIP_2) | instid1(VALU_DEP_2)
	v_sub_f32_e32 v8, v8, v4
	v_lshlrev_b64_e32 v[4:5], 2, v[2:3]
	v_add_nc_u32_e32 v2, s0, v2
	v_add_co_u32 v6, vcc_lo, s4, v4
	s_wait_alu 0xfffd
	s_delay_alu instid0(VALU_DEP_3)
	v_add_co_ci_u32_e64 v7, null, s5, v5, vcc_lo
	v_add_co_u32 v4, vcc_lo, s6, v4
	s_wait_alu 0xfffd
	v_add_co_ci_u32_e64 v5, null, s7, v5, vcc_lo
	global_load_b32 v6, v[6:7], off
	global_load_b32 v4, v[4:5], off
	s_wait_loadcnt 0x0
	v_sub_f32_e32 v4, v6, v4
	s_delay_alu instid0(VALU_DEP_1) | instskip(SKIP_2) | instid1(VALU_DEP_2)
	v_sub_f32_e32 v8, v8, v4
	;; [unrolled: 15-line block ×5, first 2 shown]
	v_lshlrev_b64_e32 v[4:5], 2, v[2:3]
	v_add_nc_u32_e32 v2, s0, v2
	v_add_co_u32 v6, vcc_lo, s4, v4
	s_wait_alu 0xfffd
	s_delay_alu instid0(VALU_DEP_3)
	v_add_co_ci_u32_e64 v7, null, s5, v5, vcc_lo
	v_add_co_u32 v4, vcc_lo, s6, v4
	s_wait_alu 0xfffd
	v_add_co_ci_u32_e64 v5, null, s7, v5, vcc_lo
	global_load_b32 v6, v[6:7], off
	global_load_b32 v4, v[4:5], off
	s_wait_loadcnt 0x0
	v_sub_f32_e32 v4, v6, v4
	s_delay_alu instid0(VALU_DEP_1) | instskip(SKIP_1) | instid1(VALU_DEP_1)
	v_sub_f32_e32 v8, v8, v4
	v_lshlrev_b64_e32 v[4:5], 2, v[2:3]
	v_add_co_u32 v6, vcc_lo, s4, v4
	s_wait_alu 0xfffd
	s_delay_alu instid0(VALU_DEP_2)
	v_add_co_ci_u32_e64 v7, null, s5, v5, vcc_lo
	v_add_co_u32 v4, vcc_lo, s6, v4
	s_wait_alu 0xfffd
	v_add_co_ci_u32_e64 v5, null, s7, v5, vcc_lo
	global_load_b32 v6, v[6:7], off
	global_load_b32 v4, v[4:5], off
	s_wait_loadcnt 0x0
	v_sub_f32_e32 v4, v6, v4
	s_delay_alu instid0(VALU_DEP_1) | instskip(SKIP_2) | instid1(VALU_DEP_1)
	v_add_f32_e32 v9, v8, v4
	v_mad_co_u64_u32 v[4:5], null, s0, 11, v[2:3]
	v_mov_b32_e32 v5, v3
	v_lshlrev_b64_e32 v[5:6], 2, v[4:5]
	s_delay_alu instid0(VALU_DEP_1) | instskip(SKIP_1) | instid1(VALU_DEP_2)
	v_add_co_u32 v7, vcc_lo, s4, v5
	s_wait_alu 0xfffd
	v_add_co_ci_u32_e64 v8, null, s5, v6, vcc_lo
	v_add_co_u32 v5, vcc_lo, s6, v5
	s_wait_alu 0xfffd
	v_add_co_ci_u32_e64 v6, null, s7, v6, vcc_lo
	global_load_b32 v2, v[7:8], off
	global_load_b32 v5, v[5:6], off
	s_wait_loadcnt 0x0
	v_sub_f32_e32 v2, v2, v5
	s_delay_alu instid0(VALU_DEP_1) | instskip(SKIP_1) | instid1(VALU_DEP_1)
	v_add_f32_e32 v8, v9, v2
	v_add_nc_u32_e32 v2, s14, v4
	v_lshlrev_b64_e32 v[4:5], 2, v[2:3]
	v_add_nc_u32_e32 v2, s0, v2
	s_delay_alu instid0(VALU_DEP_2) | instskip(SKIP_1) | instid1(VALU_DEP_3)
	v_add_co_u32 v6, vcc_lo, s4, v4
	s_wait_alu 0xfffd
	v_add_co_ci_u32_e64 v7, null, s5, v5, vcc_lo
	v_add_co_u32 v4, vcc_lo, s6, v4
	s_wait_alu 0xfffd
	v_add_co_ci_u32_e64 v5, null, s7, v5, vcc_lo
	global_load_b32 v6, v[6:7], off
	global_load_b32 v4, v[4:5], off
	s_wait_loadcnt 0x0
	v_sub_f32_e32 v4, v6, v4
	s_delay_alu instid0(VALU_DEP_1) | instskip(SKIP_2) | instid1(VALU_DEP_2)
	v_sub_f32_e32 v8, v8, v4
	v_lshlrev_b64_e32 v[4:5], 2, v[2:3]
	v_add_nc_u32_e32 v2, s0, v2
	v_add_co_u32 v6, vcc_lo, s4, v4
	s_wait_alu 0xfffd
	s_delay_alu instid0(VALU_DEP_3)
	v_add_co_ci_u32_e64 v7, null, s5, v5, vcc_lo
	v_add_co_u32 v4, vcc_lo, s6, v4
	s_wait_alu 0xfffd
	v_add_co_ci_u32_e64 v5, null, s7, v5, vcc_lo
	global_load_b32 v6, v[6:7], off
	global_load_b32 v4, v[4:5], off
	s_wait_loadcnt 0x0
	v_sub_f32_e32 v4, v6, v4
	s_delay_alu instid0(VALU_DEP_1) | instskip(SKIP_2) | instid1(VALU_DEP_2)
	v_sub_f32_e32 v8, v8, v4
	v_lshlrev_b64_e32 v[4:5], 2, v[2:3]
	v_add_nc_u32_e32 v2, s2, v2
	v_add_co_u32 v6, vcc_lo, s4, v4
	s_wait_alu 0xfffd
	s_delay_alu instid0(VALU_DEP_3)
	;; [unrolled: 15-line block ×5, first 2 shown]
	v_add_co_ci_u32_e64 v7, null, s5, v5, vcc_lo
	v_add_co_u32 v4, vcc_lo, s6, v4
	s_wait_alu 0xfffd
	v_add_co_ci_u32_e64 v5, null, s7, v5, vcc_lo
	global_load_b32 v6, v[6:7], off
	global_load_b32 v4, v[4:5], off
	s_wait_loadcnt 0x0
	v_sub_f32_e32 v4, v6, v4
	s_delay_alu instid0(VALU_DEP_1) | instskip(SKIP_2) | instid1(VALU_DEP_2)
	v_add_f32_e32 v8, v8, v4
	v_lshlrev_b64_e32 v[4:5], 2, v[2:3]
	v_add_nc_u32_e32 v2, s15, v2
	v_add_co_u32 v6, vcc_lo, s4, v4
	s_wait_alu 0xfffd
	s_delay_alu instid0(VALU_DEP_3)
	v_add_co_ci_u32_e64 v7, null, s5, v5, vcc_lo
	v_add_co_u32 v4, vcc_lo, s6, v4
	s_wait_alu 0xfffd
	v_add_co_ci_u32_e64 v5, null, s7, v5, vcc_lo
	global_load_b32 v6, v[6:7], off
	global_load_b32 v4, v[4:5], off
	s_wait_loadcnt 0x0
	v_sub_f32_e32 v4, v6, v4
	s_delay_alu instid0(VALU_DEP_1) | instskip(SKIP_2) | instid1(VALU_DEP_2)
	v_add_f32_e32 v8, v8, v4
	v_lshlrev_b64_e32 v[4:5], 2, v[2:3]
	v_add_nc_u32_e32 v2, s0, v2
	v_add_co_u32 v6, vcc_lo, s4, v4
	s_wait_alu 0xfffd
	s_delay_alu instid0(VALU_DEP_3)
	v_add_co_ci_u32_e64 v7, null, s5, v5, vcc_lo
	v_add_co_u32 v4, vcc_lo, s6, v4
	s_wait_alu 0xfffd
	v_add_co_ci_u32_e64 v5, null, s7, v5, vcc_lo
	global_load_b32 v6, v[6:7], off
	global_load_b32 v4, v[4:5], off
	s_wait_loadcnt 0x0
	v_sub_f32_e32 v4, v6, v4
	s_delay_alu instid0(VALU_DEP_1) | instskip(SKIP_2) | instid1(VALU_DEP_2)
	v_sub_f32_e32 v8, v8, v4
	v_lshlrev_b64_e32 v[4:5], 2, v[2:3]
	v_add_nc_u32_e32 v2, s14, v2
	v_add_co_u32 v6, vcc_lo, s4, v4
	s_wait_alu 0xfffd
	s_delay_alu instid0(VALU_DEP_3)
	v_add_co_ci_u32_e64 v7, null, s5, v5, vcc_lo
	v_add_co_u32 v4, vcc_lo, s6, v4
	s_wait_alu 0xfffd
	v_add_co_ci_u32_e64 v5, null, s7, v5, vcc_lo
	global_load_b32 v6, v[6:7], off
	global_load_b32 v4, v[4:5], off
	s_wait_loadcnt 0x0
	v_sub_f32_e32 v4, v6, v4
	s_delay_alu instid0(VALU_DEP_1) | instskip(SKIP_2) | instid1(VALU_DEP_2)
	v_sub_f32_e32 v8, v8, v4
	v_lshlrev_b64_e32 v[4:5], 2, v[2:3]
	v_add_nc_u32_e32 v2, s3, v2
	v_add_co_u32 v6, vcc_lo, s4, v4
	s_wait_alu 0xfffd
	s_delay_alu instid0(VALU_DEP_3)
	v_add_co_ci_u32_e64 v7, null, s5, v5, vcc_lo
	v_add_co_u32 v4, vcc_lo, s6, v4
	s_wait_alu 0xfffd
	v_add_co_ci_u32_e64 v5, null, s7, v5, vcc_lo
	global_load_b32 v6, v[6:7], off
	global_load_b32 v4, v[4:5], off
	s_wait_loadcnt 0x0
	v_sub_f32_e32 v4, v6, v4
	s_delay_alu instid0(VALU_DEP_1) | instskip(SKIP_2) | instid1(VALU_DEP_2)
	v_add_f32_e32 v8, v8, v4
	v_lshlrev_b64_e32 v[4:5], 2, v[2:3]
	v_add_nc_u32_e32 v2, s11, v2
	v_add_co_u32 v6, vcc_lo, s4, v4
	s_wait_alu 0xfffd
	s_delay_alu instid0(VALU_DEP_3)
	v_add_co_ci_u32_e64 v7, null, s5, v5, vcc_lo
	v_add_co_u32 v4, vcc_lo, s6, v4
	s_wait_alu 0xfffd
	v_add_co_ci_u32_e64 v5, null, s7, v5, vcc_lo
	global_load_b32 v6, v[6:7], off
	global_load_b32 v4, v[4:5], off
	s_wait_loadcnt 0x0
	v_sub_f32_e32 v4, v6, v4
	s_delay_alu instid0(VALU_DEP_1) | instskip(SKIP_2) | instid1(VALU_DEP_2)
	v_sub_f32_e32 v8, v8, v4
	v_lshlrev_b64_e32 v[4:5], 2, v[2:3]
	v_add_nc_u32_e32 v2, s0, v2
	v_add_co_u32 v6, vcc_lo, s4, v4
	s_wait_alu 0xfffd
	s_delay_alu instid0(VALU_DEP_3)
	v_add_co_ci_u32_e64 v7, null, s5, v5, vcc_lo
	v_add_co_u32 v4, vcc_lo, s6, v4
	s_wait_alu 0xfffd
	v_add_co_ci_u32_e64 v5, null, s7, v5, vcc_lo
	global_load_b32 v6, v[6:7], off
	global_load_b32 v4, v[4:5], off
	s_wait_loadcnt 0x0
	v_sub_f32_e32 v4, v6, v4
	s_delay_alu instid0(VALU_DEP_1) | instskip(SKIP_2) | instid1(VALU_DEP_2)
	v_sub_f32_e32 v8, v8, v4
	;; [unrolled: 15-line block ×6, first 2 shown]
	v_lshlrev_b64_e32 v[4:5], 2, v[2:3]
	v_add_nc_u32_e32 v2, s2, v2
	v_add_co_u32 v6, vcc_lo, s4, v4
	s_wait_alu 0xfffd
	s_delay_alu instid0(VALU_DEP_3)
	v_add_co_ci_u32_e64 v7, null, s5, v5, vcc_lo
	v_add_co_u32 v4, vcc_lo, s6, v4
	s_wait_alu 0xfffd
	v_add_co_ci_u32_e64 v5, null, s7, v5, vcc_lo
	global_load_b32 v6, v[6:7], off
	global_load_b32 v4, v[4:5], off
	s_wait_loadcnt 0x0
	v_sub_f32_e32 v4, v6, v4
	s_delay_alu instid0(VALU_DEP_1) | instskip(SKIP_3) | instid1(VALU_DEP_2)
	v_add_f32_e32 v8, v8, v4
	v_lshlrev_b64_e32 v[4:5], 2, v[2:3]
	v_add_nc_u32_e32 v2, s0, v2
	s_load_b32 s0, s[12:13], 0x4
	v_add_co_u32 v6, vcc_lo, s4, v4
	s_wait_alu 0xfffd
	s_delay_alu instid0(VALU_DEP_3)
	v_add_co_ci_u32_e64 v7, null, s5, v5, vcc_lo
	v_add_co_u32 v4, vcc_lo, s6, v4
	s_wait_alu 0xfffd
	v_add_co_ci_u32_e64 v5, null, s7, v5, vcc_lo
	global_load_b32 v6, v[6:7], off
	v_lshlrev_b64_e32 v[2:3], 2, v[2:3]
	global_load_b32 v4, v[4:5], off
	v_add_co_u32 v5, vcc_lo, s4, v2
	s_wait_loadcnt 0x0
	v_sub_f32_e32 v4, v6, v4
	s_wait_alu 0xfffd
	v_add_co_ci_u32_e64 v6, null, s5, v3, vcc_lo
	v_add_co_u32 v2, vcc_lo, s6, v2
	s_wait_alu 0xfffd
	v_add_co_ci_u32_e64 v3, null, s7, v3, vcc_lo
	global_load_b32 v5, v[5:6], off
	v_sub_f32_e32 v4, v8, v4
	v_add_co_u32 v0, vcc_lo, s8, v0
	global_load_b32 v2, v[2:3], off
	s_wait_alu 0xfffd
	v_add_co_ci_u32_e64 v1, null, s9, v1, vcc_lo
	s_wait_loadcnt 0x0
	v_sub_f32_e32 v2, v5, v2
	s_delay_alu instid0(VALU_DEP_1) | instskip(NEXT) | instid1(VALU_DEP_1)
	v_sub_f32_e32 v2, v4, v2
	v_mul_f32_e32 v2, s10, v2
	s_wait_kmcnt 0x0
	s_delay_alu instid0(VALU_DEP_1)
	v_mul_f32_e32 v2, s0, v2
	global_store_b32 v[0:1], v2, off
	s_endpgm
	.section	.rodata,"a",@progbits
	.p2align	6, 0x0
	.amdhsa_kernel _Z13rdwdot_kernelIfEvPKT_S2_PS0_S0_S2_
		.amdhsa_group_segment_fixed_size 0
		.amdhsa_private_segment_fixed_size 0
		.amdhsa_kernarg_size 296
		.amdhsa_user_sgpr_count 2
		.amdhsa_user_sgpr_dispatch_ptr 0
		.amdhsa_user_sgpr_queue_ptr 0
		.amdhsa_user_sgpr_kernarg_segment_ptr 1
		.amdhsa_user_sgpr_dispatch_id 0
		.amdhsa_user_sgpr_private_segment_size 0
		.amdhsa_wavefront_size32 1
		.amdhsa_uses_dynamic_stack 0
		.amdhsa_enable_private_segment 0
		.amdhsa_system_sgpr_workgroup_id_x 1
		.amdhsa_system_sgpr_workgroup_id_y 0
		.amdhsa_system_sgpr_workgroup_id_z 0
		.amdhsa_system_sgpr_workgroup_info 0
		.amdhsa_system_vgpr_workitem_id 0
		.amdhsa_next_free_vgpr 11
		.amdhsa_next_free_sgpr 17
		.amdhsa_reserve_vcc 1
		.amdhsa_float_round_mode_32 0
		.amdhsa_float_round_mode_16_64 0
		.amdhsa_float_denorm_mode_32 3
		.amdhsa_float_denorm_mode_16_64 3
		.amdhsa_fp16_overflow 0
		.amdhsa_workgroup_processor_mode 1
		.amdhsa_memory_ordered 1
		.amdhsa_forward_progress 1
		.amdhsa_inst_pref_size 63
		.amdhsa_round_robin_scheduling 0
		.amdhsa_exception_fp_ieee_invalid_op 0
		.amdhsa_exception_fp_denorm_src 0
		.amdhsa_exception_fp_ieee_div_zero 0
		.amdhsa_exception_fp_ieee_overflow 0
		.amdhsa_exception_fp_ieee_underflow 0
		.amdhsa_exception_fp_ieee_inexact 0
		.amdhsa_exception_int_div_zero 0
	.end_amdhsa_kernel
	.section	.text._Z13rdwdot_kernelIfEvPKT_S2_PS0_S0_S2_,"axG",@progbits,_Z13rdwdot_kernelIfEvPKT_S2_PS0_S0_S2_,comdat
.Lfunc_end19:
	.size	_Z13rdwdot_kernelIfEvPKT_S2_PS0_S0_S2_, .Lfunc_end19-_Z13rdwdot_kernelIfEvPKT_S2_PS0_S0_S2_
                                        ; -- End function
	.set _Z13rdwdot_kernelIfEvPKT_S2_PS0_S0_S2_.num_vgpr, 11
	.set _Z13rdwdot_kernelIfEvPKT_S2_PS0_S0_S2_.num_agpr, 0
	.set _Z13rdwdot_kernelIfEvPKT_S2_PS0_S0_S2_.numbered_sgpr, 17
	.set _Z13rdwdot_kernelIfEvPKT_S2_PS0_S0_S2_.num_named_barrier, 0
	.set _Z13rdwdot_kernelIfEvPKT_S2_PS0_S0_S2_.private_seg_size, 0
	.set _Z13rdwdot_kernelIfEvPKT_S2_PS0_S0_S2_.uses_vcc, 1
	.set _Z13rdwdot_kernelIfEvPKT_S2_PS0_S0_S2_.uses_flat_scratch, 0
	.set _Z13rdwdot_kernelIfEvPKT_S2_PS0_S0_S2_.has_dyn_sized_stack, 0
	.set _Z13rdwdot_kernelIfEvPKT_S2_PS0_S0_S2_.has_recursion, 0
	.set _Z13rdwdot_kernelIfEvPKT_S2_PS0_S0_S2_.has_indirect_call, 0
	.section	.AMDGPU.csdata,"",@progbits
; Kernel info:
; codeLenInByte = 7988
; TotalNumSgprs: 19
; NumVgprs: 11
; ScratchSize: 0
; MemoryBound: 0
; FloatMode: 240
; IeeeMode: 1
; LDSByteSize: 0 bytes/workgroup (compile time only)
; SGPRBlocks: 0
; VGPRBlocks: 1
; NumSGPRsForWavesPerEU: 19
; NumVGPRsForWavesPerEU: 11
; Occupancy: 16
; WaveLimiterHint : 0
; COMPUTE_PGM_RSRC2:SCRATCH_EN: 0
; COMPUTE_PGM_RSRC2:USER_SGPR: 2
; COMPUTE_PGM_RSRC2:TRAP_HANDLER: 0
; COMPUTE_PGM_RSRC2:TGID_X_EN: 1
; COMPUTE_PGM_RSRC2:TGID_Y_EN: 0
; COMPUTE_PGM_RSRC2:TGID_Z_EN: 0
; COMPUTE_PGM_RSRC2:TIDIG_COMP_CNT: 0
	.section	.text._Z14rdwdot2_kernelIfEvPKT_S2_PS0_S0_S2_,"axG",@progbits,_Z14rdwdot2_kernelIfEvPKT_S2_PS0_S0_S2_,comdat
	.protected	_Z14rdwdot2_kernelIfEvPKT_S2_PS0_S0_S2_ ; -- Begin function _Z14rdwdot2_kernelIfEvPKT_S2_PS0_S0_S2_
	.globl	_Z14rdwdot2_kernelIfEvPKT_S2_PS0_S0_S2_
	.p2align	8
	.type	_Z14rdwdot2_kernelIfEvPKT_S2_PS0_S0_S2_,@function
_Z14rdwdot2_kernelIfEvPKT_S2_PS0_S0_S2_: ; @_Z14rdwdot2_kernelIfEvPKT_S2_PS0_S0_S2_
; %bb.0:
	s_clause 0x2
	s_load_b32 s2, s[0:1], 0x34
	s_load_b96 s[8:10], s[0:1], 0x20
	s_load_b128 s[4:7], s[0:1], 0x0
	s_wait_kmcnt 0x0
	s_and_b32 s2, s2, 0xffff
	s_delay_alu instid0(SALU_CYCLE_1)
	s_mul_i32 s3, s10, s2
	s_mul_i32 s2, ttmp9, s2
	s_mul_i32 s10, s3, 0x78
	s_mul_i32 s11, s3, 3
	v_add3_u32 v0, s10, s2, v0
	s_lshl_b32 s10, s3, 1
	v_mov_b32_e32 v1, 0
	s_load_b96 s[0:2], s[0:1], 0x10
	s_delay_alu instid0(VALU_DEP_1) | instskip(SKIP_2) | instid1(VALU_DEP_2)
	v_mad_co_u64_u32 v[4:5], null, s3, 25, v[0:1]
	v_lshlrev_b64_e32 v[2:3], 2, v[0:1]
	v_mov_b32_e32 v5, v1
	v_add_co_u32 v6, vcc_lo, s4, v2
	s_delay_alu instid0(VALU_DEP_2) | instskip(NEXT) | instid1(VALU_DEP_4)
	v_lshlrev_b64_e32 v[10:11], 2, v[4:5]
	v_add_co_ci_u32_e64 v7, null, s5, v3, vcc_lo
	v_mad_co_u64_u32 v[4:5], null, s3, 19, v[4:5]
	v_add_co_u32 v8, vcc_lo, s6, v2
	s_wait_alu 0xfffd
	v_add_co_ci_u32_e64 v9, null, s7, v3, vcc_lo
	global_load_b32 v2, v[6:7], off
	v_add_co_u32 v6, vcc_lo, s4, v10
	s_wait_alu 0xfffd
	v_add_co_ci_u32_e64 v7, null, s5, v11, vcc_lo
	v_add_co_u32 v10, vcc_lo, s6, v10
	v_dual_mov_b32 v5, v1 :: v_dual_add_nc_u32 v0, s10, v4
	s_wait_alu 0xfffd
	v_add_co_ci_u32_e64 v11, null, s7, v11, vcc_lo
	global_load_b32 v3, v[8:9], off
	v_mad_co_u64_u32 v[12:13], null, s3, 18, v[0:1]
	v_lshlrev_b64_e32 v[8:9], 2, v[4:5]
	global_load_b32 v4, v[6:7], off
	global_load_b32 v5, v[10:11], off
	v_mov_b32_e32 v13, v1
	v_lshlrev_b64_e32 v[10:11], 2, v[0:1]
	v_add_co_u32 v6, vcc_lo, s4, v8
	s_wait_alu 0xfffd
	v_add_co_ci_u32_e64 v7, null, s5, v9, vcc_lo
	v_add_co_u32 v8, vcc_lo, s6, v8
	v_lshlrev_b64_e32 v[16:17], 2, v[12:13]
	s_wait_alu 0xfffd
	v_add_co_ci_u32_e64 v9, null, s7, v9, vcc_lo
	v_add_co_u32 v14, vcc_lo, s4, v10
	s_wait_alu 0xfffd
	v_add_co_ci_u32_e64 v15, null, s5, v11, vcc_lo
	v_add_co_u32 v10, vcc_lo, s6, v10
	v_add_nc_u32_e32 v0, s3, v12
	s_wait_alu 0xfffd
	v_add_co_ci_u32_e64 v11, null, s7, v11, vcc_lo
	v_add_co_u32 v18, vcc_lo, s4, v16
	s_wait_alu 0xfffd
	v_add_co_ci_u32_e64 v19, null, s5, v17, vcc_lo
	global_load_b32 v6, v[6:7], off
	global_load_b32 v9, v[8:9], off
	;; [unrolled: 1-line block ×5, first 2 shown]
	v_lshlrev_b64_e32 v[11:12], 2, v[0:1]
	v_add_nc_u32_e32 v0, s3, v0
	v_add_co_u32 v13, vcc_lo, s6, v16
	s_wait_alu 0xfffd
	v_add_co_ci_u32_e64 v14, null, s7, v17, vcc_lo
	s_delay_alu instid0(VALU_DEP_3)
	v_lshlrev_b64_e32 v[17:18], 2, v[0:1]
	v_add_co_u32 v15, vcc_lo, s4, v11
	s_wait_alu 0xfffd
	v_add_co_ci_u32_e64 v16, null, s5, v12, vcc_lo
	v_add_co_u32 v19, vcc_lo, s6, v11
	v_add_nc_u32_e32 v0, s3, v0
	s_wait_alu 0xfffd
	v_add_co_ci_u32_e64 v20, null, s7, v12, vcc_lo
	v_add_co_u32 v21, vcc_lo, s4, v17
	s_wait_alu 0xfffd
	v_add_co_ci_u32_e64 v22, null, s5, v18, vcc_lo
	global_load_b32 v13, v[13:14], off
	global_load_b32 v11, v[15:16], off
	;; [unrolled: 1-line block ×4, first 2 shown]
	v_lshlrev_b64_e32 v[15:16], 2, v[0:1]
	v_add_co_u32 v17, vcc_lo, s6, v17
	s_wait_alu 0xfffd
	v_add_co_ci_u32_e64 v18, null, s7, v18, vcc_lo
	v_add_nc_u32_e32 v0, s3, v0
	s_delay_alu instid0(VALU_DEP_4)
	v_add_co_u32 v19, vcc_lo, s4, v15
	s_wait_alu 0xfffd
	v_add_co_ci_u32_e64 v20, null, s5, v16, vcc_lo
	v_add_co_u32 v21, vcc_lo, s6, v15
	s_wait_alu 0xfffd
	v_add_co_ci_u32_e64 v22, null, s7, v16, vcc_lo
	global_load_b32 v34, v[17:18], off
	v_lshlrev_b64_e32 v[16:17], 2, v[0:1]
	v_add_nc_u32_e32 v0, s11, v0
	global_load_b32 v15, v[19:20], off
	global_load_b32 v35, v[21:22], off
	v_lshlrev_b64_e32 v[20:21], 2, v[0:1]
	v_add_co_u32 v18, vcc_lo, s4, v16
	s_wait_alu 0xfffd
	v_add_co_ci_u32_e64 v19, null, s5, v17, vcc_lo
	v_add_nc_u32_e32 v0, s11, v0
	v_add_co_u32 v16, vcc_lo, s6, v16
	s_wait_alu 0xfffd
	v_add_co_ci_u32_e64 v17, null, s7, v17, vcc_lo
	v_add_co_u32 v22, vcc_lo, s4, v20
	s_wait_alu 0xfffd
	v_add_co_ci_u32_e64 v23, null, s5, v21, vcc_lo
	v_add_co_u32 v20, vcc_lo, s6, v20
	global_load_b32 v36, v[18:19], off
	v_lshlrev_b64_e32 v[18:19], 2, v[0:1]
	v_add_nc_u32_e32 v0, s3, v0
	s_wait_alu 0xfffd
	v_add_co_ci_u32_e64 v21, null, s7, v21, vcc_lo
	global_load_b32 v37, v[16:17], off
	global_load_b32 v38, v[22:23], off
	;; [unrolled: 1-line block ×3, first 2 shown]
	v_lshlrev_b64_e32 v[20:21], 2, v[0:1]
	v_add_co_u32 v16, vcc_lo, s4, v18
	v_add_nc_u32_e32 v0, s3, v0
	s_wait_alu 0xfffd
	v_add_co_ci_u32_e64 v17, null, s5, v19, vcc_lo
	v_add_co_u32 v18, vcc_lo, s6, v18
	s_wait_alu 0xfffd
	v_add_co_ci_u32_e64 v19, null, s7, v19, vcc_lo
	v_add_co_u32 v22, vcc_lo, s4, v20
	;; [unrolled: 3-line block ×3, first 2 shown]
	s_wait_alu 0xfffd
	v_add_co_ci_u32_e64 v21, null, s7, v21, vcc_lo
	global_load_b32 v40, v[16:17], off
	global_load_b32 v41, v[18:19], off
	;; [unrolled: 1-line block ×4, first 2 shown]
	s_wait_loadcnt 0x14
	v_dual_sub_f32 v2, v2, v3 :: v_dual_sub_f32 v3, v4, v5
	v_lshlrev_b64_e32 v[24:25], 2, v[0:1]
	v_add_nc_u32_e32 v0, s3, v0
	s_delay_alu instid0(VALU_DEP_3) | instskip(NEXT) | instid1(VALU_DEP_2)
	v_add_f32_e32 v2, v2, v3
	v_lshlrev_b64_e32 v[16:17], 2, v[0:1]
	v_lshl_add_u32 v0, s3, 3, v0
	v_add_co_u32 v18, vcc_lo, s4, v24
	s_wait_alu 0xfffd
	v_add_co_ci_u32_e64 v19, null, s5, v25, vcc_lo
	s_delay_alu instid0(VALU_DEP_3)
	v_mad_co_u64_u32 v[20:21], null, 0xffffff46, s3, v[0:1]
	v_mov_b32_e32 v21, v1
	v_add_co_u32 v22, vcc_lo, s6, v24
	s_wait_alu 0xfffd
	v_add_co_ci_u32_e64 v23, null, s7, v25, vcc_lo
	v_add_co_u32 v24, vcc_lo, s4, v16
	v_mad_co_u64_u32 v[26:27], null, 0x7d, s3, v[20:21]
	v_mov_b32_e32 v27, v1
	s_wait_alu 0xfffd
	v_add_co_ci_u32_e64 v25, null, s5, v17, vcc_lo
	global_load_b32 v44, v[18:19], off
	global_load_b32 v45, v[22:23], off
	global_load_b32 v46, v[24:25], off
	v_add_co_u32 v16, vcc_lo, s6, v16
	v_lshlrev_b64_e32 v[18:19], 2, v[26:27]
	s_wait_alu 0xfffd
	v_add_co_ci_u32_e64 v17, null, s7, v17, vcc_lo
	v_mad_co_u64_u32 v[22:23], null, s3, 45, v[26:27]
	v_mov_b32_e32 v23, v1
	s_delay_alu instid0(VALU_DEP_4)
	v_add_co_u32 v24, vcc_lo, s4, v18
	s_wait_alu 0xfffd
	v_add_co_ci_u32_e64 v25, null, s5, v19, vcc_lo
	v_add_co_u32 v18, vcc_lo, s6, v18
	s_wait_alu 0xfffd
	v_add_co_ci_u32_e64 v19, null, s7, v19, vcc_lo
	global_load_b32 v47, v[16:17], off
	global_load_b32 v48, v[24:25], off
	;; [unrolled: 1-line block ×3, first 2 shown]
	v_lshlrev_b64_e32 v[16:17], 2, v[0:1]
	s_wait_loadcnt 0x14
	v_sub_f32_e32 v4, v10, v13
	v_lshlrev_b64_e32 v[26:27], 2, v[22:23]
	v_sub_f32_e32 v6, v6, v9
	s_delay_alu instid0(VALU_DEP_4) | instskip(SKIP_2) | instid1(VALU_DEP_4)
	v_add_co_u32 v28, vcc_lo, s4, v16
	s_wait_alu 0xfffd
	v_add_co_ci_u32_e64 v29, null, s5, v17, vcc_lo
	v_add_co_u32 v18, vcc_lo, s4, v26
	s_wait_alu 0xfffd
	v_add_co_ci_u32_e64 v19, null, s5, v27, vcc_lo
	v_add_co_u32 v24, vcc_lo, s6, v26
	s_wait_alu 0xfffd
	v_add_co_ci_u32_e64 v25, null, s7, v27, vcc_lo
	global_load_b32 v50, v[18:19], off
	v_add_f32_e32 v2, v2, v6
	s_wait_loadcnt 0x11
	v_dual_sub_f32 v6, v7, v8 :: v_dual_sub_f32 v3, v14, v34
	s_wait_loadcnt 0xd
	v_sub_f32_e32 v9, v36, v37
	s_wait_loadcnt 0x1
	v_dual_sub_f32 v5, v48, v49 :: v_dual_add_nc_u32 v0, s3, v22
	s_delay_alu instid0(VALU_DEP_1) | instskip(NEXT) | instid1(VALU_DEP_2)
	v_add_f32_e32 v5, v4, v5
	v_lshlrev_b64_e32 v[22:23], 2, v[0:1]
	s_delay_alu instid0(VALU_DEP_2) | instskip(NEXT) | instid1(VALU_DEP_2)
	v_dual_add_f32 v5, v3, v5 :: v_dual_add_nc_u32 v0, s10, v0
	v_add_co_u32 v26, vcc_lo, s4, v22
	s_wait_alu 0xfffd
	s_delay_alu instid0(VALU_DEP_3)
	v_add_co_ci_u32_e64 v27, null, s5, v23, vcc_lo
	v_add_co_u32 v22, vcc_lo, s6, v22
	s_wait_alu 0xfffd
	v_add_co_ci_u32_e64 v23, null, s7, v23, vcc_lo
	global_load_b32 v51, v[24:25], off
	global_load_b32 v52, v[26:27], off
	;; [unrolled: 1-line block ×3, first 2 shown]
	v_lshlrev_b64_e32 v[18:19], 2, v[0:1]
	v_dual_add_f32 v5, v9, v5 :: v_dual_add_nc_u32 v0, s3, v0
	s_delay_alu instid0(VALU_DEP_1)
	v_mad_co_u64_u32 v[26:27], null, s3, 6, v[0:1]
	v_lshlrev_b64_e32 v[24:25], 2, v[0:1]
	v_mov_b32_e32 v27, v1
	v_add_co_u32 v22, vcc_lo, s4, v18
	s_wait_alu 0xfffd
	v_add_co_ci_u32_e64 v23, null, s5, v19, vcc_lo
	v_add_co_u32 v18, vcc_lo, s6, v18
	s_wait_alu 0xfffd
	v_add_co_ci_u32_e64 v19, null, s7, v19, vcc_lo
	v_add_co_u32 v30, vcc_lo, s4, v24
	v_lshlrev_b64_e32 v[32:33], 2, v[26:27]
	s_wait_alu 0xfffd
	v_add_co_ci_u32_e64 v31, null, s5, v25, vcc_lo
	v_add_co_u32 v24, vcc_lo, s6, v24
	s_wait_alu 0xfffd
	v_add_co_ci_u32_e64 v25, null, s7, v25, vcc_lo
	v_add_nc_u32_e32 v0, s10, v26
	global_load_b32 v54, v[22:23], off
	global_load_b32 v55, v[18:19], off
	;; [unrolled: 1-line block ×4, first 2 shown]
	v_add_co_u32 v18, vcc_lo, s4, v32
	s_wait_alu 0xfffd
	v_add_co_ci_u32_e64 v19, null, s5, v33, vcc_lo
	v_add_co_u32 v22, vcc_lo, s6, v32
	v_lshlrev_b64_e32 v[24:25], 2, v[0:1]
	v_add_nc_u32_e32 v0, s3, v0
	s_wait_alu 0xfffd
	v_add_co_ci_u32_e64 v23, null, s7, v33, vcc_lo
	v_add_co_u32 v16, vcc_lo, s6, v16
	global_load_b32 v32, v[18:19], off
	global_load_b32 v33, v[22:23], off
	s_wait_alu 0xfffd
	v_add_co_ci_u32_e64 v17, null, s7, v17, vcc_lo
	v_add_co_u32 v18, vcc_lo, s4, v24
	s_wait_alu 0xfffd
	v_add_co_ci_u32_e64 v19, null, s5, v25, vcc_lo
	v_add_co_u32 v24, vcc_lo, s6, v24
	s_wait_alu 0xfffd
	v_add_co_ci_u32_e64 v25, null, s7, v25, vcc_lo
	s_wait_loadcnt 0x8
	v_sub_f32_e32 v7, v50, v51
	v_lshlrev_b64_e32 v[22:23], 2, v[0:1]
	s_delay_alu instid0(VALU_DEP_2) | instskip(SKIP_1) | instid1(VALU_DEP_3)
	v_dual_sub_f32 v5, v5, v7 :: v_dual_add_nc_u32 v0, s10, v0
	v_sub_f32_e32 v7, v38, v39
	v_add_co_u32 v26, vcc_lo, s4, v22
	s_delay_alu instid0(VALU_DEP_3)
	v_lshlrev_b64_e32 v[30:31], 2, v[0:1]
	s_wait_alu 0xfffd
	v_add_co_ci_u32_e64 v27, null, s5, v23, vcc_lo
	v_add_co_u32 v22, vcc_lo, s6, v22
	s_wait_alu 0xfffd
	v_add_co_ci_u32_e64 v23, null, s7, v23, vcc_lo
	global_load_b32 v58, v[18:19], off
	global_load_b32 v24, v[24:25], off
	;; [unrolled: 1-line block ×4, first 2 shown]
	v_add_co_u32 v18, vcc_lo, s4, v30
	s_wait_alu 0xfffd
	v_add_co_ci_u32_e64 v19, null, s5, v31, vcc_lo
	v_add_co_u32 v22, vcc_lo, s6, v30
	s_wait_alu 0xfffd
	v_add_co_ci_u32_e64 v23, null, s7, v31, vcc_lo
	global_load_b32 v27, v[28:29], off
	global_load_b32 v16, v[16:17], off
	;; [unrolled: 1-line block ×4, first 2 shown]
	v_add_f32_e32 v2, v2, v6
	s_wait_loadcnt 0xe
	v_sub_f32_e32 v6, v52, v53
	s_load_b64 s[4:5], s[8:9], 0x4c
	s_delay_alu instid0(VALU_DEP_1) | instskip(SKIP_1) | instid1(VALU_DEP_2)
	v_dual_sub_f32 v5, v5, v6 :: v_dual_sub_f32 v6, v40, v41
	v_sub_f32_e32 v2, v2, v4
	v_dual_sub_f32 v4, v11, v12 :: v_dual_sub_f32 v5, v5, v7
	s_delay_alu instid0(VALU_DEP_1) | instskip(SKIP_2) | instid1(VALU_DEP_2)
	v_sub_f32_e32 v2, v2, v4
	s_wait_loadcnt 0xc
	v_sub_f32_e32 v4, v54, v55
	v_sub_f32_e32 v2, v2, v3
	s_delay_alu instid0(VALU_DEP_2) | instskip(SKIP_2) | instid1(VALU_DEP_2)
	v_dual_sub_f32 v4, v5, v4 :: v_dual_sub_f32 v5, v15, v35
	s_wait_loadcnt 0xa
	v_sub_f32_e32 v3, v56, v57
	v_sub_f32_e32 v2, v2, v5
	;; [unrolled: 1-line block ×3, first 2 shown]
	s_delay_alu instid0(VALU_DEP_2) | instskip(NEXT) | instid1(VALU_DEP_1)
	v_sub_f32_e32 v2, v2, v9
	v_add_f32_e32 v2, v2, v7
	v_sub_f32_e32 v7, v46, v47
	v_sub_f32_e32 v3, v4, v3
	s_delay_alu instid0(VALU_DEP_1) | instskip(SKIP_3) | instid1(VALU_DEP_1)
	v_sub_f32_e32 v3, v3, v6
	s_wait_loadcnt 0x0
	v_dual_sub_f32 v9, v27, v16 :: v_dual_sub_f32 v10, v17, v18
	v_sub_f32_e32 v4, v42, v43
	v_sub_f32_e32 v3, v3, v4
	s_delay_alu instid0(VALU_DEP_1) | instskip(NEXT) | instid1(VALU_DEP_1)
	v_sub_f32_e32 v3, v3, v5
	v_dual_sub_f32 v3, v3, v7 :: v_dual_add_f32 v2, v2, v6
	v_sub_f32_e32 v6, v32, v33
	s_delay_alu instid0(VALU_DEP_2) | instskip(SKIP_1) | instid1(VALU_DEP_3)
	v_add_f32_e32 v2, v2, v4
	v_sub_f32_e32 v4, v58, v24
	v_add_f32_e32 v6, v6, v3
	s_delay_alu instid0(VALU_DEP_3) | instskip(SKIP_2) | instid1(VALU_DEP_4)
	v_add_f32_e32 v5, v2, v5
	v_mad_co_u64_u32 v[2:3], null, 0xffffff48, s3, v[0:1]
	v_sub_f32_e32 v0, v25, v26
	v_add_f32_e32 v4, v4, v6
	s_delay_alu instid0(VALU_DEP_4) | instskip(SKIP_1) | instid1(VALU_DEP_3)
	v_add_f32_e32 v8, v5, v7
	v_mov_b32_e32 v3, v1
	v_add_f32_e32 v11, v0, v4
	v_lshlrev_b64_e32 v[4:5], 2, v[20:21]
	v_add_nc_u32_e32 v0, s3, v2
	v_add_f32_e32 v8, v8, v9
	v_lshlrev_b64_e32 v[6:7], 2, v[2:3]
	v_add_f32_e32 v9, v11, v10
	s_wait_kmcnt 0x0
	v_add_co_u32 v2, vcc_lo, s0, v4
	s_wait_alu 0xfffd
	v_add_co_ci_u32_e64 v3, null, s1, v5, vcc_lo
	v_lshlrev_b64_e32 v[4:5], 2, v[0:1]
	v_mul_f32_e32 v0, s2, v8
	v_mul_f32_e32 v8, s2, v9
	v_add_co_u32 v6, vcc_lo, s0, v6
	s_wait_alu 0xfffd
	v_add_co_ci_u32_e64 v7, null, s1, v7, vcc_lo
	v_mul_f32_e32 v0, s4, v0
	v_add_co_u32 v4, vcc_lo, s0, v4
	v_mul_f32_e32 v8, s5, v8
	s_wait_alu 0xfffd
	v_add_co_ci_u32_e64 v5, null, s1, v5, vcc_lo
	s_clause 0x2
	global_store_b32 v[2:3], v0, off
	global_store_b32 v[6:7], v8, off
	;; [unrolled: 1-line block ×3, first 2 shown]
	s_endpgm
	.section	.rodata,"a",@progbits
	.p2align	6, 0x0
	.amdhsa_kernel _Z14rdwdot2_kernelIfEvPKT_S2_PS0_S0_S2_
		.amdhsa_group_segment_fixed_size 0
		.amdhsa_private_segment_fixed_size 0
		.amdhsa_kernarg_size 296
		.amdhsa_user_sgpr_count 2
		.amdhsa_user_sgpr_dispatch_ptr 0
		.amdhsa_user_sgpr_queue_ptr 0
		.amdhsa_user_sgpr_kernarg_segment_ptr 1
		.amdhsa_user_sgpr_dispatch_id 0
		.amdhsa_user_sgpr_private_segment_size 0
		.amdhsa_wavefront_size32 1
		.amdhsa_uses_dynamic_stack 0
		.amdhsa_enable_private_segment 0
		.amdhsa_system_sgpr_workgroup_id_x 1
		.amdhsa_system_sgpr_workgroup_id_y 0
		.amdhsa_system_sgpr_workgroup_id_z 0
		.amdhsa_system_sgpr_workgroup_info 0
		.amdhsa_system_vgpr_workitem_id 0
		.amdhsa_next_free_vgpr 59
		.amdhsa_next_free_sgpr 12
		.amdhsa_reserve_vcc 1
		.amdhsa_float_round_mode_32 0
		.amdhsa_float_round_mode_16_64 0
		.amdhsa_float_denorm_mode_32 3
		.amdhsa_float_denorm_mode_16_64 3
		.amdhsa_fp16_overflow 0
		.amdhsa_workgroup_processor_mode 1
		.amdhsa_memory_ordered 1
		.amdhsa_forward_progress 1
		.amdhsa_inst_pref_size 19
		.amdhsa_round_robin_scheduling 0
		.amdhsa_exception_fp_ieee_invalid_op 0
		.amdhsa_exception_fp_denorm_src 0
		.amdhsa_exception_fp_ieee_div_zero 0
		.amdhsa_exception_fp_ieee_overflow 0
		.amdhsa_exception_fp_ieee_underflow 0
		.amdhsa_exception_fp_ieee_inexact 0
		.amdhsa_exception_int_div_zero 0
	.end_amdhsa_kernel
	.section	.text._Z14rdwdot2_kernelIfEvPKT_S2_PS0_S0_S2_,"axG",@progbits,_Z14rdwdot2_kernelIfEvPKT_S2_PS0_S0_S2_,comdat
.Lfunc_end20:
	.size	_Z14rdwdot2_kernelIfEvPKT_S2_PS0_S0_S2_, .Lfunc_end20-_Z14rdwdot2_kernelIfEvPKT_S2_PS0_S0_S2_
                                        ; -- End function
	.set _Z14rdwdot2_kernelIfEvPKT_S2_PS0_S0_S2_.num_vgpr, 59
	.set _Z14rdwdot2_kernelIfEvPKT_S2_PS0_S0_S2_.num_agpr, 0
	.set _Z14rdwdot2_kernelIfEvPKT_S2_PS0_S0_S2_.numbered_sgpr, 12
	.set _Z14rdwdot2_kernelIfEvPKT_S2_PS0_S0_S2_.num_named_barrier, 0
	.set _Z14rdwdot2_kernelIfEvPKT_S2_PS0_S0_S2_.private_seg_size, 0
	.set _Z14rdwdot2_kernelIfEvPKT_S2_PS0_S0_S2_.uses_vcc, 1
	.set _Z14rdwdot2_kernelIfEvPKT_S2_PS0_S0_S2_.uses_flat_scratch, 0
	.set _Z14rdwdot2_kernelIfEvPKT_S2_PS0_S0_S2_.has_dyn_sized_stack, 0
	.set _Z14rdwdot2_kernelIfEvPKT_S2_PS0_S0_S2_.has_recursion, 0
	.set _Z14rdwdot2_kernelIfEvPKT_S2_PS0_S0_S2_.has_indirect_call, 0
	.section	.AMDGPU.csdata,"",@progbits
; Kernel info:
; codeLenInByte = 2392
; TotalNumSgprs: 14
; NumVgprs: 59
; ScratchSize: 0
; MemoryBound: 0
; FloatMode: 240
; IeeeMode: 1
; LDSByteSize: 0 bytes/workgroup (compile time only)
; SGPRBlocks: 0
; VGPRBlocks: 7
; NumSGPRsForWavesPerEU: 14
; NumVGPRsForWavesPerEU: 59
; Occupancy: 16
; WaveLimiterHint : 0
; COMPUTE_PGM_RSRC2:SCRATCH_EN: 0
; COMPUTE_PGM_RSRC2:USER_SGPR: 2
; COMPUTE_PGM_RSRC2:TRAP_HANDLER: 0
; COMPUTE_PGM_RSRC2:TGID_X_EN: 1
; COMPUTE_PGM_RSRC2:TGID_Y_EN: 0
; COMPUTE_PGM_RSRC2:TGID_Z_EN: 0
; COMPUTE_PGM_RSRC2:TIDIG_COMP_CNT: 0
	.section	.text._Z14rdwdot3_kernelIfEvPKT_S2_PS0_S0_S2_,"axG",@progbits,_Z14rdwdot3_kernelIfEvPKT_S2_PS0_S0_S2_,comdat
	.protected	_Z14rdwdot3_kernelIfEvPKT_S2_PS0_S0_S2_ ; -- Begin function _Z14rdwdot3_kernelIfEvPKT_S2_PS0_S0_S2_
	.globl	_Z14rdwdot3_kernelIfEvPKT_S2_PS0_S0_S2_
	.p2align	8
	.type	_Z14rdwdot3_kernelIfEvPKT_S2_PS0_S0_S2_,@function
_Z14rdwdot3_kernelIfEvPKT_S2_PS0_S0_S2_: ; @_Z14rdwdot3_kernelIfEvPKT_S2_PS0_S0_S2_
; %bb.0:
	s_clause 0x3
	s_load_b128 s[4:7], s[0:1], 0x0
	s_load_b96 s[8:10], s[0:1], 0x10
	s_load_b96 s[12:14], s[0:1], 0x20
	s_load_b32 s0, s[0:1], 0x34
	v_mov_b32_e32 v1, 0
	s_wait_kmcnt 0x0
	s_and_b32 s0, s0, 0xffff
	s_delay_alu instid0(SALU_CYCLE_1)
	s_mul_i32 s11, s14, s0
	s_mul_i32 s0, ttmp9, s0
	s_mul_i32 s1, s11, 0x71
	s_mul_i32 s20, s11, 6
	v_add3_u32 v0, s1, s0, v0
	s_lshl_b32 s0, s11, 3
	s_lshl_b32 s21, s11, 2
	s_mul_i32 s18, s11, 12
	s_lshl_b32 s15, s11, 1
	v_lshlrev_b64_e32 v[2:3], 2, v[0:1]
	s_wait_alu 0xfffe
	v_add_nc_u32_e32 v0, s0, v0
	s_mul_i32 s19, s11, 3
	s_mul_i32 s17, s11, 39
	s_mul_i32 s16, s11, 5
	v_add_co_u32 v4, vcc_lo, s4, v2
	s_delay_alu instid0(VALU_DEP_1)
	v_add_co_ci_u32_e64 v5, null, s5, v3, vcc_lo
	v_add_co_u32 v2, vcc_lo, s6, v2
	s_wait_alu 0xfffd
	v_add_co_ci_u32_e64 v3, null, s7, v3, vcc_lo
	global_load_b32 v4, v[4:5], off
	global_load_b32 v2, v[2:3], off
	s_wait_loadcnt 0x0
	v_sub_f32_e32 v6, v4, v2
	v_lshlrev_b64_e32 v[2:3], 2, v[0:1]
	s_delay_alu instid0(VALU_DEP_1) | instskip(SKIP_1) | instid1(VALU_DEP_2)
	v_add_co_u32 v4, vcc_lo, s4, v2
	s_wait_alu 0xfffd
	v_add_co_ci_u32_e64 v5, null, s5, v3, vcc_lo
	v_add_co_u32 v2, vcc_lo, s6, v2
	s_wait_alu 0xfffd
	v_add_co_ci_u32_e64 v3, null, s7, v3, vcc_lo
	global_load_b32 v4, v[4:5], off
	global_load_b32 v2, v[2:3], off
	s_wait_loadcnt 0x0
	v_sub_f32_e32 v2, v4, v2
	v_mad_co_u64_u32 v[3:4], null, 0xffffffa5, s11, v[0:1]
	v_mov_b32_e32 v4, v1
	s_delay_alu instid0(VALU_DEP_3) | instskip(NEXT) | instid1(VALU_DEP_2)
	v_sub_f32_e32 v2, v6, v2
	v_lshlrev_b64_e32 v[4:5], 2, v[3:4]
	s_delay_alu instid0(VALU_DEP_1) | instskip(SKIP_1) | instid1(VALU_DEP_2)
	v_add_co_u32 v6, vcc_lo, s4, v4
	s_wait_alu 0xfffd
	v_add_co_ci_u32_e64 v7, null, s5, v5, vcc_lo
	v_add_co_u32 v4, vcc_lo, s6, v4
	s_wait_alu 0xfffd
	v_add_co_ci_u32_e64 v5, null, s7, v5, vcc_lo
	global_load_b32 v0, v[6:7], off
	global_load_b32 v4, v[4:5], off
	s_wait_loadcnt 0x0
	v_dual_sub_f32 v7, v0, v4 :: v_dual_add_nc_u32 v0, s20, v3
	s_delay_alu instid0(VALU_DEP_1) | instskip(SKIP_1) | instid1(VALU_DEP_2)
	v_lshlrev_b64_e32 v[3:4], 2, v[0:1]
	v_add_nc_u32_e32 v0, s21, v0
	v_add_co_u32 v5, vcc_lo, s4, v3
	s_wait_alu 0xfffd
	s_delay_alu instid0(VALU_DEP_3)
	v_add_co_ci_u32_e64 v6, null, s5, v4, vcc_lo
	v_add_co_u32 v3, vcc_lo, s6, v3
	s_wait_alu 0xfffd
	v_add_co_ci_u32_e64 v4, null, s7, v4, vcc_lo
	global_load_b32 v5, v[5:6], off
	global_load_b32 v3, v[3:4], off
	s_wait_loadcnt 0x0
	v_sub_f32_e32 v3, v5, v3
	s_delay_alu instid0(VALU_DEP_1) | instskip(SKIP_1) | instid1(VALU_DEP_1)
	v_add_f32_e32 v7, v7, v3
	v_lshlrev_b64_e32 v[3:4], 2, v[0:1]
	v_add_co_u32 v5, vcc_lo, s4, v3
	s_wait_alu 0xfffd
	s_delay_alu instid0(VALU_DEP_2)
	v_add_co_ci_u32_e64 v6, null, s5, v4, vcc_lo
	v_add_co_u32 v3, vcc_lo, s6, v3
	s_wait_alu 0xfffd
	v_add_co_ci_u32_e64 v4, null, s7, v4, vcc_lo
	global_load_b32 v5, v[5:6], off
	global_load_b32 v3, v[3:4], off
	s_wait_loadcnt 0x0
	v_dual_sub_f32 v3, v5, v3 :: v_dual_add_nc_u32 v0, s18, v0
	s_delay_alu instid0(VALU_DEP_1) | instskip(NEXT) | instid1(VALU_DEP_2)
	v_add_f32_e32 v7, v7, v3
	v_lshlrev_b64_e32 v[3:4], 2, v[0:1]
	s_delay_alu instid0(VALU_DEP_1) | instskip(SKIP_1) | instid1(VALU_DEP_2)
	v_add_co_u32 v5, vcc_lo, s4, v3
	s_wait_alu 0xfffd
	v_add_co_ci_u32_e64 v6, null, s5, v4, vcc_lo
	v_add_co_u32 v3, vcc_lo, s6, v3
	s_wait_alu 0xfffd
	v_add_co_ci_u32_e64 v4, null, s7, v4, vcc_lo
	global_load_b32 v5, v[5:6], off
	global_load_b32 v3, v[3:4], off
	s_wait_loadcnt 0x0
	v_dual_sub_f32 v3, v5, v3 :: v_dual_add_nc_u32 v0, s15, v0
	s_delay_alu instid0(VALU_DEP_1) | instskip(NEXT) | instid1(VALU_DEP_2)
	v_add_f32_e32 v7, v7, v3
	v_lshlrev_b64_e32 v[3:4], 2, v[0:1]
	v_add_nc_u32_e32 v0, s0, v0
	s_mul_i32 s0, s11, 7
	s_delay_alu instid0(VALU_DEP_2) | instskip(SKIP_1) | instid1(VALU_DEP_3)
	v_add_co_u32 v5, vcc_lo, s4, v3
	s_wait_alu 0xfffd
	v_add_co_ci_u32_e64 v6, null, s5, v4, vcc_lo
	v_add_co_u32 v3, vcc_lo, s6, v3
	s_wait_alu 0xfffd
	v_add_co_ci_u32_e64 v4, null, s7, v4, vcc_lo
	global_load_b32 v5, v[5:6], off
	global_load_b32 v3, v[3:4], off
	s_wait_loadcnt 0x0
	v_sub_f32_e32 v3, v5, v3
	s_delay_alu instid0(VALU_DEP_1) | instskip(SKIP_3) | instid1(VALU_DEP_2)
	v_add_f32_e32 v7, v7, v3
	v_lshlrev_b64_e32 v[3:4], 2, v[0:1]
	s_wait_alu 0xfffe
	v_add_nc_u32_e32 v0, s0, v0
	v_add_co_u32 v5, vcc_lo, s4, v3
	s_wait_alu 0xfffd
	s_delay_alu instid0(VALU_DEP_3)
	v_add_co_ci_u32_e64 v6, null, s5, v4, vcc_lo
	v_add_co_u32 v3, vcc_lo, s6, v3
	s_wait_alu 0xfffd
	v_add_co_ci_u32_e64 v4, null, s7, v4, vcc_lo
	global_load_b32 v5, v[5:6], off
	global_load_b32 v3, v[3:4], off
	s_wait_loadcnt 0x0
	v_sub_f32_e32 v3, v5, v3
	s_delay_alu instid0(VALU_DEP_1) | instskip(SKIP_2) | instid1(VALU_DEP_2)
	v_add_f32_e32 v7, v7, v3
	v_lshlrev_b64_e32 v[3:4], 2, v[0:1]
	v_add_nc_u32_e32 v0, s11, v0
	v_add_co_u32 v5, vcc_lo, s4, v3
	s_wait_alu 0xfffd
	s_delay_alu instid0(VALU_DEP_3)
	v_add_co_ci_u32_e64 v6, null, s5, v4, vcc_lo
	v_add_co_u32 v3, vcc_lo, s6, v3
	s_wait_alu 0xfffd
	v_add_co_ci_u32_e64 v4, null, s7, v4, vcc_lo
	global_load_b32 v5, v[5:6], off
	global_load_b32 v3, v[3:4], off
	s_wait_loadcnt 0x0
	v_sub_f32_e32 v3, v5, v3
	s_delay_alu instid0(VALU_DEP_1) | instskip(SKIP_2) | instid1(VALU_DEP_2)
	v_add_f32_e32 v7, v7, v3
	v_lshlrev_b64_e32 v[3:4], 2, v[0:1]
	v_add_nc_u32_e32 v0, s11, v0
	v_add_co_u32 v5, vcc_lo, s4, v3
	s_wait_alu 0xfffd
	s_delay_alu instid0(VALU_DEP_3)
	v_add_co_ci_u32_e64 v6, null, s5, v4, vcc_lo
	v_add_co_u32 v3, vcc_lo, s6, v3
	s_wait_alu 0xfffd
	v_add_co_ci_u32_e64 v4, null, s7, v4, vcc_lo
	global_load_b32 v5, v[5:6], off
	global_load_b32 v3, v[3:4], off
	s_wait_loadcnt 0x0
	v_sub_f32_e32 v3, v5, v3
	s_delay_alu instid0(VALU_DEP_1) | instskip(SKIP_2) | instid1(VALU_DEP_2)
	v_sub_f32_e32 v7, v7, v3
	v_lshlrev_b64_e32 v[3:4], 2, v[0:1]
	v_add_nc_u32_e32 v0, s11, v0
	v_add_co_u32 v5, vcc_lo, s4, v3
	s_wait_alu 0xfffd
	s_delay_alu instid0(VALU_DEP_3)
	v_add_co_ci_u32_e64 v6, null, s5, v4, vcc_lo
	v_add_co_u32 v3, vcc_lo, s6, v3
	s_wait_alu 0xfffd
	v_add_co_ci_u32_e64 v4, null, s7, v4, vcc_lo
	global_load_b32 v5, v[5:6], off
	global_load_b32 v3, v[3:4], off
	s_wait_loadcnt 0x0
	v_sub_f32_e32 v3, v5, v3
	s_delay_alu instid0(VALU_DEP_1) | instskip(SKIP_2) | instid1(VALU_DEP_2)
	v_sub_f32_e32 v7, v7, v3
	;; [unrolled: 15-line block ×7, first 2 shown]
	v_lshlrev_b64_e32 v[3:4], 2, v[0:1]
	v_add_nc_u32_e32 v0, s21, v0
	v_add_co_u32 v10, vcc_lo, s4, v3
	s_wait_alu 0xfffd
	s_delay_alu instid0(VALU_DEP_3)
	v_add_co_ci_u32_e64 v11, null, s5, v4, vcc_lo
	v_add_co_u32 v3, vcc_lo, s6, v3
	s_wait_alu 0xfffd
	v_add_co_ci_u32_e64 v4, null, s7, v4, vcc_lo
	global_load_b32 v10, v[10:11], off
	global_load_b32 v3, v[3:4], off
	s_wait_loadcnt 0x0
	v_sub_f32_e32 v3, v10, v3
	s_delay_alu instid0(VALU_DEP_1) | instskip(SKIP_2) | instid1(VALU_DEP_2)
	v_add_f32_e32 v5, v5, v3
	v_lshlrev_b64_e32 v[3:4], 2, v[0:1]
	v_add_nc_u32_e32 v0, s0, v0
	v_add_co_u32 v10, vcc_lo, s4, v3
	s_wait_alu 0xfffd
	s_delay_alu instid0(VALU_DEP_3)
	v_add_co_ci_u32_e64 v11, null, s5, v4, vcc_lo
	v_add_co_u32 v3, vcc_lo, s6, v3
	s_wait_alu 0xfffd
	v_add_co_ci_u32_e64 v4, null, s7, v4, vcc_lo
	global_load_b32 v10, v[10:11], off
	global_load_b32 v3, v[3:4], off
	s_wait_loadcnt 0x0
	v_sub_f32_e32 v3, v10, v3
	s_delay_alu instid0(VALU_DEP_1) | instskip(SKIP_2) | instid1(VALU_DEP_2)
	v_add_f32_e32 v5, v5, v3
	v_lshlrev_b64_e32 v[3:4], 2, v[0:1]
	v_add_nc_u32_e32 v0, s20, v0
	v_add_co_u32 v10, vcc_lo, s4, v3
	s_wait_alu 0xfffd
	s_delay_alu instid0(VALU_DEP_3)
	v_add_co_ci_u32_e64 v11, null, s5, v4, vcc_lo
	v_add_co_u32 v3, vcc_lo, s6, v3
	s_wait_alu 0xfffd
	v_add_co_ci_u32_e64 v4, null, s7, v4, vcc_lo
	global_load_b32 v10, v[10:11], off
	global_load_b32 v3, v[3:4], off
	s_wait_loadcnt 0x0
	v_sub_f32_e32 v3, v10, v3
	s_delay_alu instid0(VALU_DEP_1) | instskip(SKIP_2) | instid1(VALU_DEP_2)
	v_sub_f32_e32 v5, v5, v3
	v_lshlrev_b64_e32 v[3:4], 2, v[0:1]
	v_add_nc_u32_e32 v0, s19, v0
	v_add_co_u32 v10, vcc_lo, s4, v3
	s_wait_alu 0xfffd
	s_delay_alu instid0(VALU_DEP_3)
	v_add_co_ci_u32_e64 v11, null, s5, v4, vcc_lo
	v_add_co_u32 v3, vcc_lo, s6, v3
	s_wait_alu 0xfffd
	v_add_co_ci_u32_e64 v4, null, s7, v4, vcc_lo
	global_load_b32 v10, v[10:11], off
	global_load_b32 v3, v[3:4], off
	s_wait_loadcnt 0x0
	v_sub_f32_e32 v3, v10, v3
	s_delay_alu instid0(VALU_DEP_1) | instskip(SKIP_2) | instid1(VALU_DEP_2)
	v_add_f32_e32 v5, v5, v3
	v_lshlrev_b64_e32 v[3:4], 2, v[0:1]
	v_add_nc_u32_e32 v0, s11, v0
	v_add_co_u32 v10, vcc_lo, s4, v3
	s_wait_alu 0xfffd
	s_delay_alu instid0(VALU_DEP_3)
	v_add_co_ci_u32_e64 v11, null, s5, v4, vcc_lo
	v_add_co_u32 v3, vcc_lo, s6, v3
	s_wait_alu 0xfffd
	v_add_co_ci_u32_e64 v4, null, s7, v4, vcc_lo
	global_load_b32 v10, v[10:11], off
	global_load_b32 v3, v[3:4], off
	s_wait_loadcnt 0x0
	v_sub_f32_e32 v3, v10, v3
	s_delay_alu instid0(VALU_DEP_1) | instskip(SKIP_2) | instid1(VALU_DEP_2)
	v_add_f32_e32 v5, v5, v3
	;; [unrolled: 15-line block ×3, first 2 shown]
	v_lshlrev_b64_e32 v[3:4], 2, v[0:1]
	v_add_nc_u32_e32 v0, s17, v0
	v_add_co_u32 v10, vcc_lo, s4, v3
	s_wait_alu 0xfffd
	s_delay_alu instid0(VALU_DEP_3)
	v_add_co_ci_u32_e64 v11, null, s5, v4, vcc_lo
	v_add_co_u32 v3, vcc_lo, s6, v3
	s_wait_alu 0xfffd
	v_add_co_ci_u32_e64 v4, null, s7, v4, vcc_lo
	global_load_b32 v10, v[10:11], off
	global_load_b32 v3, v[3:4], off
	s_wait_loadcnt 0x0
	v_sub_f32_e32 v3, v10, v3
	s_delay_alu instid0(VALU_DEP_1) | instskip(SKIP_1) | instid1(VALU_DEP_1)
	v_add_f32_e32 v5, v5, v3
	v_lshlrev_b64_e32 v[3:4], 2, v[0:1]
	v_add_co_u32 v10, vcc_lo, s4, v3
	s_wait_alu 0xfffd
	s_delay_alu instid0(VALU_DEP_2)
	v_add_co_ci_u32_e64 v11, null, s5, v4, vcc_lo
	v_add_co_u32 v3, vcc_lo, s6, v3
	s_wait_alu 0xfffd
	v_add_co_ci_u32_e64 v4, null, s7, v4, vcc_lo
	global_load_b32 v10, v[10:11], off
	global_load_b32 v3, v[3:4], off
	s_wait_loadcnt 0x0
	v_sub_f32_e32 v3, v10, v3
	s_delay_alu instid0(VALU_DEP_1) | instskip(SKIP_2) | instid1(VALU_DEP_1)
	v_add_f32_e32 v12, v5, v3
	v_mad_co_u64_u32 v[3:4], null, s11, 14, v[0:1]
	v_mov_b32_e32 v4, v1
	v_lshlrev_b64_e32 v[4:5], 2, v[3:4]
	s_delay_alu instid0(VALU_DEP_1) | instskip(SKIP_1) | instid1(VALU_DEP_2)
	v_add_co_u32 v10, vcc_lo, s4, v4
	s_wait_alu 0xfffd
	v_add_co_ci_u32_e64 v11, null, s5, v5, vcc_lo
	v_add_co_u32 v4, vcc_lo, s6, v4
	s_wait_alu 0xfffd
	v_add_co_ci_u32_e64 v5, null, s7, v5, vcc_lo
	global_load_b32 v0, v[10:11], off
	global_load_b32 v4, v[4:5], off
	s_wait_loadcnt 0x0
	v_sub_f32_e32 v0, v0, v4
	s_delay_alu instid0(VALU_DEP_1) | instskip(NEXT) | instid1(VALU_DEP_1)
	v_dual_add_f32 v5, v12, v0 :: v_dual_add_nc_u32 v0, s20, v3
	v_lshlrev_b64_e32 v[3:4], 2, v[0:1]
	v_add_nc_u32_e32 v0, s18, v0
	s_delay_alu instid0(VALU_DEP_2) | instskip(SKIP_1) | instid1(VALU_DEP_3)
	v_add_co_u32 v10, vcc_lo, s4, v3
	s_wait_alu 0xfffd
	v_add_co_ci_u32_e64 v11, null, s5, v4, vcc_lo
	v_add_co_u32 v3, vcc_lo, s6, v3
	s_wait_alu 0xfffd
	v_add_co_ci_u32_e64 v4, null, s7, v4, vcc_lo
	global_load_b32 v10, v[10:11], off
	global_load_b32 v3, v[3:4], off
	s_wait_loadcnt 0x0
	v_sub_f32_e32 v3, v10, v3
	s_delay_alu instid0(VALU_DEP_1) | instskip(SKIP_2) | instid1(VALU_DEP_2)
	v_add_f32_e32 v12, v5, v3
	v_lshlrev_b64_e32 v[4:5], 2, v[0:1]
	v_add_nc_u32_e32 v0, s16, v0
	v_add_co_u32 v10, vcc_lo, s4, v4
	s_wait_alu 0xfffd
	s_delay_alu instid0(VALU_DEP_3)
	v_add_co_ci_u32_e64 v11, null, s5, v5, vcc_lo
	v_add_co_u32 v4, vcc_lo, s6, v4
	s_wait_alu 0xfffd
	v_add_co_ci_u32_e64 v5, null, s7, v5, vcc_lo
	global_load_b32 v10, v[10:11], off
	global_load_b32 v4, v[4:5], off
	s_wait_loadcnt 0x0
	v_sub_f32_e32 v4, v10, v4
	s_delay_alu instid0(VALU_DEP_1) | instskip(SKIP_1) | instid1(VALU_DEP_1)
	v_add_f32_e32 v12, v12, v4
	v_lshlrev_b64_e32 v[4:5], 2, v[0:1]
	v_add_co_u32 v10, vcc_lo, s4, v4
	s_wait_alu 0xfffd
	s_delay_alu instid0(VALU_DEP_2)
	v_add_co_ci_u32_e64 v11, null, s5, v5, vcc_lo
	v_add_co_u32 v4, vcc_lo, s6, v4
	s_wait_alu 0xfffd
	v_add_co_ci_u32_e64 v5, null, s7, v5, vcc_lo
	global_load_b32 v10, v[10:11], off
	global_load_b32 v4, v[4:5], off
	s_wait_loadcnt 0x0
	v_sub_f32_e32 v4, v10, v4
	s_delay_alu instid0(VALU_DEP_1) | instskip(SKIP_2) | instid1(VALU_DEP_1)
	v_add_f32_e32 v14, v12, v4
	v_mad_co_u64_u32 v[4:5], null, s11, 11, v[0:1]
	v_mov_b32_e32 v5, v1
	v_lshlrev_b64_e32 v[10:11], 2, v[4:5]
	s_delay_alu instid0(VALU_DEP_1) | instskip(SKIP_1) | instid1(VALU_DEP_2)
	v_add_co_u32 v12, vcc_lo, s4, v10
	s_wait_alu 0xfffd
	v_add_co_ci_u32_e64 v13, null, s5, v11, vcc_lo
	v_add_co_u32 v10, vcc_lo, s6, v10
	s_wait_alu 0xfffd
	v_add_co_ci_u32_e64 v11, null, s7, v11, vcc_lo
	global_load_b32 v0, v[12:13], off
	global_load_b32 v5, v[10:11], off
	s_wait_loadcnt 0x0
	v_sub_f32_e32 v0, v0, v5
	v_mad_co_u64_u32 v[4:5], null, s11, 13, v[4:5]
	s_delay_alu instid0(VALU_DEP_2) | instskip(NEXT) | instid1(VALU_DEP_1)
	v_dual_mov_b32 v5, v1 :: v_dual_add_f32 v0, v14, v0
	v_lshlrev_b64_e32 v[10:11], 2, v[4:5]
	s_delay_alu instid0(VALU_DEP_1) | instskip(SKIP_1) | instid1(VALU_DEP_2)
	v_add_co_u32 v12, vcc_lo, s4, v10
	s_wait_alu 0xfffd
	v_add_co_ci_u32_e64 v13, null, s5, v11, vcc_lo
	v_add_co_u32 v10, vcc_lo, s6, v10
	s_wait_alu 0xfffd
	v_add_co_ci_u32_e64 v11, null, s7, v11, vcc_lo
	global_load_b32 v5, v[12:13], off
	global_load_b32 v10, v[10:11], off
	s_wait_loadcnt 0x0
	v_sub_f32_e32 v5, v5, v10
	s_delay_alu instid0(VALU_DEP_1) | instskip(SKIP_1) | instid1(VALU_DEP_1)
	v_add_f32_e32 v12, v0, v5
	v_add_nc_u32_e32 v0, s19, v4
	v_lshlrev_b64_e32 v[4:5], 2, v[0:1]
	s_delay_alu instid0(VALU_DEP_1) | instskip(SKIP_1) | instid1(VALU_DEP_2)
	v_add_co_u32 v10, vcc_lo, s4, v4
	s_wait_alu 0xfffd
	v_add_co_ci_u32_e64 v11, null, s5, v5, vcc_lo
	v_add_co_u32 v4, vcc_lo, s6, v4
	s_wait_alu 0xfffd
	v_add_co_ci_u32_e64 v5, null, s7, v5, vcc_lo
	global_load_b32 v10, v[10:11], off
	global_load_b32 v4, v[4:5], off
	s_clause 0x1
	s_load_b128 s[0:3], s[12:13], 0x30
	s_load_b96 s[12:14], s[12:13], 0x40
	s_wait_loadcnt 0x0
	v_sub_f32_e32 v4, v10, v4
	s_delay_alu instid0(VALU_DEP_1) | instskip(NEXT) | instid1(VALU_DEP_1)
	v_add_f32_e32 v4, v12, v4
	v_mul_f32_e32 v4, s10, v4
	s_wait_kmcnt 0x0
	s_delay_alu instid0(VALU_DEP_1) | instskip(SKIP_3) | instid1(VALU_DEP_1)
	v_mul_f32_e32 v12, s0, v4
	v_mad_co_u64_u32 v[4:5], null, 0xffffff41, s11, v[0:1]
	v_mov_b32_e32 v5, v1
	s_mul_i32 s0, s11, 10
	v_lshlrev_b64_e32 v[10:11], 2, v[4:5]
	v_mad_co_u64_u32 v[4:5], null, s11, 44, v[4:5]
	v_mov_b32_e32 v5, v1
	s_delay_alu instid0(VALU_DEP_3) | instskip(SKIP_1) | instid1(VALU_DEP_4)
	v_add_co_u32 v10, vcc_lo, s8, v10
	s_wait_alu 0xfffd
	v_add_co_ci_u32_e64 v11, null, s9, v11, vcc_lo
	global_store_b32 v[10:11], v12, off
	v_lshlrev_b64_e32 v[10:11], 2, v[4:5]
	s_delay_alu instid0(VALU_DEP_1) | instskip(SKIP_1) | instid1(VALU_DEP_2)
	v_add_co_u32 v12, vcc_lo, s4, v10
	s_wait_alu 0xfffd
	v_add_co_ci_u32_e64 v13, null, s5, v11, vcc_lo
	v_add_co_u32 v10, vcc_lo, s6, v10
	s_wait_alu 0xfffd
	v_add_co_ci_u32_e64 v11, null, s7, v11, vcc_lo
	global_load_b32 v0, v[12:13], off
	global_load_b32 v5, v[10:11], off
	s_wait_loadcnt 0x0
	v_sub_f32_e32 v12, v0, v5
	v_add_nc_u32_e32 v0, s11, v4
	s_delay_alu instid0(VALU_DEP_1) | instskip(NEXT) | instid1(VALU_DEP_1)
	v_lshlrev_b64_e32 v[4:5], 2, v[0:1]
	v_add_co_u32 v10, vcc_lo, s4, v4
	s_wait_alu 0xfffd
	s_delay_alu instid0(VALU_DEP_2)
	v_add_co_ci_u32_e64 v11, null, s5, v5, vcc_lo
	v_add_co_u32 v4, vcc_lo, s6, v4
	s_wait_alu 0xfffd
	v_add_co_ci_u32_e64 v5, null, s7, v5, vcc_lo
	global_load_b32 v10, v[10:11], off
	global_load_b32 v4, v[4:5], off
	s_wait_loadcnt 0x0
	v_sub_f32_e32 v4, v10, v4
	s_delay_alu instid0(VALU_DEP_1) | instskip(SKIP_2) | instid1(VALU_DEP_1)
	v_add_f32_e32 v12, v12, v4
	v_mad_co_u64_u32 v[4:5], null, s11, 53, v[0:1]
	v_mov_b32_e32 v5, v1
	v_lshlrev_b64_e32 v[10:11], 2, v[4:5]
	s_delay_alu instid0(VALU_DEP_1) | instskip(SKIP_1) | instid1(VALU_DEP_2)
	v_add_co_u32 v14, vcc_lo, s4, v10
	s_wait_alu 0xfffd
	v_add_co_ci_u32_e64 v15, null, s5, v11, vcc_lo
	v_add_co_u32 v16, vcc_lo, s6, v10
	s_wait_alu 0xfffd
	v_add_co_ci_u32_e64 v17, null, s7, v11, vcc_lo
	global_load_b32 v0, v[14:15], off
	global_load_b32 v5, v[16:17], off
	s_wait_loadcnt 0x0
	v_sub_f32_e32 v0, v0, v5
	s_delay_alu instid0(VALU_DEP_1) | instskip(SKIP_1) | instid1(VALU_DEP_1)
	v_add_f32_e32 v10, v12, v0
	v_add_nc_u32_e32 v0, s15, v4
	v_lshlrev_b64_e32 v[4:5], 2, v[0:1]
	v_add_nc_u32_e32 v0, s15, v0
	s_delay_alu instid0(VALU_DEP_2) | instskip(SKIP_1) | instid1(VALU_DEP_3)
	v_add_co_u32 v18, vcc_lo, s4, v4
	s_wait_alu 0xfffd
	v_add_co_ci_u32_e64 v19, null, s5, v5, vcc_lo
	v_add_co_u32 v20, vcc_lo, s6, v4
	s_wait_alu 0xfffd
	v_add_co_ci_u32_e64 v21, null, s7, v5, vcc_lo
	global_load_b32 v11, v[18:19], off
	global_load_b32 v4, v[20:21], off
	s_wait_loadcnt 0x0
	v_sub_f32_e32 v4, v11, v4
	s_delay_alu instid0(VALU_DEP_1) | instskip(NEXT) | instid1(VALU_DEP_1)
	v_add_f32_e32 v4, v10, v4
	v_sub_f32_e32 v2, v4, v2
	v_lshlrev_b64_e32 v[4:5], 2, v[0:1]
	v_add_nc_u32_e32 v0, s11, v0
	s_delay_alu instid0(VALU_DEP_2) | instskip(SKIP_1) | instid1(VALU_DEP_3)
	v_add_co_u32 v10, vcc_lo, s4, v4
	s_wait_alu 0xfffd
	v_add_co_ci_u32_e64 v11, null, s5, v5, vcc_lo
	v_add_co_u32 v4, vcc_lo, s6, v4
	s_wait_alu 0xfffd
	v_add_co_ci_u32_e64 v5, null, s7, v5, vcc_lo
	global_load_b32 v10, v[10:11], off
	global_load_b32 v4, v[4:5], off
	s_wait_loadcnt 0x0
	v_sub_f32_e32 v4, v10, v4
	s_delay_alu instid0(VALU_DEP_1) | instskip(SKIP_2) | instid1(VALU_DEP_2)
	v_add_f32_e32 v2, v2, v4
	v_lshlrev_b64_e32 v[4:5], 2, v[0:1]
	v_add_nc_u32_e32 v0, s11, v0
	v_add_co_u32 v22, vcc_lo, s4, v4
	s_wait_alu 0xfffd
	s_delay_alu instid0(VALU_DEP_3)
	v_add_co_ci_u32_e64 v23, null, s5, v5, vcc_lo
	v_add_co_u32 v24, vcc_lo, s6, v4
	s_wait_alu 0xfffd
	v_add_co_ci_u32_e64 v25, null, s7, v5, vcc_lo
	global_load_b32 v10, v[22:23], off
	global_load_b32 v4, v[24:25], off
	s_wait_loadcnt 0x0
	v_sub_f32_e32 v4, v10, v4
	s_delay_alu instid0(VALU_DEP_1) | instskip(SKIP_2) | instid1(VALU_DEP_2)
	v_sub_f32_e32 v2, v2, v4
	v_lshlrev_b64_e32 v[4:5], 2, v[0:1]
	v_add_nc_u32_e32 v0, s11, v0
	v_add_co_u32 v10, vcc_lo, s4, v4
	s_wait_alu 0xfffd
	s_delay_alu instid0(VALU_DEP_3)
	v_add_co_ci_u32_e64 v11, null, s5, v5, vcc_lo
	v_add_co_u32 v4, vcc_lo, s6, v4
	s_wait_alu 0xfffd
	v_add_co_ci_u32_e64 v5, null, s7, v5, vcc_lo
	global_load_b32 v10, v[10:11], off
	global_load_b32 v4, v[4:5], off
	s_wait_loadcnt 0x0
	v_sub_f32_e32 v4, v10, v4
	s_delay_alu instid0(VALU_DEP_1) | instskip(SKIP_2) | instid1(VALU_DEP_2)
	v_sub_f32_e32 v2, v2, v4
	;; [unrolled: 15-line block ×6, first 2 shown]
	v_lshlrev_b64_e32 v[4:5], 2, v[0:1]
	v_add_nc_u32_e32 v0, s21, v0
	v_add_co_u32 v26, vcc_lo, s4, v4
	s_wait_alu 0xfffd
	s_delay_alu instid0(VALU_DEP_3)
	v_add_co_ci_u32_e64 v27, null, s5, v5, vcc_lo
	v_add_co_u32 v4, vcc_lo, s6, v4
	s_wait_alu 0xfffd
	v_add_co_ci_u32_e64 v5, null, s7, v5, vcc_lo
	global_load_b32 v26, v[26:27], off
	global_load_b32 v4, v[4:5], off
	s_wait_loadcnt 0x0
	v_sub_f32_e32 v4, v26, v4
	s_delay_alu instid0(VALU_DEP_1) | instskip(SKIP_2) | instid1(VALU_DEP_2)
	v_add_f32_e32 v2, v2, v4
	v_lshlrev_b64_e32 v[4:5], 2, v[0:1]
	v_add_nc_u32_e32 v0, s11, v0
	v_add_co_u32 v26, vcc_lo, s4, v4
	s_wait_alu 0xfffd
	s_delay_alu instid0(VALU_DEP_3)
	v_add_co_ci_u32_e64 v27, null, s5, v5, vcc_lo
	v_add_co_u32 v4, vcc_lo, s6, v4
	s_wait_alu 0xfffd
	v_add_co_ci_u32_e64 v5, null, s7, v5, vcc_lo
	global_load_b32 v26, v[26:27], off
	global_load_b32 v4, v[4:5], off
	s_wait_loadcnt 0x0
	v_sub_f32_e32 v4, v26, v4
	s_delay_alu instid0(VALU_DEP_1) | instskip(SKIP_2) | instid1(VALU_DEP_2)
	v_add_f32_e32 v2, v2, v4
	v_lshlrev_b64_e32 v[4:5], 2, v[0:1]
	v_add_nc_u32_e32 v0, s20, v0
	v_add_co_u32 v26, vcc_lo, s4, v4
	s_wait_alu 0xfffd
	s_delay_alu instid0(VALU_DEP_3)
	v_add_co_ci_u32_e64 v27, null, s5, v5, vcc_lo
	v_add_co_u32 v4, vcc_lo, s6, v4
	s_wait_alu 0xfffd
	v_add_co_ci_u32_e64 v5, null, s7, v5, vcc_lo
	global_load_b32 v26, v[26:27], off
	global_load_b32 v4, v[4:5], off
	s_wait_loadcnt 0x0
	v_sub_f32_e32 v4, v26, v4
	s_delay_alu instid0(VALU_DEP_1) | instskip(SKIP_1) | instid1(VALU_DEP_1)
	v_add_f32_e32 v2, v2, v4
	v_lshlrev_b64_e32 v[4:5], 2, v[0:1]
	v_add_co_u32 v26, vcc_lo, s4, v4
	s_wait_alu 0xfffd
	s_delay_alu instid0(VALU_DEP_2)
	v_add_co_ci_u32_e64 v27, null, s5, v5, vcc_lo
	v_add_co_u32 v4, vcc_lo, s6, v4
	s_wait_alu 0xfffd
	v_add_co_ci_u32_e64 v5, null, s7, v5, vcc_lo
	global_load_b32 v26, v[26:27], off
	global_load_b32 v4, v[4:5], off
	s_wait_loadcnt 0x0
	v_sub_f32_e32 v4, v26, v4
	s_delay_alu instid0(VALU_DEP_1) | instskip(SKIP_1) | instid1(VALU_DEP_2)
	v_add_f32_e32 v2, v2, v4
	v_mad_co_u64_u32 v[4:5], null, 0xffffff7e, s11, v[0:1]
	v_dual_mov_b32 v5, v1 :: v_dual_mul_f32 v2, s10, v2
	s_delay_alu instid0(VALU_DEP_1) | instskip(NEXT) | instid1(VALU_DEP_2)
	v_lshlrev_b64_e32 v[26:27], 2, v[4:5]
	v_mul_f32_e32 v2, s1, v2
	s_mul_i32 s1, s11, 0x4d
	s_wait_alu 0xfffe
	v_add_nc_u32_e32 v0, s1, v4
	s_delay_alu instid0(VALU_DEP_3) | instskip(SKIP_2) | instid1(VALU_DEP_3)
	v_add_co_u32 v26, vcc_lo, s8, v26
	s_wait_alu 0xfffd
	v_add_co_ci_u32_e64 v27, null, s9, v27, vcc_lo
	v_lshlrev_b64_e32 v[4:5], 2, v[0:1]
	v_add_nc_u32_e32 v0, s11, v0
	global_store_b32 v[26:27], v2, off
	v_add_co_u32 v26, vcc_lo, s4, v4
	s_wait_alu 0xfffd
	v_add_co_ci_u32_e64 v27, null, s5, v5, vcc_lo
	v_add_co_u32 v4, vcc_lo, s6, v4
	s_wait_alu 0xfffd
	v_add_co_ci_u32_e64 v5, null, s7, v5, vcc_lo
	global_load_b32 v2, v[26:27], off
	global_load_b32 v4, v[4:5], off
	s_wait_loadcnt 0x0
	v_sub_f32_e32 v2, v2, v4
	v_lshlrev_b64_e32 v[4:5], 2, v[0:1]
	v_add_nc_u32_e32 v0, s19, v0
	s_delay_alu instid0(VALU_DEP_2) | instskip(SKIP_1) | instid1(VALU_DEP_3)
	v_add_co_u32 v26, vcc_lo, s4, v4
	s_wait_alu 0xfffd
	v_add_co_ci_u32_e64 v27, null, s5, v5, vcc_lo
	v_add_co_u32 v4, vcc_lo, s6, v4
	s_wait_alu 0xfffd
	v_add_co_ci_u32_e64 v5, null, s7, v5, vcc_lo
	global_load_b32 v26, v[26:27], off
	global_load_b32 v4, v[4:5], off
	s_wait_loadcnt 0x0
	v_sub_f32_e32 v4, v26, v4
	s_delay_alu instid0(VALU_DEP_1) | instskip(SKIP_2) | instid1(VALU_DEP_2)
	v_add_f32_e32 v2, v2, v4
	v_lshlrev_b64_e32 v[4:5], 2, v[0:1]
	v_add_nc_u32_e32 v0, s0, v0
	v_add_co_u32 v26, vcc_lo, s4, v4
	s_wait_alu 0xfffd
	s_delay_alu instid0(VALU_DEP_3)
	v_add_co_ci_u32_e64 v27, null, s5, v5, vcc_lo
	v_add_co_u32 v28, vcc_lo, s6, v4
	s_wait_alu 0xfffd
	v_add_co_ci_u32_e64 v29, null, s7, v5, vcc_lo
	global_load_b32 v30, v[26:27], off
	global_load_b32 v4, v[28:29], off
	s_wait_loadcnt 0x0
	v_sub_f32_e32 v4, v30, v4
	s_delay_alu instid0(VALU_DEP_1) | instskip(SKIP_1) | instid1(VALU_DEP_1)
	v_add_f32_e32 v2, v2, v4
	v_lshlrev_b64_e32 v[4:5], 2, v[0:1]
	v_add_co_u32 v30, vcc_lo, s4, v4
	s_wait_alu 0xfffd
	s_delay_alu instid0(VALU_DEP_2)
	v_add_co_ci_u32_e64 v31, null, s5, v5, vcc_lo
	v_add_co_u32 v4, vcc_lo, s6, v4
	s_wait_alu 0xfffd
	v_add_co_ci_u32_e64 v5, null, s7, v5, vcc_lo
	global_load_b32 v30, v[30:31], off
	global_load_b32 v4, v[4:5], off
	s_wait_loadcnt 0x0
	v_sub_f32_e32 v4, v30, v4
	s_delay_alu instid0(VALU_DEP_1) | instskip(SKIP_2) | instid1(VALU_DEP_1)
	v_add_f32_e32 v2, v2, v4
	v_mad_co_u64_u32 v[4:5], null, s11, 27, v[0:1]
	v_mov_b32_e32 v5, v1
	v_lshlrev_b64_e32 v[30:31], 2, v[4:5]
	s_delay_alu instid0(VALU_DEP_1) | instskip(SKIP_1) | instid1(VALU_DEP_2)
	v_add_co_u32 v32, vcc_lo, s4, v30
	s_wait_alu 0xfffd
	v_add_co_ci_u32_e64 v33, null, s5, v31, vcc_lo
	v_add_co_u32 v30, vcc_lo, s6, v30
	s_wait_alu 0xfffd
	v_add_co_ci_u32_e64 v31, null, s7, v31, vcc_lo
	global_load_b32 v0, v[32:33], off
	global_load_b32 v5, v[30:31], off
	s_wait_loadcnt 0x0
	v_sub_f32_e32 v0, v0, v5
	s_delay_alu instid0(VALU_DEP_1) | instskip(SKIP_2) | instid1(VALU_DEP_1)
	v_add_f32_e32 v2, v2, v0
	v_add_nc_u32_e32 v0, s0, v4
	s_mul_i32 s0, s11, 15
	v_lshlrev_b64_e32 v[4:5], 2, v[0:1]
	v_add_nc_u32_e32 v0, s11, v0
	s_delay_alu instid0(VALU_DEP_2) | instskip(SKIP_1) | instid1(VALU_DEP_3)
	v_add_co_u32 v30, vcc_lo, s4, v4
	s_wait_alu 0xfffd
	v_add_co_ci_u32_e64 v31, null, s5, v5, vcc_lo
	v_add_co_u32 v4, vcc_lo, s6, v4
	s_wait_alu 0xfffd
	v_add_co_ci_u32_e64 v5, null, s7, v5, vcc_lo
	global_load_b32 v30, v[30:31], off
	global_load_b32 v4, v[4:5], off
	s_wait_loadcnt 0x0
	v_sub_f32_e32 v4, v30, v4
	s_delay_alu instid0(VALU_DEP_1) | instskip(SKIP_2) | instid1(VALU_DEP_2)
	v_add_f32_e32 v2, v2, v4
	v_lshlrev_b64_e32 v[4:5], 2, v[0:1]
	v_add_nc_u32_e32 v0, s18, v0
	v_add_co_u32 v30, vcc_lo, s4, v4
	s_wait_alu 0xfffd
	s_delay_alu instid0(VALU_DEP_3)
	v_add_co_ci_u32_e64 v31, null, s5, v5, vcc_lo
	v_add_co_u32 v4, vcc_lo, s6, v4
	s_wait_alu 0xfffd
	v_add_co_ci_u32_e64 v5, null, s7, v5, vcc_lo
	global_load_b32 v30, v[30:31], off
	global_load_b32 v4, v[4:5], off
	s_wait_loadcnt 0x0
	v_sub_f32_e32 v4, v30, v4
	s_delay_alu instid0(VALU_DEP_1) | instskip(SKIP_2) | instid1(VALU_DEP_2)
	v_add_f32_e32 v2, v2, v4
	v_lshlrev_b64_e32 v[4:5], 2, v[0:1]
	v_add_nc_u32_e32 v0, s11, v0
	v_add_co_u32 v30, vcc_lo, s4, v4
	s_wait_alu 0xfffd
	s_delay_alu instid0(VALU_DEP_3)
	v_add_co_ci_u32_e64 v31, null, s5, v5, vcc_lo
	v_add_co_u32 v4, vcc_lo, s6, v4
	s_wait_alu 0xfffd
	v_add_co_ci_u32_e64 v5, null, s7, v5, vcc_lo
	global_load_b32 v30, v[30:31], off
	global_load_b32 v4, v[4:5], off
	s_wait_loadcnt 0x0
	v_sub_f32_e32 v4, v30, v4
	s_delay_alu instid0(VALU_DEP_1) | instskip(SKIP_2) | instid1(VALU_DEP_2)
	v_sub_f32_e32 v2, v2, v4
	v_lshlrev_b64_e32 v[4:5], 2, v[0:1]
	v_add_nc_u32_e32 v0, s11, v0
	v_add_co_u32 v30, vcc_lo, s4, v4
	s_wait_alu 0xfffd
	s_delay_alu instid0(VALU_DEP_3)
	v_add_co_ci_u32_e64 v31, null, s5, v5, vcc_lo
	v_add_co_u32 v4, vcc_lo, s6, v4
	s_wait_alu 0xfffd
	v_add_co_ci_u32_e64 v5, null, s7, v5, vcc_lo
	global_load_b32 v30, v[30:31], off
	global_load_b32 v4, v[4:5], off
	s_wait_loadcnt 0x0
	v_sub_f32_e32 v4, v30, v4
	s_delay_alu instid0(VALU_DEP_1) | instskip(SKIP_2) | instid1(VALU_DEP_2)
	v_sub_f32_e32 v2, v2, v4
	;; [unrolled: 15-line block ×4, first 2 shown]
	v_lshlrev_b64_e32 v[4:5], 2, v[0:1]
	v_add_nc_u32_e32 v0, s15, v0
	v_add_co_u32 v30, vcc_lo, s4, v4
	s_wait_alu 0xfffd
	s_delay_alu instid0(VALU_DEP_3)
	v_add_co_ci_u32_e64 v31, null, s5, v5, vcc_lo
	v_add_co_u32 v4, vcc_lo, s6, v4
	s_wait_alu 0xfffd
	v_add_co_ci_u32_e64 v5, null, s7, v5, vcc_lo
	global_load_b32 v30, v[30:31], off
	global_load_b32 v4, v[4:5], off
	s_wait_loadcnt 0x0
	v_sub_f32_e32 v4, v30, v4
	s_delay_alu instid0(VALU_DEP_1) | instskip(NEXT) | instid1(VALU_DEP_1)
	v_sub_f32_e32 v2, v2, v4
	v_sub_f32_e32 v30, v2, v3
	v_lshlrev_b64_e32 v[2:3], 2, v[0:1]
	v_add_nc_u32_e32 v0, s11, v0
	s_delay_alu instid0(VALU_DEP_2) | instskip(SKIP_1) | instid1(VALU_DEP_3)
	v_add_co_u32 v4, vcc_lo, s4, v2
	s_wait_alu 0xfffd
	v_add_co_ci_u32_e64 v5, null, s5, v3, vcc_lo
	v_add_co_u32 v2, vcc_lo, s6, v2
	s_wait_alu 0xfffd
	v_add_co_ci_u32_e64 v3, null, s7, v3, vcc_lo
	global_load_b32 v4, v[4:5], off
	global_load_b32 v2, v[2:3], off
	s_wait_loadcnt 0x0
	v_sub_f32_e32 v2, v4, v2
	s_delay_alu instid0(VALU_DEP_1) | instskip(SKIP_2) | instid1(VALU_DEP_2)
	v_sub_f32_e32 v30, v30, v2
	v_lshlrev_b64_e32 v[2:3], 2, v[0:1]
	v_add_nc_u32_e32 v0, s11, v0
	v_add_co_u32 v4, vcc_lo, s4, v2
	s_wait_alu 0xfffd
	s_delay_alu instid0(VALU_DEP_3)
	v_add_co_ci_u32_e64 v5, null, s5, v3, vcc_lo
	v_add_co_u32 v2, vcc_lo, s6, v2
	s_wait_alu 0xfffd
	v_add_co_ci_u32_e64 v3, null, s7, v3, vcc_lo
	global_load_b32 v4, v[4:5], off
	global_load_b32 v2, v[2:3], off
	s_wait_loadcnt 0x0
	v_sub_f32_e32 v2, v4, v2
	v_lshlrev_b64_e32 v[4:5], 2, v[0:1]
	v_add_nc_u32_e32 v0, s11, v0
	s_delay_alu instid0(VALU_DEP_3) | instskip(NEXT) | instid1(VALU_DEP_3)
	v_sub_f32_e32 v30, v30, v2
	v_add_co_u32 v2, vcc_lo, s4, v4
	s_wait_alu 0xfffd
	s_delay_alu instid0(VALU_DEP_4)
	v_add_co_ci_u32_e64 v3, null, s5, v5, vcc_lo
	v_add_co_u32 v4, vcc_lo, s6, v4
	s_wait_alu 0xfffd
	v_add_co_ci_u32_e64 v5, null, s7, v5, vcc_lo
	global_load_b32 v31, v[2:3], off
	global_load_b32 v32, v[4:5], off
	s_wait_loadcnt 0x0
	v_sub_f32_e32 v31, v31, v32
	s_delay_alu instid0(VALU_DEP_1) | instskip(SKIP_2) | instid1(VALU_DEP_2)
	v_sub_f32_e32 v34, v30, v31
	v_lshlrev_b64_e32 v[30:31], 2, v[0:1]
	v_add_nc_u32_e32 v0, s11, v0
	v_add_co_u32 v32, vcc_lo, s4, v30
	s_wait_alu 0xfffd
	s_delay_alu instid0(VALU_DEP_3)
	v_add_co_ci_u32_e64 v33, null, s5, v31, vcc_lo
	v_add_co_u32 v30, vcc_lo, s6, v30
	s_wait_alu 0xfffd
	v_add_co_ci_u32_e64 v31, null, s7, v31, vcc_lo
	global_load_b32 v32, v[32:33], off
	global_load_b32 v30, v[30:31], off
	s_wait_loadcnt 0x0
	v_sub_f32_e32 v30, v32, v30
	s_delay_alu instid0(VALU_DEP_1) | instskip(SKIP_2) | instid1(VALU_DEP_2)
	v_sub_f32_e32 v34, v34, v30
	v_lshlrev_b64_e32 v[30:31], 2, v[0:1]
	v_add_nc_u32_e32 v0, s11, v0
	v_add_co_u32 v32, vcc_lo, s4, v30
	s_wait_alu 0xfffd
	s_delay_alu instid0(VALU_DEP_3)
	;; [unrolled: 15-line block ×7, first 2 shown]
	v_add_co_ci_u32_e64 v33, null, s5, v31, vcc_lo
	v_add_co_u32 v30, vcc_lo, s6, v30
	s_wait_alu 0xfffd
	v_add_co_ci_u32_e64 v31, null, s7, v31, vcc_lo
	global_load_b32 v32, v[32:33], off
	global_load_b32 v30, v[30:31], off
	s_wait_loadcnt 0x0
	v_sub_f32_e32 v30, v32, v30
	s_delay_alu instid0(VALU_DEP_1) | instskip(SKIP_2) | instid1(VALU_DEP_2)
	v_add_f32_e32 v34, v34, v30
	v_lshlrev_b64_e32 v[30:31], 2, v[0:1]
	v_add_nc_u32_e32 v0, s15, v0
	v_add_co_u32 v32, vcc_lo, s4, v30
	s_wait_alu 0xfffd
	s_delay_alu instid0(VALU_DEP_3)
	v_add_co_ci_u32_e64 v33, null, s5, v31, vcc_lo
	v_add_co_u32 v30, vcc_lo, s6, v30
	s_wait_alu 0xfffd
	v_add_co_ci_u32_e64 v31, null, s7, v31, vcc_lo
	global_load_b32 v32, v[32:33], off
	global_load_b32 v30, v[30:31], off
	s_wait_loadcnt 0x0
	v_sub_f32_e32 v30, v32, v30
	s_delay_alu instid0(VALU_DEP_1) | instskip(SKIP_3) | instid1(VALU_DEP_2)
	v_add_f32_e32 v34, v34, v30
	v_lshlrev_b64_e32 v[30:31], 2, v[0:1]
	s_wait_alu 0xfffe
	v_add_nc_u32_e32 v0, s0, v0
	v_add_co_u32 v32, vcc_lo, s4, v30
	s_wait_alu 0xfffd
	s_delay_alu instid0(VALU_DEP_3)
	v_add_co_ci_u32_e64 v33, null, s5, v31, vcc_lo
	v_add_co_u32 v30, vcc_lo, s6, v30
	s_wait_alu 0xfffd
	v_add_co_ci_u32_e64 v31, null, s7, v31, vcc_lo
	global_load_b32 v32, v[32:33], off
	global_load_b32 v30, v[30:31], off
	s_wait_loadcnt 0x0
	v_sub_f32_e32 v30, v32, v30
	s_delay_alu instid0(VALU_DEP_1) | instskip(SKIP_1) | instid1(VALU_DEP_1)
	v_add_f32_e32 v34, v34, v30
	v_lshlrev_b64_e32 v[30:31], 2, v[0:1]
	v_add_co_u32 v32, vcc_lo, s4, v30
	s_wait_alu 0xfffd
	s_delay_alu instid0(VALU_DEP_2)
	v_add_co_ci_u32_e64 v33, null, s5, v31, vcc_lo
	v_add_co_u32 v30, vcc_lo, s6, v30
	s_wait_alu 0xfffd
	v_add_co_ci_u32_e64 v31, null, s7, v31, vcc_lo
	global_load_b32 v32, v[32:33], off
	global_load_b32 v30, v[30:31], off
	s_wait_loadcnt 0x0
	v_sub_f32_e32 v30, v32, v30
	s_delay_alu instid0(VALU_DEP_1) | instskip(NEXT) | instid1(VALU_DEP_1)
	v_add_f32_e32 v30, v34, v30
	v_mul_f32_e32 v30, s10, v30
	s_delay_alu instid0(VALU_DEP_1) | instskip(SKIP_2) | instid1(VALU_DEP_1)
	v_mul_f32_e32 v34, s2, v30
	v_mad_co_u64_u32 v[30:31], null, 0xffffff50, s11, v[0:1]
	v_mov_b32_e32 v31, v1
	v_lshlrev_b64_e32 v[32:33], 2, v[30:31]
	v_mad_co_u64_u32 v[30:31], null, 0x4e, s11, v[30:31]
	v_mov_b32_e32 v31, v1
	s_delay_alu instid0(VALU_DEP_3) | instskip(SKIP_1) | instid1(VALU_DEP_4)
	v_add_co_u32 v32, vcc_lo, s8, v32
	s_wait_alu 0xfffd
	v_add_co_ci_u32_e64 v33, null, s9, v33, vcc_lo
	global_store_b32 v[32:33], v34, off
	v_lshlrev_b64_e32 v[31:32], 2, v[30:31]
	s_delay_alu instid0(VALU_DEP_1) | instskip(SKIP_1) | instid1(VALU_DEP_2)
	v_add_co_u32 v33, vcc_lo, s4, v31
	s_wait_alu 0xfffd
	v_add_co_ci_u32_e64 v34, null, s5, v32, vcc_lo
	v_add_co_u32 v31, vcc_lo, s6, v31
	s_wait_alu 0xfffd
	v_add_co_ci_u32_e64 v32, null, s7, v32, vcc_lo
	global_load_b32 v0, v[33:34], off
	global_load_b32 v31, v[31:32], off
	s_wait_loadcnt 0x0
	v_sub_f32_e32 v34, v0, v31
	v_add_nc_u32_e32 v0, s1, v30
	s_delay_alu instid0(VALU_DEP_1) | instskip(SKIP_1) | instid1(VALU_DEP_2)
	v_lshlrev_b64_e32 v[30:31], 2, v[0:1]
	v_add_nc_u32_e32 v0, s16, v0
	v_add_co_u32 v32, vcc_lo, s4, v30
	s_wait_alu 0xfffd
	s_delay_alu instid0(VALU_DEP_3)
	v_add_co_ci_u32_e64 v33, null, s5, v31, vcc_lo
	v_add_co_u32 v30, vcc_lo, s6, v30
	s_wait_alu 0xfffd
	v_add_co_ci_u32_e64 v31, null, s7, v31, vcc_lo
	global_load_b32 v32, v[32:33], off
	global_load_b32 v30, v[30:31], off
	s_wait_loadcnt 0x0
	v_sub_f32_e32 v30, v32, v30
	s_delay_alu instid0(VALU_DEP_1) | instskip(SKIP_2) | instid1(VALU_DEP_2)
	v_add_f32_e32 v34, v34, v30
	v_lshlrev_b64_e32 v[30:31], 2, v[0:1]
	v_add_nc_u32_e32 v0, s19, v0
	v_add_co_u32 v32, vcc_lo, s4, v30
	s_wait_alu 0xfffd
	s_delay_alu instid0(VALU_DEP_3)
	v_add_co_ci_u32_e64 v33, null, s5, v31, vcc_lo
	v_add_co_u32 v30, vcc_lo, s6, v30
	s_wait_alu 0xfffd
	v_add_co_ci_u32_e64 v31, null, s7, v31, vcc_lo
	global_load_b32 v32, v[32:33], off
	global_load_b32 v30, v[30:31], off
	s_wait_loadcnt 0x0
	v_sub_f32_e32 v30, v32, v30
	s_delay_alu instid0(VALU_DEP_1) | instskip(SKIP_2) | instid1(VALU_DEP_2)
	v_add_f32_e32 v34, v34, v30
	v_lshlrev_b64_e32 v[30:31], 2, v[0:1]
	v_add_nc_u32_e32 v0, s11, v0
	v_add_co_u32 v32, vcc_lo, s4, v30
	s_wait_alu 0xfffd
	s_delay_alu instid0(VALU_DEP_3)
	v_add_co_ci_u32_e64 v33, null, s5, v31, vcc_lo
	v_add_co_u32 v30, vcc_lo, s6, v30
	s_wait_alu 0xfffd
	v_add_co_ci_u32_e64 v31, null, s7, v31, vcc_lo
	global_load_b32 v32, v[32:33], off
	global_load_b32 v30, v[30:31], off
	s_wait_loadcnt 0x0
	v_sub_f32_e32 v30, v32, v30
	s_delay_alu instid0(VALU_DEP_1) | instskip(SKIP_2) | instid1(VALU_DEP_2)
	v_add_f32_e32 v34, v34, v30
	v_lshlrev_b64_e32 v[30:31], 2, v[0:1]
	v_add_nc_u32_e32 v0, s11, v0
	v_add_co_u32 v32, vcc_lo, s4, v30
	s_wait_alu 0xfffd
	s_delay_alu instid0(VALU_DEP_3)
	v_add_co_ci_u32_e64 v33, null, s5, v31, vcc_lo
	v_add_co_u32 v30, vcc_lo, s6, v30
	s_wait_alu 0xfffd
	v_add_co_ci_u32_e64 v31, null, s7, v31, vcc_lo
	global_load_b32 v32, v[32:33], off
	global_load_b32 v30, v[30:31], off
	s_wait_loadcnt 0x0
	v_sub_f32_e32 v30, v32, v30
	s_delay_alu instid0(VALU_DEP_1) | instskip(SKIP_2) | instid1(VALU_DEP_2)
	v_add_f32_e32 v34, v34, v30
	v_lshlrev_b64_e32 v[30:31], 2, v[0:1]
	v_add_nc_u32_e32 v0, s11, v0
	v_add_co_u32 v32, vcc_lo, s4, v30
	s_wait_alu 0xfffd
	s_delay_alu instid0(VALU_DEP_3)
	v_add_co_ci_u32_e64 v33, null, s5, v31, vcc_lo
	v_add_co_u32 v30, vcc_lo, s6, v30
	s_wait_alu 0xfffd
	v_add_co_ci_u32_e64 v31, null, s7, v31, vcc_lo
	global_load_b32 v32, v[32:33], off
	global_load_b32 v30, v[30:31], off
	s_wait_loadcnt 0x0
	v_sub_f32_e32 v30, v32, v30
	s_delay_alu instid0(VALU_DEP_1) | instskip(SKIP_2) | instid1(VALU_DEP_2)
	v_sub_f32_e32 v34, v34, v30
	v_lshlrev_b64_e32 v[30:31], 2, v[0:1]
	v_add_nc_u32_e32 v0, s11, v0
	v_add_co_u32 v32, vcc_lo, s4, v30
	s_wait_alu 0xfffd
	s_delay_alu instid0(VALU_DEP_3)
	v_add_co_ci_u32_e64 v33, null, s5, v31, vcc_lo
	v_add_co_u32 v30, vcc_lo, s6, v30
	s_wait_alu 0xfffd
	v_add_co_ci_u32_e64 v31, null, s7, v31, vcc_lo
	global_load_b32 v32, v[32:33], off
	global_load_b32 v30, v[30:31], off
	s_wait_loadcnt 0x0
	v_sub_f32_e32 v30, v32, v30
	s_delay_alu instid0(VALU_DEP_1) | instskip(SKIP_2) | instid1(VALU_DEP_2)
	v_sub_f32_e32 v34, v34, v30
	v_lshlrev_b64_e32 v[30:31], 2, v[0:1]
	v_add_nc_u32_e32 v0, s11, v0
	v_add_co_u32 v32, vcc_lo, s4, v30
	s_wait_alu 0xfffd
	s_delay_alu instid0(VALU_DEP_3)
	v_add_co_ci_u32_e64 v33, null, s5, v31, vcc_lo
	v_add_co_u32 v30, vcc_lo, s6, v30
	s_wait_alu 0xfffd
	v_add_co_ci_u32_e64 v31, null, s7, v31, vcc_lo
	global_load_b32 v32, v[32:33], off
	global_load_b32 v30, v[30:31], off
	s_wait_loadcnt 0x0
	v_sub_f32_e32 v30, v32, v30
	s_delay_alu instid0(VALU_DEP_1) | instskip(SKIP_2) | instid1(VALU_DEP_2)
	v_sub_f32_e32 v34, v34, v30
	v_lshlrev_b64_e32 v[30:31], 2, v[0:1]
	v_add_nc_u32_e32 v0, s11, v0
	v_add_co_u32 v32, vcc_lo, s4, v30
	s_wait_alu 0xfffd
	s_delay_alu instid0(VALU_DEP_3)
	v_add_co_ci_u32_e64 v33, null, s5, v31, vcc_lo
	v_add_co_u32 v30, vcc_lo, s6, v30
	s_wait_alu 0xfffd
	v_add_co_ci_u32_e64 v31, null, s7, v31, vcc_lo
	global_load_b32 v32, v[32:33], off
	global_load_b32 v30, v[30:31], off
	s_wait_loadcnt 0x0
	v_sub_f32_e32 v30, v32, v30
	s_delay_alu instid0(VALU_DEP_1) | instskip(SKIP_1) | instid1(VALU_DEP_1)
	v_sub_f32_e32 v34, v34, v30
	v_lshlrev_b64_e32 v[30:31], 2, v[0:1]
	v_add_co_u32 v32, vcc_lo, s4, v30
	s_wait_alu 0xfffd
	s_delay_alu instid0(VALU_DEP_2)
	v_add_co_ci_u32_e64 v33, null, s5, v31, vcc_lo
	v_add_co_u32 v30, vcc_lo, s6, v30
	s_wait_alu 0xfffd
	v_add_co_ci_u32_e64 v31, null, s7, v31, vcc_lo
	global_load_b32 v32, v[32:33], off
	global_load_b32 v30, v[30:31], off
	s_wait_loadcnt 0x0
	v_sub_f32_e32 v30, v32, v30
	s_delay_alu instid0(VALU_DEP_1) | instskip(NEXT) | instid1(VALU_DEP_1)
	v_sub_f32_e32 v30, v34, v30
	v_mul_f32_e32 v30, s10, v30
	s_delay_alu instid0(VALU_DEP_1) | instskip(SKIP_2) | instid1(VALU_DEP_1)
	v_mul_f32_e32 v34, s3, v30
	v_mad_co_u64_u32 v[30:31], null, 0xffffff58, s11, v[0:1]
	v_mov_b32_e32 v31, v1
	v_lshlrev_b64_e32 v[32:33], 2, v[30:31]
	v_mad_co_u64_u32 v[30:31], null, s11, 23, v[30:31]
	v_mov_b32_e32 v31, v1
	s_delay_alu instid0(VALU_DEP_3) | instskip(SKIP_1) | instid1(VALU_DEP_4)
	v_add_co_u32 v32, vcc_lo, s8, v32
	s_wait_alu 0xfffd
	v_add_co_ci_u32_e64 v33, null, s9, v33, vcc_lo
	global_store_b32 v[32:33], v34, off
	v_lshlrev_b64_e32 v[31:32], 2, v[30:31]
	s_delay_alu instid0(VALU_DEP_1) | instskip(SKIP_1) | instid1(VALU_DEP_2)
	v_add_co_u32 v33, vcc_lo, s4, v31
	s_wait_alu 0xfffd
	v_add_co_ci_u32_e64 v34, null, s5, v32, vcc_lo
	v_add_co_u32 v31, vcc_lo, s6, v31
	s_wait_alu 0xfffd
	v_add_co_ci_u32_e64 v32, null, s7, v32, vcc_lo
	global_load_b32 v0, v[33:34], off
	global_load_b32 v31, v[31:32], off
	global_load_b32 v26, v[26:27], off
	global_load_b32 v27, v[28:29], off
	s_wait_loadcnt 0x2
	v_sub_f32_e32 v0, v0, v31
	s_wait_loadcnt 0x0
	v_sub_f32_e32 v26, v26, v27
	s_delay_alu instid0(VALU_DEP_1) | instskip(SKIP_2) | instid1(VALU_DEP_1)
	v_sub_f32_e32 v0, v0, v26
	v_mad_co_u64_u32 v[26:27], null, 0x45, s11, v[30:31]
	v_mov_b32_e32 v27, v1
	v_lshlrev_b64_e32 v[27:28], 2, v[26:27]
	s_delay_alu instid0(VALU_DEP_1) | instskip(SKIP_1) | instid1(VALU_DEP_2)
	v_add_co_u32 v29, vcc_lo, s4, v27
	s_wait_alu 0xfffd
	v_add_co_ci_u32_e64 v30, null, s5, v28, vcc_lo
	v_add_co_u32 v27, vcc_lo, s6, v27
	s_wait_alu 0xfffd
	v_add_co_ci_u32_e64 v28, null, s7, v28, vcc_lo
	global_load_b32 v29, v[29:30], off
	global_load_b32 v27, v[27:28], off
	s_wait_loadcnt 0x0
	v_sub_f32_e32 v27, v29, v27
	s_delay_alu instid0(VALU_DEP_1) | instskip(SKIP_1) | instid1(VALU_DEP_1)
	v_sub_f32_e32 v30, v0, v27
	v_add_nc_u32_e32 v0, s11, v26
	v_lshlrev_b64_e32 v[26:27], 2, v[0:1]
	v_add_nc_u32_e32 v0, s11, v0
	s_delay_alu instid0(VALU_DEP_2) | instskip(SKIP_1) | instid1(VALU_DEP_3)
	v_add_co_u32 v28, vcc_lo, s4, v26
	s_wait_alu 0xfffd
	v_add_co_ci_u32_e64 v29, null, s5, v27, vcc_lo
	v_add_co_u32 v26, vcc_lo, s6, v26
	s_wait_alu 0xfffd
	v_add_co_ci_u32_e64 v27, null, s7, v27, vcc_lo
	global_load_b32 v28, v[28:29], off
	global_load_b32 v26, v[26:27], off
	s_wait_loadcnt 0x0
	v_sub_f32_e32 v26, v28, v26
	s_delay_alu instid0(VALU_DEP_1) | instskip(SKIP_2) | instid1(VALU_DEP_2)
	v_sub_f32_e32 v30, v30, v26
	v_lshlrev_b64_e32 v[26:27], 2, v[0:1]
	v_add_nc_u32_e32 v0, s15, v0
	v_add_co_u32 v28, vcc_lo, s4, v26
	s_wait_alu 0xfffd
	s_delay_alu instid0(VALU_DEP_3)
	v_add_co_ci_u32_e64 v29, null, s5, v27, vcc_lo
	v_add_co_u32 v26, vcc_lo, s6, v26
	s_wait_alu 0xfffd
	v_add_co_ci_u32_e64 v27, null, s7, v27, vcc_lo
	global_load_b32 v28, v[28:29], off
	global_load_b32 v26, v[26:27], off
	;; [unrolled: 1-line block ×4, first 2 shown]
	s_wait_loadcnt 0x2
	v_sub_f32_e32 v26, v28, v26
	s_wait_loadcnt 0x0
	v_sub_f32_e32 v14, v14, v15
	s_delay_alu instid0(VALU_DEP_2) | instskip(NEXT) | instid1(VALU_DEP_1)
	v_sub_f32_e32 v26, v30, v26
	v_sub_f32_e32 v26, v26, v14
	v_lshlrev_b64_e32 v[14:15], 2, v[0:1]
	v_add_nc_u32_e32 v0, s0, v0
	s_delay_alu instid0(VALU_DEP_2) | instskip(SKIP_1) | instid1(VALU_DEP_3)
	v_add_co_u32 v16, vcc_lo, s4, v14
	s_wait_alu 0xfffd
	v_add_co_ci_u32_e64 v17, null, s5, v15, vcc_lo
	v_add_co_u32 v14, vcc_lo, s6, v14
	s_wait_alu 0xfffd
	v_add_co_ci_u32_e64 v15, null, s7, v15, vcc_lo
	global_load_b32 v16, v[16:17], off
	global_load_b32 v14, v[14:15], off
	s_wait_loadcnt 0x0
	v_sub_f32_e32 v14, v16, v14
	global_load_b32 v15, v[18:19], off
	global_load_b32 v16, v[20:21], off
	s_wait_loadcnt 0x0
	v_dual_sub_f32 v14, v26, v14 :: v_dual_sub_f32 v15, v15, v16
	s_delay_alu instid0(VALU_DEP_1) | instskip(NEXT) | instid1(VALU_DEP_1)
	v_sub_f32_e32 v14, v14, v15
	v_sub_f32_e32 v14, v14, v15
	global_load_b32 v15, v[22:23], off
	global_load_b32 v16, v[24:25], off
	s_wait_loadcnt 0x0
	v_sub_f32_e32 v15, v15, v16
	s_delay_alu instid0(VALU_DEP_1) | instskip(SKIP_2) | instid1(VALU_DEP_2)
	v_add_f32_e32 v18, v14, v15
	v_lshlrev_b64_e32 v[14:15], 2, v[0:1]
	v_add_nc_u32_e32 v0, s15, v0
	v_add_co_u32 v16, vcc_lo, s4, v14
	s_wait_alu 0xfffd
	s_delay_alu instid0(VALU_DEP_3)
	v_add_co_ci_u32_e64 v17, null, s5, v15, vcc_lo
	v_add_co_u32 v14, vcc_lo, s6, v14
	s_wait_alu 0xfffd
	v_add_co_ci_u32_e64 v15, null, s7, v15, vcc_lo
	global_load_b32 v16, v[16:17], off
	global_load_b32 v14, v[14:15], off
	s_wait_loadcnt 0x0
	v_sub_f32_e32 v16, v16, v14
	v_lshlrev_b64_e32 v[14:15], 2, v[0:1]
	v_add_nc_u32_e32 v0, s15, v0
	s_delay_alu instid0(VALU_DEP_3) | instskip(NEXT) | instid1(VALU_DEP_3)
	v_add_f32_e32 v19, v18, v16
	v_add_co_u32 v17, vcc_lo, s4, v14
	s_wait_alu 0xfffd
	s_delay_alu instid0(VALU_DEP_4)
	v_add_co_ci_u32_e64 v18, null, s5, v15, vcc_lo
	v_add_co_u32 v14, vcc_lo, s6, v14
	s_wait_alu 0xfffd
	v_add_co_ci_u32_e64 v15, null, s7, v15, vcc_lo
	global_load_b32 v17, v[17:18], off
	global_load_b32 v14, v[14:15], off
	s_wait_loadcnt 0x0
	v_sub_f32_e32 v15, v17, v14
	v_lshlrev_b64_e32 v[17:18], 2, v[0:1]
	s_delay_alu instid0(VALU_DEP_2) | instskip(NEXT) | instid1(VALU_DEP_2)
	v_add_f32_e32 v21, v19, v15
	v_add_co_u32 v19, vcc_lo, s4, v17
	s_wait_alu 0xfffd
	s_delay_alu instid0(VALU_DEP_3)
	v_add_co_ci_u32_e64 v20, null, s5, v18, vcc_lo
	v_add_co_u32 v17, vcc_lo, s6, v17
	s_wait_alu 0xfffd
	v_add_co_ci_u32_e64 v18, null, s7, v18, vcc_lo
	global_load_b32 v14, v[19:20], off
	global_load_b32 v17, v[17:18], off
	s_wait_loadcnt 0x0
	v_sub_f32_e32 v14, v14, v17
	s_delay_alu instid0(VALU_DEP_1) | instskip(NEXT) | instid1(VALU_DEP_1)
	v_add_f32_e32 v17, v21, v14
	v_mul_f32_e32 v17, s10, v17
	s_delay_alu instid0(VALU_DEP_1) | instskip(SKIP_2) | instid1(VALU_DEP_1)
	v_mul_f32_e32 v20, s12, v17
	v_mad_co_u64_u32 v[17:18], null, 0xffffff8e, s11, v[0:1]
	v_mov_b32_e32 v18, v1
	v_lshlrev_b64_e32 v[18:19], 2, v[17:18]
	v_add_nc_u32_e32 v0, s17, v17
	s_delay_alu instid0(VALU_DEP_2) | instskip(SKIP_1) | instid1(VALU_DEP_3)
	v_add_co_u32 v18, vcc_lo, s8, v18
	s_wait_alu 0xfffd
	v_add_co_ci_u32_e64 v19, null, s9, v19, vcc_lo
	global_store_b32 v[18:19], v20, off
	v_lshlrev_b64_e32 v[17:18], 2, v[0:1]
	s_delay_alu instid0(VALU_DEP_1) | instskip(SKIP_1) | instid1(VALU_DEP_2)
	v_add_co_u32 v19, vcc_lo, s4, v17
	s_wait_alu 0xfffd
	v_add_co_ci_u32_e64 v20, null, s5, v18, vcc_lo
	v_add_co_u32 v17, vcc_lo, s6, v17
	s_wait_alu 0xfffd
	v_add_co_ci_u32_e64 v18, null, s7, v18, vcc_lo
	global_load_b32 v19, v[19:20], off
	global_load_b32 v17, v[17:18], off
	global_load_b32 v6, v[6:7], off
	global_load_b32 v7, v[8:9], off
	s_wait_loadcnt 0x0
	v_dual_sub_f32 v17, v19, v17 :: v_dual_sub_f32 v6, v6, v7
	global_load_b32 v7, v[10:11], off
	global_load_b32 v8, v[12:13], off
	s_wait_loadcnt 0x0
	v_dual_add_f32 v6, v17, v6 :: v_dual_sub_f32 v7, v7, v8
	s_delay_alu instid0(VALU_DEP_1) | instskip(SKIP_2) | instid1(VALU_DEP_1)
	v_add_f32_e32 v6, v6, v7
	v_mad_co_u64_u32 v[7:8], null, 0x44, s11, v[0:1]
	v_mov_b32_e32 v8, v1
	v_lshlrev_b64_e32 v[8:9], 2, v[7:8]
	s_delay_alu instid0(VALU_DEP_1) | instskip(SKIP_1) | instid1(VALU_DEP_2)
	v_add_co_u32 v10, vcc_lo, s4, v8
	s_wait_alu 0xfffd
	v_add_co_ci_u32_e64 v11, null, s5, v9, vcc_lo
	v_add_co_u32 v8, vcc_lo, s6, v8
	s_wait_alu 0xfffd
	v_add_co_ci_u32_e64 v9, null, s7, v9, vcc_lo
	global_load_b32 v0, v[10:11], off
	global_load_b32 v8, v[8:9], off
	s_wait_loadcnt 0x0
	v_sub_f32_e32 v0, v0, v8
	s_delay_alu instid0(VALU_DEP_1) | instskip(SKIP_1) | instid1(VALU_DEP_1)
	v_add_f32_e32 v10, v6, v0
	v_add_nc_u32_e32 v0, s15, v7
	v_lshlrev_b64_e32 v[6:7], 2, v[0:1]
	v_add_nc_u32_e32 v0, s15, v0
	s_delay_alu instid0(VALU_DEP_2) | instskip(SKIP_1) | instid1(VALU_DEP_3)
	v_add_co_u32 v8, vcc_lo, s4, v6
	s_wait_alu 0xfffd
	v_add_co_ci_u32_e64 v9, null, s5, v7, vcc_lo
	v_add_co_u32 v6, vcc_lo, s6, v6
	s_wait_alu 0xfffd
	v_add_co_ci_u32_e64 v7, null, s7, v7, vcc_lo
	global_load_b32 v8, v[8:9], off
	global_load_b32 v6, v[6:7], off
	s_wait_loadcnt 0x0
	v_sub_f32_e32 v6, v8, v6
	s_delay_alu instid0(VALU_DEP_1) | instskip(NEXT) | instid1(VALU_DEP_1)
	v_sub_f32_e32 v6, v10, v6
	v_sub_f32_e32 v10, v6, v16
	v_lshlrev_b64_e32 v[6:7], 2, v[0:1]
	v_add_nc_u32_e32 v0, s15, v0
	s_delay_alu instid0(VALU_DEP_2) | instskip(SKIP_1) | instid1(VALU_DEP_3)
	v_add_co_u32 v8, vcc_lo, s4, v6
	s_wait_alu 0xfffd
	v_add_co_ci_u32_e64 v9, null, s5, v7, vcc_lo
	v_add_co_u32 v6, vcc_lo, s6, v6
	s_wait_alu 0xfffd
	v_add_co_ci_u32_e64 v7, null, s7, v7, vcc_lo
	global_load_b32 v8, v[8:9], off
	global_load_b32 v6, v[6:7], off
	s_wait_loadcnt 0x0
	v_sub_f32_e32 v6, v8, v6
	s_delay_alu instid0(VALU_DEP_1) | instskip(NEXT) | instid1(VALU_DEP_1)
	v_sub_f32_e32 v6, v10, v6
	v_sub_f32_e32 v10, v6, v15
	;; [unrolled: 16-line block ×3, first 2 shown]
	v_lshlrev_b64_e32 v[6:7], 2, v[0:1]
	v_add_nc_u32_e32 v0, s0, v0
	s_delay_alu instid0(VALU_DEP_2) | instskip(SKIP_1) | instid1(VALU_DEP_3)
	v_add_co_u32 v8, vcc_lo, s4, v6
	s_wait_alu 0xfffd
	v_add_co_ci_u32_e64 v9, null, s5, v7, vcc_lo
	v_add_co_u32 v6, vcc_lo, s6, v6
	s_wait_alu 0xfffd
	v_add_co_ci_u32_e64 v7, null, s7, v7, vcc_lo
	global_load_b32 v8, v[8:9], off
	global_load_b32 v6, v[6:7], off
	s_wait_loadcnt 0x0
	v_sub_f32_e32 v6, v8, v6
	s_delay_alu instid0(VALU_DEP_1) | instskip(SKIP_2) | instid1(VALU_DEP_2)
	v_add_f32_e32 v10, v10, v6
	v_lshlrev_b64_e32 v[6:7], 2, v[0:1]
	v_add_nc_u32_e32 v0, s11, v0
	v_add_co_u32 v8, vcc_lo, s4, v6
	s_wait_alu 0xfffd
	s_delay_alu instid0(VALU_DEP_3)
	v_add_co_ci_u32_e64 v9, null, s5, v7, vcc_lo
	v_add_co_u32 v6, vcc_lo, s6, v6
	s_wait_alu 0xfffd
	v_add_co_ci_u32_e64 v7, null, s7, v7, vcc_lo
	global_load_b32 v8, v[8:9], off
	global_load_b32 v6, v[6:7], off
	s_wait_loadcnt 0x0
	v_sub_f32_e32 v6, v8, v6
	s_delay_alu instid0(VALU_DEP_1) | instskip(SKIP_2) | instid1(VALU_DEP_2)
	v_add_f32_e32 v10, v10, v6
	v_lshlrev_b64_e32 v[6:7], 2, v[0:1]
	v_add_nc_u32_e32 v0, s11, v0
	v_add_co_u32 v8, vcc_lo, s4, v6
	s_wait_alu 0xfffd
	s_delay_alu instid0(VALU_DEP_3)
	;; [unrolled: 15-line block ×3, first 2 shown]
	v_add_co_ci_u32_e64 v9, null, s5, v7, vcc_lo
	v_add_co_u32 v6, vcc_lo, s6, v6
	s_wait_alu 0xfffd
	v_add_co_ci_u32_e64 v7, null, s7, v7, vcc_lo
	global_load_b32 v8, v[8:9], off
	global_load_b32 v6, v[6:7], off
	s_wait_loadcnt 0x0
	v_sub_f32_e32 v6, v8, v6
	s_delay_alu instid0(VALU_DEP_1) | instskip(SKIP_1) | instid1(VALU_DEP_1)
	v_add_f32_e32 v10, v10, v6
	v_lshlrev_b64_e32 v[6:7], 2, v[0:1]
	v_add_co_u32 v8, vcc_lo, s4, v6
	s_wait_alu 0xfffd
	s_delay_alu instid0(VALU_DEP_2)
	v_add_co_ci_u32_e64 v9, null, s5, v7, vcc_lo
	v_add_co_u32 v6, vcc_lo, s6, v6
	s_wait_alu 0xfffd
	v_add_co_ci_u32_e64 v7, null, s7, v7, vcc_lo
	global_load_b32 v8, v[8:9], off
	global_load_b32 v6, v[6:7], off
	s_wait_loadcnt 0x0
	v_sub_f32_e32 v6, v8, v6
	s_delay_alu instid0(VALU_DEP_1) | instskip(SKIP_2) | instid1(VALU_DEP_1)
	v_add_f32_e32 v11, v10, v6
	v_mad_co_u64_u32 v[6:7], null, s11, 40, v[0:1]
	v_mov_b32_e32 v7, v1
	v_lshlrev_b64_e32 v[7:8], 2, v[6:7]
	s_delay_alu instid0(VALU_DEP_1) | instskip(SKIP_1) | instid1(VALU_DEP_2)
	v_add_co_u32 v9, vcc_lo, s4, v7
	s_wait_alu 0xfffd
	v_add_co_ci_u32_e64 v10, null, s5, v8, vcc_lo
	v_add_co_u32 v7, vcc_lo, s6, v7
	s_wait_alu 0xfffd
	v_add_co_ci_u32_e64 v8, null, s7, v8, vcc_lo
	global_load_b32 v0, v[9:10], off
	global_load_b32 v7, v[7:8], off
	s_wait_loadcnt 0x0
	v_sub_f32_e32 v0, v0, v7
	v_mad_co_u64_u32 v[6:7], null, 0xffffff51, s11, v[6:7]
	s_delay_alu instid0(VALU_DEP_2) | instskip(NEXT) | instid1(VALU_DEP_1)
	v_dual_mov_b32 v7, v1 :: v_dual_add_f32 v0, v11, v0
	v_lshlrev_b64_e32 v[8:9], 2, v[6:7]
	s_delay_alu instid0(VALU_DEP_2) | instskip(SKIP_2) | instid1(VALU_DEP_4)
	v_mul_f32_e32 v0, s10, v0
	v_mad_co_u64_u32 v[6:7], null, 0x47, s11, v[6:7]
	v_mov_b32_e32 v7, v1
	v_add_co_u32 v8, vcc_lo, s8, v8
	s_delay_alu instid0(VALU_DEP_4) | instskip(SKIP_4) | instid1(VALU_DEP_1)
	v_mul_f32_e32 v0, s13, v0
	s_wait_alu 0xfffd
	v_add_co_ci_u32_e64 v9, null, s9, v9, vcc_lo
	global_store_b32 v[8:9], v0, off
	v_lshlrev_b64_e32 v[7:8], 2, v[6:7]
	v_add_co_u32 v9, vcc_lo, s4, v7
	s_wait_alu 0xfffd
	s_delay_alu instid0(VALU_DEP_2)
	v_add_co_ci_u32_e64 v10, null, s5, v8, vcc_lo
	v_add_co_u32 v7, vcc_lo, s6, v7
	s_wait_alu 0xfffd
	v_add_co_ci_u32_e64 v8, null, s7, v8, vcc_lo
	global_load_b32 v0, v[9:10], off
	global_load_b32 v7, v[7:8], off
	s_wait_loadcnt 0x0
	v_sub_f32_e32 v0, v0, v7
	v_mad_co_u64_u32 v[6:7], null, s11, 59, v[6:7]
	v_mov_b32_e32 v7, v1
	s_delay_alu instid0(VALU_DEP_1) | instskip(NEXT) | instid1(VALU_DEP_1)
	v_lshlrev_b64_e32 v[7:8], 2, v[6:7]
	v_add_co_u32 v9, vcc_lo, s4, v7
	s_wait_alu 0xfffd
	s_delay_alu instid0(VALU_DEP_2)
	v_add_co_ci_u32_e64 v10, null, s5, v8, vcc_lo
	v_add_co_u32 v7, vcc_lo, s6, v7
	s_wait_alu 0xfffd
	v_add_co_ci_u32_e64 v8, null, s7, v8, vcc_lo
	global_load_b32 v9, v[9:10], off
	global_load_b32 v7, v[7:8], off
	;; [unrolled: 1-line block ×4, first 2 shown]
	s_wait_loadcnt 0x2
	v_sub_f32_e32 v7, v9, v7
	s_wait_loadcnt 0x0
	v_sub_f32_e32 v2, v2, v3
	s_delay_alu instid0(VALU_DEP_2) | instskip(NEXT) | instid1(VALU_DEP_1)
	v_add_f32_e32 v0, v0, v7
	v_add_f32_e32 v0, v0, v2
	v_mad_co_u64_u32 v[2:3], null, s11, 25, v[6:7]
	v_mov_b32_e32 v3, v1
	s_delay_alu instid0(VALU_DEP_1) | instskip(SKIP_2) | instid1(VALU_DEP_3)
	v_lshlrev_b64_e32 v[4:5], 2, v[2:3]
	v_mad_co_u64_u32 v[2:3], null, 0xffffff66, s11, v[2:3]
	v_mov_b32_e32 v3, v1
	v_add_co_u32 v6, vcc_lo, s4, v4
	s_wait_alu 0xfffd
	s_delay_alu instid0(VALU_DEP_4)
	v_add_co_ci_u32_e64 v7, null, s5, v5, vcc_lo
	v_add_co_u32 v4, vcc_lo, s6, v4
	s_wait_alu 0xfffd
	v_add_co_ci_u32_e64 v5, null, s7, v5, vcc_lo
	global_load_b32 v6, v[6:7], off
	v_lshlrev_b64_e32 v[1:2], 2, v[2:3]
	global_load_b32 v4, v[4:5], off
	v_add_co_u32 v1, vcc_lo, s8, v1
	s_wait_alu 0xfffd
	v_add_co_ci_u32_e64 v2, null, s9, v2, vcc_lo
	s_wait_loadcnt 0x0
	v_sub_f32_e32 v4, v6, v4
	s_delay_alu instid0(VALU_DEP_1) | instskip(NEXT) | instid1(VALU_DEP_1)
	v_add_f32_e32 v0, v0, v4
	v_mul_f32_e32 v0, s10, v0
	s_delay_alu instid0(VALU_DEP_1)
	v_mul_f32_e32 v0, s14, v0
	global_store_b32 v[1:2], v0, off
	s_endpgm
	.section	.rodata,"a",@progbits
	.p2align	6, 0x0
	.amdhsa_kernel _Z14rdwdot3_kernelIfEvPKT_S2_PS0_S0_S2_
		.amdhsa_group_segment_fixed_size 0
		.amdhsa_private_segment_fixed_size 0
		.amdhsa_kernarg_size 296
		.amdhsa_user_sgpr_count 2
		.amdhsa_user_sgpr_dispatch_ptr 0
		.amdhsa_user_sgpr_queue_ptr 0
		.amdhsa_user_sgpr_kernarg_segment_ptr 1
		.amdhsa_user_sgpr_dispatch_id 0
		.amdhsa_user_sgpr_private_segment_size 0
		.amdhsa_wavefront_size32 1
		.amdhsa_uses_dynamic_stack 0
		.amdhsa_enable_private_segment 0
		.amdhsa_system_sgpr_workgroup_id_x 1
		.amdhsa_system_sgpr_workgroup_id_y 0
		.amdhsa_system_sgpr_workgroup_id_z 0
		.amdhsa_system_sgpr_workgroup_info 0
		.amdhsa_system_vgpr_workitem_id 0
		.amdhsa_next_free_vgpr 35
		.amdhsa_next_free_sgpr 22
		.amdhsa_reserve_vcc 1
		.amdhsa_float_round_mode_32 0
		.amdhsa_float_round_mode_16_64 0
		.amdhsa_float_denorm_mode_32 3
		.amdhsa_float_denorm_mode_16_64 3
		.amdhsa_fp16_overflow 0
		.amdhsa_workgroup_processor_mode 1
		.amdhsa_memory_ordered 1
		.amdhsa_forward_progress 1
		.amdhsa_inst_pref_size 82
		.amdhsa_round_robin_scheduling 0
		.amdhsa_exception_fp_ieee_invalid_op 0
		.amdhsa_exception_fp_denorm_src 0
		.amdhsa_exception_fp_ieee_div_zero 0
		.amdhsa_exception_fp_ieee_overflow 0
		.amdhsa_exception_fp_ieee_underflow 0
		.amdhsa_exception_fp_ieee_inexact 0
		.amdhsa_exception_int_div_zero 0
	.end_amdhsa_kernel
	.section	.text._Z14rdwdot3_kernelIfEvPKT_S2_PS0_S0_S2_,"axG",@progbits,_Z14rdwdot3_kernelIfEvPKT_S2_PS0_S0_S2_,comdat
.Lfunc_end21:
	.size	_Z14rdwdot3_kernelIfEvPKT_S2_PS0_S0_S2_, .Lfunc_end21-_Z14rdwdot3_kernelIfEvPKT_S2_PS0_S0_S2_
                                        ; -- End function
	.set _Z14rdwdot3_kernelIfEvPKT_S2_PS0_S0_S2_.num_vgpr, 35
	.set _Z14rdwdot3_kernelIfEvPKT_S2_PS0_S0_S2_.num_agpr, 0
	.set _Z14rdwdot3_kernelIfEvPKT_S2_PS0_S0_S2_.numbered_sgpr, 22
	.set _Z14rdwdot3_kernelIfEvPKT_S2_PS0_S0_S2_.num_named_barrier, 0
	.set _Z14rdwdot3_kernelIfEvPKT_S2_PS0_S0_S2_.private_seg_size, 0
	.set _Z14rdwdot3_kernelIfEvPKT_S2_PS0_S0_S2_.uses_vcc, 1
	.set _Z14rdwdot3_kernelIfEvPKT_S2_PS0_S0_S2_.uses_flat_scratch, 0
	.set _Z14rdwdot3_kernelIfEvPKT_S2_PS0_S0_S2_.has_dyn_sized_stack, 0
	.set _Z14rdwdot3_kernelIfEvPKT_S2_PS0_S0_S2_.has_recursion, 0
	.set _Z14rdwdot3_kernelIfEvPKT_S2_PS0_S0_S2_.has_indirect_call, 0
	.section	.AMDGPU.csdata,"",@progbits
; Kernel info:
; codeLenInByte = 10492
; TotalNumSgprs: 24
; NumVgprs: 35
; ScratchSize: 0
; MemoryBound: 0
; FloatMode: 240
; IeeeMode: 1
; LDSByteSize: 0 bytes/workgroup (compile time only)
; SGPRBlocks: 0
; VGPRBlocks: 4
; NumSGPRsForWavesPerEU: 24
; NumVGPRsForWavesPerEU: 35
; Occupancy: 16
; WaveLimiterHint : 0
; COMPUTE_PGM_RSRC2:SCRATCH_EN: 0
; COMPUTE_PGM_RSRC2:USER_SGPR: 2
; COMPUTE_PGM_RSRC2:TRAP_HANDLER: 0
; COMPUTE_PGM_RSRC2:TGID_X_EN: 1
; COMPUTE_PGM_RSRC2:TGID_Y_EN: 0
; COMPUTE_PGM_RSRC2:TGID_Z_EN: 0
; COMPUTE_PGM_RSRC2:TIDIG_COMP_CNT: 0
	.section	.text._Z14rdwdot6_kernelIfEvPKT_S2_PS0_S0_S2_,"axG",@progbits,_Z14rdwdot6_kernelIfEvPKT_S2_PS0_S0_S2_,comdat
	.protected	_Z14rdwdot6_kernelIfEvPKT_S2_PS0_S0_S2_ ; -- Begin function _Z14rdwdot6_kernelIfEvPKT_S2_PS0_S0_S2_
	.globl	_Z14rdwdot6_kernelIfEvPKT_S2_PS0_S0_S2_
	.p2align	8
	.type	_Z14rdwdot6_kernelIfEvPKT_S2_PS0_S0_S2_,@function
_Z14rdwdot6_kernelIfEvPKT_S2_PS0_S0_S2_: ; @_Z14rdwdot6_kernelIfEvPKT_S2_PS0_S0_S2_
; %bb.0:
	s_clause 0x2
	s_load_b32 s2, s[0:1], 0x34
	s_load_b96 s[8:10], s[0:1], 0x20
	s_load_b128 s[4:7], s[0:1], 0x0
	s_wait_kmcnt 0x0
	s_and_b32 s2, s2, 0xffff
	s_delay_alu instid0(SALU_CYCLE_1)
	s_mul_i32 s3, s10, s2
	s_mul_i32 s2, ttmp9, s2
	s_mul_i32 s10, s3, 28
	s_lshl_b32 s11, s3, 1
	v_add3_u32 v0, s10, s2, v0
	v_mov_b32_e32 v1, 0
	s_mul_i32 s10, s3, 5
	s_lshl_b32 s12, s3, 2
	s_mul_i32 s13, s3, 7
	s_load_b96 s[0:2], s[0:1], 0x10
	v_lshlrev_b64_e32 v[2:3], 2, v[0:1]
	v_add_nc_u32_e32 v0, s3, v0
	s_delay_alu instid0(VALU_DEP_1) | instskip(NEXT) | instid1(VALU_DEP_3)
	v_lshlrev_b64_e32 v[4:5], 2, v[0:1]
	v_add_co_u32 v6, vcc_lo, s4, v2
	s_delay_alu instid0(VALU_DEP_1)
	v_add_co_ci_u32_e64 v7, null, s5, v3, vcc_lo
	v_add_co_u32 v8, vcc_lo, s6, v2
	s_wait_alu 0xfffd
	v_add_co_ci_u32_e64 v9, null, s7, v3, vcc_lo
	global_load_b32 v2, v[6:7], off
	v_add_co_u32 v6, vcc_lo, s4, v4
	s_wait_alu 0xfffd
	v_add_co_ci_u32_e64 v7, null, s5, v5, vcc_lo
	v_add_co_u32 v12, vcc_lo, s6, v4
	s_wait_alu 0xfffd
	v_add_co_ci_u32_e64 v13, null, s7, v5, vcc_lo
	global_load_b32 v3, v[8:9], off
	global_load_b32 v4, v[6:7], off
	;; [unrolled: 1-line block ×3, first 2 shown]
	v_add_nc_u32_e32 v0, s3, v0
	s_wait_loadcnt 0x0
	v_dual_sub_f32 v2, v2, v3 :: v_dual_sub_f32 v3, v4, v5
	s_delay_alu instid0(VALU_DEP_2) | instskip(NEXT) | instid1(VALU_DEP_2)
	v_lshlrev_b64_e32 v[10:11], 2, v[0:1]
	v_sub_f32_e64 v4, -v2, v3
	v_add_f32_e32 v2, v2, v3
	s_delay_alu instid0(VALU_DEP_3) | instskip(SKIP_1) | instid1(VALU_DEP_4)
	v_add_co_u32 v6, vcc_lo, s4, v10
	s_wait_alu 0xfffd
	v_add_co_ci_u32_e64 v7, null, s5, v11, vcc_lo
	v_add_co_u32 v10, vcc_lo, s6, v10
	s_wait_alu 0xfffd
	v_add_co_ci_u32_e64 v11, null, s7, v11, vcc_lo
	global_load_b32 v6, v[6:7], off
	v_add_nc_u32_e32 v0, s3, v0
	s_delay_alu instid0(VALU_DEP_1) | instskip(SKIP_1) | instid1(VALU_DEP_1)
	v_lshlrev_b64_e32 v[8:9], 2, v[0:1]
	v_add_nc_u32_e32 v0, s3, v0
	v_lshlrev_b64_e32 v[12:13], 2, v[0:1]
	s_delay_alu instid0(VALU_DEP_3) | instskip(SKIP_1) | instid1(VALU_DEP_4)
	v_add_co_u32 v14, vcc_lo, s4, v8
	s_wait_alu 0xfffd
	v_add_co_ci_u32_e64 v15, null, s5, v9, vcc_lo
	v_add_co_u32 v16, vcc_lo, s6, v8
	s_wait_alu 0xfffd
	v_add_co_ci_u32_e64 v17, null, s7, v9, vcc_lo
	;; [unrolled: 3-line block ×3, first 2 shown]
	global_load_b32 v9, v[10:11], off
	global_load_b32 v7, v[14:15], off
	global_load_b32 v10, v[16:17], off
	global_load_b32 v8, v[18:19], off
	v_add_co_u32 v11, vcc_lo, s6, v12
	s_wait_alu 0xfffd
	v_add_co_ci_u32_e64 v12, null, s7, v13, vcc_lo
	s_wait_loadcnt 0x3
	v_sub_f32_e32 v5, v6, v9
	s_wait_loadcnt 0x1
	s_delay_alu instid0(VALU_DEP_1) | instskip(SKIP_1) | instid1(VALU_DEP_2)
	v_dual_sub_f32 v4, v4, v5 :: v_dual_sub_f32 v5, v7, v10
	v_add_nc_u32_e32 v0, s3, v0
	v_sub_f32_e32 v4, v4, v5
	s_delay_alu instid0(VALU_DEP_2) | instskip(SKIP_2) | instid1(VALU_DEP_2)
	v_lshlrev_b64_e32 v[14:15], 2, v[0:1]
	v_add_nc_u32_e32 v0, s10, v0
	v_add_f32_e32 v2, v2, v5
	v_lshlrev_b64_e32 v[18:19], 2, v[0:1]
	s_delay_alu instid0(VALU_DEP_4)
	v_add_co_u32 v16, vcc_lo, s4, v14
	s_wait_alu 0xfffd
	v_add_co_ci_u32_e64 v17, null, s5, v15, vcc_lo
	v_add_co_u32 v14, vcc_lo, s6, v14
	v_add_nc_u32_e32 v0, s3, v0
	s_wait_alu 0xfffd
	v_add_co_ci_u32_e64 v15, null, s7, v15, vcc_lo
	v_add_co_u32 v20, vcc_lo, s4, v18
	s_wait_alu 0xfffd
	v_add_co_ci_u32_e64 v21, null, s5, v19, vcc_lo
	global_load_b32 v13, v[11:12], off
	global_load_b32 v11, v[16:17], off
	global_load_b32 v14, v[14:15], off
	global_load_b32 v12, v[20:21], off
	v_lshlrev_b64_e32 v[15:16], 2, v[0:1]
	v_add_nc_u32_e32 v0, s11, v0
	v_add_co_u32 v17, vcc_lo, s6, v18
	s_wait_alu 0xfffd
	v_add_co_ci_u32_e64 v18, null, s7, v19, vcc_lo
	s_delay_alu instid0(VALU_DEP_3)
	v_lshlrev_b64_e32 v[21:22], 2, v[0:1]
	v_add_co_u32 v19, vcc_lo, s4, v15
	s_wait_alu 0xfffd
	v_add_co_ci_u32_e64 v20, null, s5, v16, vcc_lo
	v_add_co_u32 v23, vcc_lo, s6, v15
	v_add_nc_u32_e32 v0, s3, v0
	s_wait_alu 0xfffd
	v_add_co_ci_u32_e64 v24, null, s7, v16, vcc_lo
	v_add_co_u32 v25, vcc_lo, s4, v21
	s_wait_alu 0xfffd
	v_add_co_ci_u32_e64 v26, null, s5, v22, vcc_lo
	global_load_b32 v17, v[17:18], off
	global_load_b32 v15, v[19:20], off
	global_load_b32 v18, v[23:24], off
	global_load_b32 v16, v[25:26], off
	v_lshlrev_b64_e32 v[19:20], 2, v[0:1]
	v_add_nc_u32_e32 v0, s11, v0
	v_add_co_u32 v21, vcc_lo, s6, v21
	s_wait_alu 0xfffd
	v_add_co_ci_u32_e64 v22, null, s7, v22, vcc_lo
	s_delay_alu instid0(VALU_DEP_3)
	v_lshlrev_b64_e32 v[25:26], 2, v[0:1]
	;; [unrolled: 21-line block ×3, first 2 shown]
	v_mad_co_u64_u32 v[33:34], null, s3, 9, v[0:1]
	v_add_co_u32 v27, vcc_lo, s4, v23
	s_wait_alu 0xfffd
	v_add_co_ci_u32_e64 v28, null, s5, v24, vcc_lo
	v_add_co_u32 v31, vcc_lo, s6, v23
	v_mov_b32_e32 v34, v1
	s_wait_alu 0xfffd
	v_add_co_ci_u32_e64 v32, null, s7, v24, vcc_lo
	v_add_co_u32 v35, vcc_lo, s4, v29
	s_wait_alu 0xfffd
	v_add_co_ci_u32_e64 v36, null, s5, v30, vcc_lo
	v_add_nc_u32_e32 v0, s10, v33
	global_load_b32 v25, v[25:26], off
	global_load_b32 v23, v[27:28], off
	;; [unrolled: 1-line block ×4, first 2 shown]
	v_lshlrev_b64_e32 v[27:28], 2, v[33:34]
	v_add_co_u32 v29, vcc_lo, s6, v29
	v_lshlrev_b64_e32 v[33:34], 2, v[0:1]
	s_wait_alu 0xfffd
	v_add_co_ci_u32_e64 v30, null, s7, v30, vcc_lo
	s_delay_alu instid0(VALU_DEP_4)
	v_add_co_u32 v31, vcc_lo, s4, v27
	s_wait_alu 0xfffd
	v_add_co_ci_u32_e64 v32, null, s5, v28, vcc_lo
	v_add_co_u32 v35, vcc_lo, s6, v27
	v_add_nc_u32_e32 v0, s12, v0
	s_wait_alu 0xfffd
	v_add_co_ci_u32_e64 v36, null, s7, v28, vcc_lo
	v_add_co_u32 v37, vcc_lo, s4, v33
	s_wait_alu 0xfffd
	v_add_co_ci_u32_e64 v38, null, s5, v34, vcc_lo
	global_load_b32 v29, v[29:30], off
	global_load_b32 v27, v[31:32], off
	;; [unrolled: 1-line block ×4, first 2 shown]
	v_lshlrev_b64_e32 v[31:32], 2, v[0:1]
	v_add_nc_u32_e32 v0, s3, v0
	v_add_co_u32 v33, vcc_lo, s6, v33
	s_wait_alu 0xfffd
	v_add_co_ci_u32_e64 v34, null, s7, v34, vcc_lo
	s_delay_alu instid0(VALU_DEP_3)
	v_lshlrev_b64_e32 v[37:38], 2, v[0:1]
	v_add_co_u32 v35, vcc_lo, s4, v31
	s_wait_alu 0xfffd
	v_add_co_ci_u32_e64 v36, null, s5, v32, vcc_lo
	v_add_co_u32 v39, vcc_lo, s6, v31
	v_add_nc_u32_e32 v0, s12, v0
	s_wait_alu 0xfffd
	v_add_co_ci_u32_e64 v40, null, s7, v32, vcc_lo
	v_add_co_u32 v41, vcc_lo, s4, v37
	s_wait_alu 0xfffd
	v_add_co_ci_u32_e64 v42, null, s5, v38, vcc_lo
	global_load_b32 v33, v[33:34], off
	global_load_b32 v31, v[35:36], off
	;; [unrolled: 1-line block ×4, first 2 shown]
	v_mad_co_u64_u32 v[39:40], null, s3, 18, v[0:1]
	v_mov_b32_e32 v40, v1
	v_lshlrev_b64_e32 v[35:36], 2, v[0:1]
	v_add_co_u32 v37, vcc_lo, s6, v37
	s_wait_alu 0xfffd
	v_add_co_ci_u32_e64 v38, null, s7, v38, vcc_lo
	v_lshlrev_b64_e32 v[43:44], 2, v[39:40]
	s_delay_alu instid0(VALU_DEP_4)
	v_add_co_u32 v41, vcc_lo, s4, v35
	s_wait_alu 0xfffd
	v_add_co_ci_u32_e64 v42, null, s5, v36, vcc_lo
	v_add_co_u32 v45, vcc_lo, s6, v35
	v_add_nc_u32_e32 v0, s13, v39
	s_wait_alu 0xfffd
	v_add_co_ci_u32_e64 v46, null, s7, v36, vcc_lo
	v_add_co_u32 v47, vcc_lo, s4, v43
	s_wait_alu 0xfffd
	v_add_co_ci_u32_e64 v48, null, s5, v44, vcc_lo
	global_load_b32 v37, v[37:38], off
	global_load_b32 v35, v[41:42], off
	;; [unrolled: 1-line block ×4, first 2 shown]
	v_mad_co_u64_u32 v[41:42], null, s3, 13, v[0:1]
	v_mov_b32_e32 v42, v1
	v_lshlrev_b64_e32 v[39:40], 2, v[0:1]
	v_add_co_u32 v43, vcc_lo, s6, v43
	s_wait_alu 0xfffd
	v_add_co_ci_u32_e64 v44, null, s7, v44, vcc_lo
	v_lshlrev_b64_e32 v[47:48], 2, v[41:42]
	s_delay_alu instid0(VALU_DEP_4)
	v_add_co_u32 v45, vcc_lo, s4, v39
	s_wait_alu 0xfffd
	v_add_co_ci_u32_e64 v46, null, s5, v40, vcc_lo
	v_add_co_u32 v49, vcc_lo, s6, v39
	v_add_nc_u32_e32 v0, s3, v41
	s_wait_alu 0xfffd
	v_add_co_ci_u32_e64 v50, null, s7, v40, vcc_lo
	v_add_co_u32 v51, vcc_lo, s4, v47
	s_wait_alu 0xfffd
	v_add_co_ci_u32_e64 v52, null, s5, v48, vcc_lo
	global_load_b32 v41, v[43:44], off
	global_load_b32 v39, v[45:46], off
	global_load_b32 v42, v[49:50], off
	global_load_b32 v40, v[51:52], off
	v_lshlrev_b64_e32 v[43:44], 2, v[0:1]
	v_add_nc_u32_e32 v0, s3, v0
	v_add_co_u32 v45, vcc_lo, s6, v47
	s_wait_alu 0xfffd
	v_add_co_ci_u32_e64 v46, null, s7, v48, vcc_lo
	s_delay_alu instid0(VALU_DEP_3)
	v_lshlrev_b64_e32 v[49:50], 2, v[0:1]
	v_add_co_u32 v47, vcc_lo, s4, v43
	s_wait_alu 0xfffd
	v_add_co_ci_u32_e64 v48, null, s5, v44, vcc_lo
	v_add_co_u32 v51, vcc_lo, s6, v43
	v_add_nc_u32_e32 v0, s3, v0
	s_wait_alu 0xfffd
	v_add_co_ci_u32_e64 v52, null, s7, v44, vcc_lo
	v_add_co_u32 v53, vcc_lo, s4, v49
	s_wait_alu 0xfffd
	v_add_co_ci_u32_e64 v54, null, s5, v50, vcc_lo
	global_load_b32 v45, v[45:46], off
	global_load_b32 v44, v[47:48], off
	global_load_b32 v46, v[51:52], off
	global_load_b32 v43, v[53:54], off
	v_lshlrev_b64_e32 v[47:48], 2, v[0:1]
	v_add_nc_u32_e32 v0, s3, v0
	v_add_co_u32 v49, vcc_lo, s6, v49
	s_wait_alu 0xfffd
	v_add_co_ci_u32_e64 v50, null, s7, v50, vcc_lo
	s_delay_alu instid0(VALU_DEP_3)
	v_lshlrev_b64_e32 v[53:54], 2, v[0:1]
	;; [unrolled: 21-line block ×4, first 2 shown]
	v_mad_co_u64_u32 v[63:64], null, s3, 3, v[0:1]
	v_add_co_u32 v59, vcc_lo, s4, v55
	s_wait_alu 0xfffd
	v_add_co_ci_u32_e64 v60, null, s5, v56, vcc_lo
	v_add_co_u32 v55, vcc_lo, s6, v55
	v_mov_b32_e32 v64, v1
	s_wait_alu 0xfffd
	v_add_co_ci_u32_e64 v56, null, s7, v56, vcc_lo
	v_add_co_u32 v65, vcc_lo, s4, v61
	s_wait_alu 0xfffd
	v_add_co_ci_u32_e64 v66, null, s5, v62, vcc_lo
	v_add_nc_u32_e32 v0, s10, v63
	global_load_b32 v69, v[57:58], off
	global_load_b32 v70, v[59:60], off
	;; [unrolled: 1-line block ×4, first 2 shown]
	v_lshlrev_b64_e32 v[55:56], 2, v[63:64]
	v_add_co_u32 v57, vcc_lo, s6, v61
	s_wait_alu 0xfffd
	v_add_co_ci_u32_e64 v58, null, s7, v62, vcc_lo
	v_lshlrev_b64_e32 v[61:62], 2, v[0:1]
	s_delay_alu instid0(VALU_DEP_4)
	v_add_co_u32 v59, vcc_lo, s4, v55
	s_lshl_b32 s11, s3, 3
	s_wait_alu 0xfffd
	v_add_co_ci_u32_e64 v60, null, s5, v56, vcc_lo
	v_add_co_u32 v55, vcc_lo, s6, v55
	s_wait_alu 0xfffe
	v_add_nc_u32_e32 v0, s11, v0
	s_wait_alu 0xfffd
	v_add_co_ci_u32_e64 v56, null, s7, v56, vcc_lo
	v_add_co_u32 v63, vcc_lo, s4, v61
	s_wait_alu 0xfffd
	v_add_co_ci_u32_e64 v64, null, s5, v62, vcc_lo
	global_load_b32 v73, v[57:58], off
	global_load_b32 v74, v[59:60], off
	global_load_b32 v75, v[55:56], off
	global_load_b32 v76, v[63:64], off
	v_lshlrev_b64_e32 v[55:56], 2, v[0:1]
	v_add_nc_u32_e32 v0, s13, v0
	v_add_co_u32 v57, vcc_lo, s6, v61
	s_wait_alu 0xfffd
	v_add_co_ci_u32_e64 v58, null, s7, v62, vcc_lo
	s_delay_alu instid0(VALU_DEP_3)
	v_lshlrev_b64_e32 v[61:62], 2, v[0:1]
	v_add_co_u32 v59, vcc_lo, s4, v55
	s_wait_alu 0xfffd
	v_add_co_ci_u32_e64 v60, null, s5, v56, vcc_lo
	v_add_co_u32 v55, vcc_lo, s6, v55
	v_add_nc_u32_e32 v0, s12, v0
	s_wait_alu 0xfffd
	v_add_co_ci_u32_e64 v56, null, s7, v56, vcc_lo
	v_add_co_u32 v63, vcc_lo, s4, v61
	s_wait_alu 0xfffd
	v_add_co_ci_u32_e64 v64, null, s5, v62, vcc_lo
	global_load_b32 v77, v[57:58], off
	global_load_b32 v78, v[59:60], off
	;; [unrolled: 1-line block ×4, first 2 shown]
	v_lshlrev_b64_e32 v[55:56], 2, v[0:1]
	v_add_co_u32 v57, vcc_lo, s6, v61
	s_wait_alu 0xfffd
	v_add_co_ci_u32_e64 v58, null, s7, v62, vcc_lo
	v_add_nc_u32_e32 v0, s13, v0
	s_delay_alu instid0(VALU_DEP_4)
	v_add_co_u32 v59, vcc_lo, s4, v55
	s_wait_alu 0xfffd
	v_add_co_ci_u32_e64 v60, null, s5, v56, vcc_lo
	v_add_co_u32 v55, vcc_lo, s6, v55
	s_wait_alu 0xfffd
	v_add_co_ci_u32_e64 v56, null, s7, v56, vcc_lo
	global_load_b32 v81, v[57:58], off
	s_mul_i32 s12, s3, 10
	global_load_b32 v82, v[59:60], off
	global_load_b32 v83, v[55:56], off
	v_lshlrev_b64_e32 v[57:58], 2, v[0:1]
	s_wait_alu 0xfffe
	v_add_nc_u32_e32 v0, s12, v0
	s_delay_alu instid0(VALU_DEP_2) | instskip(SKIP_1) | instid1(VALU_DEP_3)
	v_add_co_u32 v55, vcc_lo, s4, v57
	s_wait_alu 0xfffd
	v_add_co_ci_u32_e64 v56, null, s5, v58, vcc_lo
	v_add_co_u32 v57, vcc_lo, s6, v57
	s_wait_alu 0xfffd
	v_add_co_ci_u32_e64 v58, null, s7, v58, vcc_lo
	global_load_b32 v84, v[55:56], off
	v_lshlrev_b64_e32 v[59:60], 2, v[0:1]
	s_wait_loadcnt 0x3b
	v_sub_f32_e32 v6, v8, v13
	v_mad_co_u64_u32 v[61:62], null, s3, 15, v[0:1]
	s_wait_loadcnt 0x39
	v_sub_f32_e32 v7, v11, v14
	v_add_co_u32 v63, vcc_lo, s4, v59
	s_wait_alu 0xfffd
	v_add_co_ci_u32_e64 v64, null, s5, v60, vcc_lo
	global_load_b32 v85, v[57:58], off
	global_load_b32 v86, v[63:64], off
	v_sub_f32_e32 v4, v4, v6
	v_add_co_u32 v59, vcc_lo, s6, v59
	v_add_nc_u32_e32 v0, s12, v61
	s_wait_alu 0xfffd
	v_add_co_ci_u32_e64 v60, null, s7, v60, vcc_lo
	v_add_f32_e32 v4, v4, v7
	s_wait_loadcnt 0x39
	v_dual_add_f32 v2, v2, v6 :: v_dual_sub_f32 v7, v12, v17
	s_wait_loadcnt 0x37
	s_delay_alu instid0(VALU_DEP_1) | instskip(NEXT) | instid1(VALU_DEP_1)
	v_dual_sub_f32 v4, v4, v7 :: v_dual_sub_f32 v7, v15, v18
	v_add_f32_e32 v4, v4, v7
	s_delay_alu instid0(VALU_DEP_3) | instskip(SKIP_2) | instid1(VALU_DEP_1)
	v_sub_f32_e32 v2, v2, v7
	s_wait_loadcnt 0x35
	v_sub_f32_e32 v8, v16, v21
	v_add_f32_e32 v4, v4, v8
	s_wait_loadcnt 0x33
	v_sub_f32_e32 v8, v19, v22
	s_delay_alu instid0(VALU_DEP_1) | instskip(SKIP_2) | instid1(VALU_DEP_1)
	v_add_f32_e32 v4, v4, v8
	s_wait_loadcnt 0x31
	v_sub_f32_e32 v8, v20, v25
	v_add_f32_e32 v4, v4, v8
	s_wait_loadcnt 0x2f
	v_sub_f32_e32 v8, v23, v26
	s_delay_alu instid0(VALU_DEP_1) | instskip(SKIP_2) | instid1(VALU_DEP_1)
	v_add_f32_e32 v4, v4, v8
	s_wait_loadcnt 0x2d
	v_sub_f32_e32 v8, v24, v29
	v_add_f32_e32 v4, v4, v8
	s_wait_loadcnt 0x2b
	v_sub_f32_e32 v8, v27, v30
	s_delay_alu instid0(VALU_DEP_1) | instskip(SKIP_2) | instid1(VALU_DEP_1)
	v_sub_f32_e32 v4, v4, v8
	s_wait_loadcnt 0x29
	v_sub_f32_e32 v8, v28, v33
	v_add_f32_e32 v4, v4, v8
	s_wait_loadcnt 0x27
	v_sub_f32_e32 v8, v31, v34
	s_delay_alu instid0(VALU_DEP_1) | instskip(SKIP_2) | instid1(VALU_DEP_1)
	v_add_f32_e32 v4, v4, v8
	s_wait_loadcnt 0x25
	v_sub_f32_e32 v8, v32, v37
	v_add_f32_e32 v4, v4, v8
	s_wait_loadcnt 0x23
	v_sub_f32_e32 v8, v35, v38
	s_delay_alu instid0(VALU_DEP_1) | instskip(SKIP_3) | instid1(VALU_DEP_1)
	v_add_f32_e32 v4, v4, v8
	s_wait_loadcnt 0x21
	v_sub_f32_e32 v9, v36, v41
	s_wait_loadcnt 0x1f
	v_dual_add_f32 v4, v4, v9 :: v_dual_sub_f32 v9, v39, v42
	s_delay_alu instid0(VALU_DEP_1) | instskip(SKIP_2) | instid1(VALU_DEP_1)
	v_add_f32_e32 v4, v4, v9
	s_wait_loadcnt 0x1d
	v_sub_f32_e32 v9, v40, v45
	v_add_f32_e32 v4, v4, v9
	s_wait_loadcnt 0x1b
	v_sub_f32_e32 v9, v44, v46
	s_delay_alu instid0(VALU_DEP_1) | instskip(SKIP_1) | instid1(VALU_DEP_1)
	v_add_f32_e32 v4, v4, v9
	s_wait_loadcnt 0x19
	v_dual_add_f32 v4, v9, v4 :: v_dual_sub_f32 v9, v43, v50
	s_delay_alu instid0(VALU_DEP_1) | instskip(SKIP_1) | instid1(VALU_DEP_1)
	v_add_f32_e32 v4, v4, v9
	s_wait_loadcnt 0x17
	v_dual_add_f32 v4, v9, v4 :: v_dual_sub_f32 v9, v47, v49
	s_delay_alu instid0(VALU_DEP_1) | instskip(SKIP_2) | instid1(VALU_DEP_1)
	v_add_f32_e32 v4, v4, v9
	s_wait_loadcnt 0x15
	v_sub_f32_e32 v9, v48, v53
	v_add_f32_e32 v4, v4, v9
	s_wait_loadcnt 0x13
	v_sub_f32_e32 v9, v52, v54
	s_delay_alu instid0(VALU_DEP_1) | instskip(SKIP_1) | instid1(VALU_DEP_1)
	v_add_f32_e32 v4, v4, v9
	s_wait_loadcnt 0x11
	v_dual_add_f32 v4, v9, v4 :: v_dual_sub_f32 v9, v51, v69
	s_wait_loadcnt 0xf
	s_delay_alu instid0(VALU_DEP_1) | instskip(NEXT) | instid1(VALU_DEP_1)
	v_dual_add_f32 v4, v4, v9 :: v_dual_sub_f32 v9, v70, v71
	v_add_f32_e32 v4, v4, v9
	s_wait_loadcnt 0xd
	v_sub_f32_e32 v9, v72, v73
	s_wait_loadcnt 0xb
	s_delay_alu instid0(VALU_DEP_1) | instskip(NEXT) | instid1(VALU_DEP_1)
	v_dual_add_f32 v4, v4, v9 :: v_dual_sub_f32 v9, v74, v75
	v_add_f32_e32 v4, v4, v9
	s_wait_loadcnt 0x9
	v_sub_f32_e32 v9, v76, v77
	;; [unrolled: 6-line block ×3, first 2 shown]
	s_delay_alu instid0(VALU_DEP_1) | instskip(SKIP_3) | instid1(VALU_DEP_1)
	v_add_f32_e32 v3, v4, v3
	s_wait_loadcnt 0x3
	v_sub_f32_e32 v4, v82, v83
	s_wait_loadcnt 0x1
	v_dual_add_f32 v3, v3, v4 :: v_dual_sub_f32 v4, v84, v85
	s_delay_alu instid0(VALU_DEP_1) | instskip(NEXT) | instid1(VALU_DEP_1)
	v_dual_add_f32 v3, v3, v4 :: v_dual_mov_b32 v62, v1
	v_lshlrev_b64_e32 v[55:56], 2, v[61:62]
	s_delay_alu instid0(VALU_DEP_1) | instskip(SKIP_1) | instid1(VALU_DEP_2)
	v_add_co_u32 v61, vcc_lo, s4, v55
	s_wait_alu 0xfffd
	v_add_co_ci_u32_e64 v62, null, s5, v56, vcc_lo
	v_add_co_u32 v55, vcc_lo, s6, v55
	s_wait_alu 0xfffd
	v_add_co_ci_u32_e64 v56, null, s7, v56, vcc_lo
	global_load_b32 v87, v[59:60], off
	global_load_b32 v88, v[61:62], off
	global_load_b32 v89, v[55:56], off
	s_wait_loadcnt 0x2
	v_sub_f32_e32 v4, v86, v87
	s_wait_loadcnt 0x0
	s_delay_alu instid0(VALU_DEP_1) | instskip(NEXT) | instid1(VALU_DEP_1)
	v_dual_add_f32 v3, v3, v4 :: v_dual_sub_f32 v4, v88, v89
	v_add_f32_e32 v3, v3, v4
	v_mad_co_u64_u32 v[57:58], null, 0xffffff4e, s3, v[0:1]
	v_mov_b32_e32 v58, v1
	v_lshlrev_b64_e32 v[65:66], 2, v[0:1]
	s_delay_alu instid0(VALU_DEP_2) | instskip(SKIP_1) | instid1(VALU_DEP_3)
	v_mad_co_u64_u32 v[63:64], null, s3, 33, v[57:58]
	v_mov_b32_e32 v64, v1
	v_add_co_u32 v59, vcc_lo, s4, v65
	s_wait_alu 0xfffd
	s_delay_alu instid0(VALU_DEP_4) | instskip(NEXT) | instid1(VALU_DEP_3)
	v_add_co_ci_u32_e64 v60, null, s5, v66, vcc_lo
	v_lshlrev_b64_e32 v[55:56], 2, v[63:64]
	v_add_nc_u32_e32 v0, s11, v63
	s_delay_alu instid0(VALU_DEP_2) | instskip(SKIP_1) | instid1(VALU_DEP_3)
	v_add_co_u32 v61, vcc_lo, s4, v55
	s_wait_alu 0xfffd
	v_add_co_ci_u32_e64 v62, null, s5, v56, vcc_lo
	v_add_co_u32 v55, vcc_lo, s6, v55
	s_wait_alu 0xfffd
	v_add_co_ci_u32_e64 v56, null, s7, v56, vcc_lo
	;; [unrolled: 3-line block ×3, first 2 shown]
	v_lshlrev_b64_e32 v[65:66], 2, v[0:1]
	global_load_b32 v90, v[61:62], off
	global_load_b32 v91, v[55:56], off
	v_mad_co_u64_u32 v[55:56], null, 0x49, s3, v[0:1]
	v_mov_b32_e32 v56, v1
	v_add_co_u32 v61, vcc_lo, s4, v65
	s_wait_alu 0xfffd
	v_add_co_ci_u32_e64 v62, null, s5, v66, vcc_lo
	v_add_co_u32 v65, vcc_lo, s6, v65
	s_wait_alu 0xfffd
	v_add_co_ci_u32_e64 v66, null, s7, v66, vcc_lo
	v_lshlrev_b64_e32 v[67:68], 2, v[55:56]
	v_add_nc_u32_e32 v0, s10, v55
	global_load_b32 v92, v[61:62], off
	global_load_b32 v93, v[65:66], off
	v_add_co_u32 v61, vcc_lo, s4, v67
	v_lshlrev_b64_e32 v[65:66], 2, v[0:1]
	s_wait_alu 0xfffd
	v_add_co_ci_u32_e64 v62, null, s5, v68, vcc_lo
	v_add_co_u32 v55, vcc_lo, s6, v67
	s_wait_alu 0xfffd
	v_add_co_ci_u32_e64 v56, null, s7, v68, vcc_lo
	global_load_b32 v67, v[59:60], off
	global_load_b32 v63, v[63:64], off
	;; [unrolled: 1-line block ×4, first 2 shown]
	v_add_co_u32 v55, vcc_lo, s4, v65
	s_wait_alu 0xfffd
	v_add_co_ci_u32_e64 v56, null, s5, v66, vcc_lo
	v_add_co_u32 v59, vcc_lo, s6, v65
	s_wait_alu 0xfffd
	v_add_co_ci_u32_e64 v60, null, s7, v66, vcc_lo
	global_load_b32 v55, v[55:56], off
	global_load_b32 v56, v[59:60], off
	s_load_b64 s[4:5], s[8:9], 0x28
	s_wait_loadcnt 0x8
	v_sub_f32_e32 v5, v90, v91
	s_delay_alu instid0(VALU_DEP_1) | instskip(SKIP_2) | instid1(VALU_DEP_1)
	v_add_f32_e32 v2, v2, v5
	s_wait_loadcnt 0x6
	v_sub_f32_e32 v5, v92, v93
	v_add_f32_e32 v2, v2, v5
	s_delay_alu instid0(VALU_DEP_1) | instskip(SKIP_2) | instid1(VALU_DEP_1)
	v_sub_f32_e32 v2, v2, v8
	s_wait_loadcnt 0x2
	v_dual_sub_f32 v4, v67, v63 :: v_dual_sub_f32 v5, v61, v62
	v_dual_add_f32 v4, v3, v4 :: v_dual_add_f32 v5, v2, v5
	v_mad_co_u64_u32 v[2:3], null, 0xffffff8a, s3, v[0:1]
	v_mov_b32_e32 v3, v1
	v_lshlrev_b64_e32 v[0:1], 2, v[57:58]
	s_wait_kmcnt 0x0
	v_mul_f32_e32 v4, s2, v4
	s_wait_loadcnt 0x0
	v_sub_f32_e32 v6, v55, v56
	v_lshlrev_b64_e32 v[2:3], 2, v[2:3]
	v_add_co_u32 v0, vcc_lo, s0, v0
	s_delay_alu instid0(VALU_DEP_3) | instskip(SKIP_2) | instid1(VALU_DEP_4)
	v_add_f32_e32 v5, v5, v6
	s_wait_alu 0xfffd
	v_add_co_ci_u32_e64 v1, null, s1, v1, vcc_lo
	v_add_co_u32 v2, vcc_lo, s0, v2
	s_delay_alu instid0(VALU_DEP_3) | instskip(SKIP_2) | instid1(VALU_DEP_2)
	v_dual_mul_f32 v5, s2, v5 :: v_dual_mul_f32 v4, s4, v4
	s_wait_alu 0xfffd
	v_add_co_ci_u32_e64 v3, null, s1, v3, vcc_lo
	v_mul_f32_e32 v5, s5, v5
	s_clause 0x1
	global_store_b32 v[0:1], v4, off
	global_store_b32 v[2:3], v5, off
	s_endpgm
	.section	.rodata,"a",@progbits
	.p2align	6, 0x0
	.amdhsa_kernel _Z14rdwdot6_kernelIfEvPKT_S2_PS0_S0_S2_
		.amdhsa_group_segment_fixed_size 0
		.amdhsa_private_segment_fixed_size 0
		.amdhsa_kernarg_size 296
		.amdhsa_user_sgpr_count 2
		.amdhsa_user_sgpr_dispatch_ptr 0
		.amdhsa_user_sgpr_queue_ptr 0
		.amdhsa_user_sgpr_kernarg_segment_ptr 1
		.amdhsa_user_sgpr_dispatch_id 0
		.amdhsa_user_sgpr_private_segment_size 0
		.amdhsa_wavefront_size32 1
		.amdhsa_uses_dynamic_stack 0
		.amdhsa_enable_private_segment 0
		.amdhsa_system_sgpr_workgroup_id_x 1
		.amdhsa_system_sgpr_workgroup_id_y 0
		.amdhsa_system_sgpr_workgroup_id_z 0
		.amdhsa_system_sgpr_workgroup_info 0
		.amdhsa_system_vgpr_workitem_id 0
		.amdhsa_next_free_vgpr 94
		.amdhsa_next_free_sgpr 14
		.amdhsa_reserve_vcc 1
		.amdhsa_float_round_mode_32 0
		.amdhsa_float_round_mode_16_64 0
		.amdhsa_float_denorm_mode_32 3
		.amdhsa_float_denorm_mode_16_64 3
		.amdhsa_fp16_overflow 0
		.amdhsa_workgroup_processor_mode 1
		.amdhsa_memory_ordered 1
		.amdhsa_forward_progress 1
		.amdhsa_inst_pref_size 32
		.amdhsa_round_robin_scheduling 0
		.amdhsa_exception_fp_ieee_invalid_op 0
		.amdhsa_exception_fp_denorm_src 0
		.amdhsa_exception_fp_ieee_div_zero 0
		.amdhsa_exception_fp_ieee_overflow 0
		.amdhsa_exception_fp_ieee_underflow 0
		.amdhsa_exception_fp_ieee_inexact 0
		.amdhsa_exception_int_div_zero 0
	.end_amdhsa_kernel
	.section	.text._Z14rdwdot6_kernelIfEvPKT_S2_PS0_S0_S2_,"axG",@progbits,_Z14rdwdot6_kernelIfEvPKT_S2_PS0_S0_S2_,comdat
.Lfunc_end22:
	.size	_Z14rdwdot6_kernelIfEvPKT_S2_PS0_S0_S2_, .Lfunc_end22-_Z14rdwdot6_kernelIfEvPKT_S2_PS0_S0_S2_
                                        ; -- End function
	.set _Z14rdwdot6_kernelIfEvPKT_S2_PS0_S0_S2_.num_vgpr, 94
	.set _Z14rdwdot6_kernelIfEvPKT_S2_PS0_S0_S2_.num_agpr, 0
	.set _Z14rdwdot6_kernelIfEvPKT_S2_PS0_S0_S2_.numbered_sgpr, 14
	.set _Z14rdwdot6_kernelIfEvPKT_S2_PS0_S0_S2_.num_named_barrier, 0
	.set _Z14rdwdot6_kernelIfEvPKT_S2_PS0_S0_S2_.private_seg_size, 0
	.set _Z14rdwdot6_kernelIfEvPKT_S2_PS0_S0_S2_.uses_vcc, 1
	.set _Z14rdwdot6_kernelIfEvPKT_S2_PS0_S0_S2_.uses_flat_scratch, 0
	.set _Z14rdwdot6_kernelIfEvPKT_S2_PS0_S0_S2_.has_dyn_sized_stack, 0
	.set _Z14rdwdot6_kernelIfEvPKT_S2_PS0_S0_S2_.has_recursion, 0
	.set _Z14rdwdot6_kernelIfEvPKT_S2_PS0_S0_S2_.has_indirect_call, 0
	.section	.AMDGPU.csdata,"",@progbits
; Kernel info:
; codeLenInByte = 4052
; TotalNumSgprs: 16
; NumVgprs: 94
; ScratchSize: 0
; MemoryBound: 0
; FloatMode: 240
; IeeeMode: 1
; LDSByteSize: 0 bytes/workgroup (compile time only)
; SGPRBlocks: 0
; VGPRBlocks: 11
; NumSGPRsForWavesPerEU: 16
; NumVGPRsForWavesPerEU: 94
; Occupancy: 16
; WaveLimiterHint : 0
; COMPUTE_PGM_RSRC2:SCRATCH_EN: 0
; COMPUTE_PGM_RSRC2:USER_SGPR: 2
; COMPUTE_PGM_RSRC2:TRAP_HANDLER: 0
; COMPUTE_PGM_RSRC2:TGID_X_EN: 1
; COMPUTE_PGM_RSRC2:TGID_Y_EN: 0
; COMPUTE_PGM_RSRC2:TGID_Z_EN: 0
; COMPUTE_PGM_RSRC2:TIDIG_COMP_CNT: 0
	.section	.text._Z14rdwdot7_kernelIfEvPKT_S2_PS0_S0_S2_,"axG",@progbits,_Z14rdwdot7_kernelIfEvPKT_S2_PS0_S0_S2_,comdat
	.protected	_Z14rdwdot7_kernelIfEvPKT_S2_PS0_S0_S2_ ; -- Begin function _Z14rdwdot7_kernelIfEvPKT_S2_PS0_S0_S2_
	.globl	_Z14rdwdot7_kernelIfEvPKT_S2_PS0_S0_S2_
	.p2align	8
	.type	_Z14rdwdot7_kernelIfEvPKT_S2_PS0_S0_S2_,@function
_Z14rdwdot7_kernelIfEvPKT_S2_PS0_S0_S2_: ; @_Z14rdwdot7_kernelIfEvPKT_S2_PS0_S0_S2_
; %bb.0:
	s_clause 0x3
	s_load_b128 s[4:7], s[0:1], 0x0
	s_load_b96 s[8:10], s[0:1], 0x10
	s_load_b96 s[12:14], s[0:1], 0x20
	s_load_b32 s0, s[0:1], 0x34
	v_mov_b32_e32 v1, 0
	s_wait_kmcnt 0x0
	s_and_b32 s0, s0, 0xffff
	s_delay_alu instid0(SALU_CYCLE_1)
	s_mul_i32 s2, s14, s0
	s_mul_i32 s0, ttmp9, s0
	s_mul_i32 s1, s2, 47
	s_mul_i32 s3, s2, 7
	v_add3_u32 v0, s1, s0, v0
	s_lshl_b32 s0, s2, 1
	s_mul_i32 s1, s2, 5
	s_lshl_b32 s11, s2, 3
	s_delay_alu instid0(VALU_DEP_1) | instskip(NEXT) | instid1(VALU_DEP_1)
	v_lshlrev_b64_e32 v[2:3], 2, v[0:1]
	v_add_co_u32 v4, vcc_lo, s4, v2
	s_delay_alu instid0(VALU_DEP_1)
	v_add_co_ci_u32_e64 v5, null, s5, v3, vcc_lo
	v_add_co_u32 v2, vcc_lo, s6, v2
	s_wait_alu 0xfffd
	v_add_co_ci_u32_e64 v3, null, s7, v3, vcc_lo
	global_load_b32 v4, v[4:5], off
	global_load_b32 v2, v[2:3], off
	s_wait_loadcnt 0x0
	v_sub_f32_e32 v6, v4, v2
	v_add_nc_u32_e32 v0, s2, v0
	s_delay_alu instid0(VALU_DEP_1) | instskip(NEXT) | instid1(VALU_DEP_1)
	v_lshlrev_b64_e32 v[2:3], 2, v[0:1]
	v_add_co_u32 v4, vcc_lo, s4, v2
	s_wait_alu 0xfffd
	s_delay_alu instid0(VALU_DEP_2)
	v_add_co_ci_u32_e64 v5, null, s5, v3, vcc_lo
	v_add_co_u32 v2, vcc_lo, s6, v2
	s_wait_alu 0xfffd
	v_add_co_ci_u32_e64 v3, null, s7, v3, vcc_lo
	global_load_b32 v4, v[4:5], off
	global_load_b32 v2, v[2:3], off
	s_wait_loadcnt 0x0
	v_sub_f32_e32 v2, v4, v2
	s_delay_alu instid0(VALU_DEP_1) | instskip(SKIP_2) | instid1(VALU_DEP_1)
	v_add_f32_e32 v7, v6, v2
	v_mad_co_u64_u32 v[2:3], null, s2, 15, v[0:1]
	v_mov_b32_e32 v3, v1
	v_lshlrev_b64_e32 v[3:4], 2, v[2:3]
	s_delay_alu instid0(VALU_DEP_1) | instskip(SKIP_1) | instid1(VALU_DEP_2)
	v_add_co_u32 v5, vcc_lo, s4, v3
	s_wait_alu 0xfffd
	v_add_co_ci_u32_e64 v6, null, s5, v4, vcc_lo
	v_add_co_u32 v3, vcc_lo, s6, v3
	s_wait_alu 0xfffd
	v_add_co_ci_u32_e64 v4, null, s7, v4, vcc_lo
	global_load_b32 v0, v[5:6], off
	global_load_b32 v3, v[3:4], off
	s_wait_loadcnt 0x0
	v_sub_f32_e32 v0, v0, v3
	v_mad_co_u64_u32 v[3:4], null, s2, 14, v[2:3]
	s_delay_alu instid0(VALU_DEP_2) | instskip(SKIP_1) | instid1(VALU_DEP_1)
	v_add_f32_e32 v0, v7, v0
	v_mov_b32_e32 v4, v1
	v_lshlrev_b64_e32 v[4:5], 2, v[3:4]
	s_delay_alu instid0(VALU_DEP_1) | instskip(SKIP_1) | instid1(VALU_DEP_2)
	v_add_co_u32 v6, vcc_lo, s4, v4
	s_wait_alu 0xfffd
	v_add_co_ci_u32_e64 v7, null, s5, v5, vcc_lo
	v_add_co_u32 v4, vcc_lo, s6, v4
	s_wait_alu 0xfffd
	v_add_co_ci_u32_e64 v5, null, s7, v5, vcc_lo
	global_load_b32 v2, v[6:7], off
	global_load_b32 v4, v[4:5], off
	s_wait_loadcnt 0x0
	v_sub_f32_e32 v2, v2, v4
	s_delay_alu instid0(VALU_DEP_1) | instskip(NEXT) | instid1(VALU_DEP_1)
	v_dual_sub_f32 v7, v0, v2 :: v_dual_add_nc_u32 v0, s2, v3
	v_lshlrev_b64_e32 v[3:4], 2, v[0:1]
	v_add_nc_u32_e32 v0, s2, v0
	s_delay_alu instid0(VALU_DEP_2) | instskip(SKIP_1) | instid1(VALU_DEP_3)
	v_add_co_u32 v5, vcc_lo, s4, v3
	s_wait_alu 0xfffd
	v_add_co_ci_u32_e64 v6, null, s5, v4, vcc_lo
	v_add_co_u32 v3, vcc_lo, s6, v3
	s_wait_alu 0xfffd
	v_add_co_ci_u32_e64 v4, null, s7, v4, vcc_lo
	global_load_b32 v5, v[5:6], off
	global_load_b32 v3, v[3:4], off
	s_wait_loadcnt 0x0
	v_sub_f32_e32 v3, v5, v3
	s_delay_alu instid0(VALU_DEP_1) | instskip(SKIP_1) | instid1(VALU_DEP_1)
	v_sub_f32_e32 v7, v7, v3
	v_lshlrev_b64_e32 v[3:4], 2, v[0:1]
	v_add_co_u32 v5, vcc_lo, s4, v3
	s_wait_alu 0xfffd
	s_delay_alu instid0(VALU_DEP_2)
	v_add_co_ci_u32_e64 v6, null, s5, v4, vcc_lo
	v_add_co_u32 v3, vcc_lo, s6, v3
	s_wait_alu 0xfffd
	v_add_co_ci_u32_e64 v4, null, s7, v4, vcc_lo
	global_load_b32 v5, v[5:6], off
	global_load_b32 v3, v[3:4], off
	s_wait_loadcnt 0x0
	v_dual_sub_f32 v3, v5, v3 :: v_dual_add_nc_u32 v0, s2, v0
	s_delay_alu instid0(VALU_DEP_1) | instskip(NEXT) | instid1(VALU_DEP_2)
	v_sub_f32_e32 v7, v7, v3
	v_lshlrev_b64_e32 v[3:4], 2, v[0:1]
	v_add_nc_u32_e32 v0, s2, v0
	s_delay_alu instid0(VALU_DEP_2) | instskip(SKIP_1) | instid1(VALU_DEP_3)
	v_add_co_u32 v5, vcc_lo, s4, v3
	s_wait_alu 0xfffd
	v_add_co_ci_u32_e64 v6, null, s5, v4, vcc_lo
	v_add_co_u32 v3, vcc_lo, s6, v3
	s_wait_alu 0xfffd
	v_add_co_ci_u32_e64 v4, null, s7, v4, vcc_lo
	global_load_b32 v5, v[5:6], off
	global_load_b32 v3, v[3:4], off
	s_wait_loadcnt 0x0
	v_sub_f32_e32 v3, v5, v3
	s_delay_alu instid0(VALU_DEP_1) | instskip(SKIP_2) | instid1(VALU_DEP_2)
	v_sub_f32_e32 v7, v7, v3
	v_lshlrev_b64_e32 v[3:4], 2, v[0:1]
	v_add_nc_u32_e32 v0, s2, v0
	v_add_co_u32 v5, vcc_lo, s4, v3
	s_wait_alu 0xfffd
	s_delay_alu instid0(VALU_DEP_3)
	v_add_co_ci_u32_e64 v6, null, s5, v4, vcc_lo
	v_add_co_u32 v3, vcc_lo, s6, v3
	s_wait_alu 0xfffd
	v_add_co_ci_u32_e64 v4, null, s7, v4, vcc_lo
	global_load_b32 v5, v[5:6], off
	global_load_b32 v3, v[3:4], off
	s_wait_loadcnt 0x0
	v_sub_f32_e32 v3, v5, v3
	s_delay_alu instid0(VALU_DEP_1) | instskip(SKIP_2) | instid1(VALU_DEP_2)
	v_sub_f32_e32 v7, v7, v3
	v_lshlrev_b64_e32 v[3:4], 2, v[0:1]
	v_add_nc_u32_e32 v0, s2, v0
	v_add_co_u32 v5, vcc_lo, s4, v3
	s_wait_alu 0xfffd
	s_delay_alu instid0(VALU_DEP_3)
	;; [unrolled: 15-line block ×3, first 2 shown]
	v_add_co_ci_u32_e64 v6, null, s5, v4, vcc_lo
	v_add_co_u32 v3, vcc_lo, s6, v3
	s_wait_alu 0xfffd
	v_add_co_ci_u32_e64 v4, null, s7, v4, vcc_lo
	global_load_b32 v5, v[5:6], off
	global_load_b32 v3, v[3:4], off
	s_wait_loadcnt 0x0
	v_sub_f32_e32 v3, v5, v3
	v_lshlrev_b64_e32 v[4:5], 2, v[0:1]
	v_add_nc_u32_e32 v0, s2, v0
	s_delay_alu instid0(VALU_DEP_3) | instskip(NEXT) | instid1(VALU_DEP_3)
	v_sub_f32_e32 v8, v7, v3
	v_add_co_u32 v6, vcc_lo, s4, v4
	s_wait_alu 0xfffd
	s_delay_alu instid0(VALU_DEP_4)
	v_add_co_ci_u32_e64 v7, null, s5, v5, vcc_lo
	v_add_co_u32 v4, vcc_lo, s6, v4
	s_wait_alu 0xfffd
	v_add_co_ci_u32_e64 v5, null, s7, v5, vcc_lo
	global_load_b32 v6, v[6:7], off
	global_load_b32 v4, v[4:5], off
	s_wait_loadcnt 0x0
	v_sub_f32_e32 v4, v6, v4
	s_delay_alu instid0(VALU_DEP_1) | instskip(SKIP_2) | instid1(VALU_DEP_2)
	v_sub_f32_e32 v8, v8, v4
	v_lshlrev_b64_e32 v[4:5], 2, v[0:1]
	v_add_nc_u32_e32 v0, s2, v0
	v_add_co_u32 v6, vcc_lo, s4, v4
	s_wait_alu 0xfffd
	s_delay_alu instid0(VALU_DEP_3)
	v_add_co_ci_u32_e64 v7, null, s5, v5, vcc_lo
	v_add_co_u32 v4, vcc_lo, s6, v4
	s_wait_alu 0xfffd
	v_add_co_ci_u32_e64 v5, null, s7, v5, vcc_lo
	global_load_b32 v6, v[6:7], off
	global_load_b32 v4, v[4:5], off
	s_wait_loadcnt 0x0
	v_sub_f32_e32 v4, v6, v4
	v_lshlrev_b64_e32 v[5:6], 2, v[0:1]
	v_add_nc_u32_e32 v0, s2, v0
	s_delay_alu instid0(VALU_DEP_3) | instskip(NEXT) | instid1(VALU_DEP_3)
	v_sub_f32_e32 v9, v8, v4
	v_add_co_u32 v7, vcc_lo, s4, v5
	s_wait_alu 0xfffd
	s_delay_alu instid0(VALU_DEP_4)
	v_add_co_ci_u32_e64 v8, null, s5, v6, vcc_lo
	v_add_co_u32 v5, vcc_lo, s6, v5
	s_wait_alu 0xfffd
	v_add_co_ci_u32_e64 v6, null, s7, v6, vcc_lo
	global_load_b32 v7, v[7:8], off
	global_load_b32 v5, v[5:6], off
	s_wait_loadcnt 0x0
	v_sub_f32_e32 v5, v7, v5
	s_delay_alu instid0(VALU_DEP_1) | instskip(SKIP_2) | instid1(VALU_DEP_2)
	v_sub_f32_e32 v9, v9, v5
	v_lshlrev_b64_e32 v[5:6], 2, v[0:1]
	v_add_nc_u32_e32 v0, s2, v0
	v_add_co_u32 v7, vcc_lo, s4, v5
	s_wait_alu 0xfffd
	s_delay_alu instid0(VALU_DEP_3)
	v_add_co_ci_u32_e64 v8, null, s5, v6, vcc_lo
	v_add_co_u32 v5, vcc_lo, s6, v5
	s_wait_alu 0xfffd
	v_add_co_ci_u32_e64 v6, null, s7, v6, vcc_lo
	global_load_b32 v7, v[7:8], off
	global_load_b32 v5, v[5:6], off
	s_wait_loadcnt 0x0
	v_sub_f32_e32 v5, v7, v5
	v_lshlrev_b64_e32 v[6:7], 2, v[0:1]
	v_add_nc_u32_e32 v0, s2, v0
	s_delay_alu instid0(VALU_DEP_3) | instskip(NEXT) | instid1(VALU_DEP_3)
	v_sub_f32_e32 v10, v9, v5
	v_add_co_u32 v8, vcc_lo, s4, v6
	s_wait_alu 0xfffd
	s_delay_alu instid0(VALU_DEP_4)
	v_add_co_ci_u32_e64 v9, null, s5, v7, vcc_lo
	v_add_co_u32 v6, vcc_lo, s6, v6
	s_wait_alu 0xfffd
	v_add_co_ci_u32_e64 v7, null, s7, v7, vcc_lo
	global_load_b32 v8, v[8:9], off
	global_load_b32 v6, v[6:7], off
	s_wait_loadcnt 0x0
	v_sub_f32_e32 v6, v8, v6
	s_delay_alu instid0(VALU_DEP_1) | instskip(SKIP_2) | instid1(VALU_DEP_2)
	v_sub_f32_e32 v10, v10, v6
	v_lshlrev_b64_e32 v[6:7], 2, v[0:1]
	v_add_nc_u32_e32 v0, s2, v0
	v_add_co_u32 v8, vcc_lo, s4, v6
	s_wait_alu 0xfffd
	s_delay_alu instid0(VALU_DEP_3)
	v_add_co_ci_u32_e64 v9, null, s5, v7, vcc_lo
	v_add_co_u32 v6, vcc_lo, s6, v6
	s_wait_alu 0xfffd
	v_add_co_ci_u32_e64 v7, null, s7, v7, vcc_lo
	global_load_b32 v8, v[8:9], off
	global_load_b32 v6, v[6:7], off
	s_wait_loadcnt 0x0
	v_sub_f32_e32 v6, v8, v6
	v_lshlrev_b64_e32 v[7:8], 2, v[0:1]
	s_delay_alu instid0(VALU_DEP_2) | instskip(NEXT) | instid1(VALU_DEP_2)
	v_dual_sub_f32 v11, v10, v6 :: v_dual_add_nc_u32 v0, s2, v0
	v_add_co_u32 v9, vcc_lo, s4, v7
	s_wait_alu 0xfffd
	s_delay_alu instid0(VALU_DEP_3)
	v_add_co_ci_u32_e64 v10, null, s5, v8, vcc_lo
	v_add_co_u32 v7, vcc_lo, s6, v7
	s_wait_alu 0xfffd
	v_add_co_ci_u32_e64 v8, null, s7, v8, vcc_lo
	global_load_b32 v9, v[9:10], off
	global_load_b32 v7, v[7:8], off
	s_wait_loadcnt 0x0
	v_sub_f32_e32 v7, v9, v7
	s_delay_alu instid0(VALU_DEP_1) | instskip(SKIP_2) | instid1(VALU_DEP_2)
	v_sub_f32_e32 v11, v11, v7
	v_lshlrev_b64_e32 v[7:8], 2, v[0:1]
	v_add_nc_u32_e32 v0, s2, v0
	v_add_co_u32 v9, vcc_lo, s4, v7
	s_wait_alu 0xfffd
	s_delay_alu instid0(VALU_DEP_3)
	v_add_co_ci_u32_e64 v10, null, s5, v8, vcc_lo
	v_add_co_u32 v7, vcc_lo, s6, v7
	s_wait_alu 0xfffd
	v_add_co_ci_u32_e64 v8, null, s7, v8, vcc_lo
	global_load_b32 v9, v[9:10], off
	global_load_b32 v7, v[7:8], off
	s_wait_loadcnt 0x0
	v_sub_f32_e32 v7, v9, v7
	s_delay_alu instid0(VALU_DEP_1) | instskip(SKIP_2) | instid1(VALU_DEP_2)
	v_sub_f32_e32 v11, v11, v7
	v_lshlrev_b64_e32 v[7:8], 2, v[0:1]
	v_add_nc_u32_e32 v0, s2, v0
	v_add_co_u32 v9, vcc_lo, s4, v7
	s_wait_alu 0xfffd
	s_delay_alu instid0(VALU_DEP_3)
	v_add_co_ci_u32_e64 v10, null, s5, v8, vcc_lo
	v_add_co_u32 v7, vcc_lo, s6, v7
	s_wait_alu 0xfffd
	v_add_co_ci_u32_e64 v8, null, s7, v8, vcc_lo
	global_load_b32 v9, v[9:10], off
	global_load_b32 v7, v[7:8], off
	s_wait_loadcnt 0x0
	v_sub_f32_e32 v7, v9, v7
	s_delay_alu instid0(VALU_DEP_1) | instskip(NEXT) | instid1(VALU_DEP_1)
	v_sub_f32_e32 v8, v11, v7
	v_sub_f32_e32 v11, v8, v7
	v_lshlrev_b64_e32 v[7:8], 2, v[0:1]
	v_add_nc_u32_e32 v0, s2, v0
	s_delay_alu instid0(VALU_DEP_2) | instskip(SKIP_1) | instid1(VALU_DEP_3)
	v_add_co_u32 v9, vcc_lo, s4, v7
	s_wait_alu 0xfffd
	v_add_co_ci_u32_e64 v10, null, s5, v8, vcc_lo
	v_add_co_u32 v7, vcc_lo, s6, v7
	s_wait_alu 0xfffd
	v_add_co_ci_u32_e64 v8, null, s7, v8, vcc_lo
	global_load_b32 v9, v[9:10], off
	global_load_b32 v7, v[7:8], off
	s_wait_loadcnt 0x0
	v_sub_f32_e32 v7, v9, v7
	s_delay_alu instid0(VALU_DEP_1) | instskip(NEXT) | instid1(VALU_DEP_1)
	v_sub_f32_e32 v8, v11, v7
	v_sub_f32_e32 v11, v8, v7
	v_lshlrev_b64_e32 v[7:8], 2, v[0:1]
	s_wait_alu 0xfffe
	v_add_nc_u32_e32 v0, s0, v0
	s_delay_alu instid0(VALU_DEP_2) | instskip(SKIP_1) | instid1(VALU_DEP_3)
	v_add_co_u32 v9, vcc_lo, s4, v7
	s_wait_alu 0xfffd
	v_add_co_ci_u32_e64 v10, null, s5, v8, vcc_lo
	v_add_co_u32 v7, vcc_lo, s6, v7
	s_wait_alu 0xfffd
	v_add_co_ci_u32_e64 v8, null, s7, v8, vcc_lo
	global_load_b32 v9, v[9:10], off
	global_load_b32 v7, v[7:8], off
	s_wait_loadcnt 0x0
	v_sub_f32_e32 v7, v9, v7
	s_delay_alu instid0(VALU_DEP_1) | instskip(SKIP_2) | instid1(VALU_DEP_2)
	v_sub_f32_e32 v11, v11, v7
	v_lshlrev_b64_e32 v[7:8], 2, v[0:1]
	v_add_nc_u32_e32 v0, s1, v0
	v_add_co_u32 v9, vcc_lo, s4, v7
	s_wait_alu 0xfffd
	s_delay_alu instid0(VALU_DEP_3)
	v_add_co_ci_u32_e64 v10, null, s5, v8, vcc_lo
	v_add_co_u32 v7, vcc_lo, s6, v7
	s_wait_alu 0xfffd
	v_add_co_ci_u32_e64 v8, null, s7, v8, vcc_lo
	global_load_b32 v9, v[9:10], off
	global_load_b32 v7, v[7:8], off
	s_wait_loadcnt 0x0
	v_sub_f32_e32 v7, v9, v7
	s_delay_alu instid0(VALU_DEP_1) | instskip(SKIP_2) | instid1(VALU_DEP_2)
	v_add_f32_e32 v11, v11, v7
	v_lshlrev_b64_e32 v[7:8], 2, v[0:1]
	v_add_nc_u32_e32 v0, s2, v0
	v_add_co_u32 v9, vcc_lo, s4, v7
	s_wait_alu 0xfffd
	s_delay_alu instid0(VALU_DEP_3)
	v_add_co_ci_u32_e64 v10, null, s5, v8, vcc_lo
	v_add_co_u32 v7, vcc_lo, s6, v7
	s_wait_alu 0xfffd
	v_add_co_ci_u32_e64 v8, null, s7, v8, vcc_lo
	global_load_b32 v9, v[9:10], off
	global_load_b32 v7, v[7:8], off
	s_wait_loadcnt 0x0
	v_sub_f32_e32 v7, v9, v7
	v_lshlrev_b64_e32 v[8:9], 2, v[0:1]
	v_add_nc_u32_e32 v0, s2, v0
	s_delay_alu instid0(VALU_DEP_3) | instskip(NEXT) | instid1(VALU_DEP_3)
	v_add_f32_e32 v12, v11, v7
	v_add_co_u32 v10, vcc_lo, s4, v8
	s_wait_alu 0xfffd
	s_delay_alu instid0(VALU_DEP_4)
	v_add_co_ci_u32_e64 v11, null, s5, v9, vcc_lo
	v_add_co_u32 v8, vcc_lo, s6, v8
	s_wait_alu 0xfffd
	v_add_co_ci_u32_e64 v9, null, s7, v9, vcc_lo
	global_load_b32 v10, v[10:11], off
	global_load_b32 v8, v[8:9], off
	s_wait_loadcnt 0x0
	v_sub_f32_e32 v8, v10, v8
	v_lshlrev_b64_e32 v[9:10], 2, v[0:1]
	v_add_nc_u32_e32 v0, s0, v0
	s_delay_alu instid0(VALU_DEP_3) | instskip(NEXT) | instid1(VALU_DEP_3)
	v_add_f32_e32 v13, v12, v8
	v_add_co_u32 v11, vcc_lo, s4, v9
	s_wait_alu 0xfffd
	s_delay_alu instid0(VALU_DEP_4)
	v_add_co_ci_u32_e64 v12, null, s5, v10, vcc_lo
	v_add_co_u32 v9, vcc_lo, s6, v9
	s_wait_alu 0xfffd
	v_add_co_ci_u32_e64 v10, null, s7, v10, vcc_lo
	global_load_b32 v11, v[11:12], off
	global_load_b32 v9, v[9:10], off
	s_wait_loadcnt 0x0
	v_sub_f32_e32 v10, v11, v9
	v_lshlrev_b64_e32 v[11:12], 2, v[0:1]
	s_delay_alu instid0(VALU_DEP_2) | instskip(NEXT) | instid1(VALU_DEP_2)
	v_dual_add_f32 v15, v13, v10 :: v_dual_add_nc_u32 v0, s2, v0
	v_add_co_u32 v13, vcc_lo, s4, v11
	s_wait_alu 0xfffd
	s_delay_alu instid0(VALU_DEP_3)
	v_add_co_ci_u32_e64 v14, null, s5, v12, vcc_lo
	v_add_co_u32 v11, vcc_lo, s6, v11
	s_wait_alu 0xfffd
	v_add_co_ci_u32_e64 v12, null, s7, v12, vcc_lo
	global_load_b32 v9, v[13:14], off
	global_load_b32 v11, v[11:12], off
	s_wait_loadcnt 0x0
	v_sub_f32_e32 v9, v9, v11
	s_delay_alu instid0(VALU_DEP_1) | instskip(NEXT) | instid1(VALU_DEP_1)
	v_add_f32_e32 v11, v15, v9
	v_add_f32_e32 v15, v9, v11
	v_lshlrev_b64_e32 v[11:12], 2, v[0:1]
	s_delay_alu instid0(VALU_DEP_1) | instskip(SKIP_1) | instid1(VALU_DEP_2)
	v_add_co_u32 v13, vcc_lo, s4, v11
	s_wait_alu 0xfffd
	v_add_co_ci_u32_e64 v14, null, s5, v12, vcc_lo
	v_add_co_u32 v11, vcc_lo, s6, v11
	s_wait_alu 0xfffd
	v_add_co_ci_u32_e64 v12, null, s7, v12, vcc_lo
	global_load_b32 v13, v[13:14], off
	global_load_b32 v11, v[11:12], off
	s_wait_loadcnt 0x0
	v_sub_f32_e32 v11, v13, v11
	s_delay_alu instid0(VALU_DEP_1) | instskip(NEXT) | instid1(VALU_DEP_1)
	v_add_f32_e32 v12, v15, v11
	v_add_f32_e32 v17, v11, v12
	v_mad_co_u64_u32 v[12:13], null, s2, 12, v[0:1]
	v_mov_b32_e32 v13, v1
	s_delay_alu instid0(VALU_DEP_1) | instskip(NEXT) | instid1(VALU_DEP_1)
	v_lshlrev_b64_e32 v[13:14], 2, v[12:13]
	v_add_co_u32 v15, vcc_lo, s4, v13
	s_wait_alu 0xfffd
	s_delay_alu instid0(VALU_DEP_2)
	v_add_co_ci_u32_e64 v16, null, s5, v14, vcc_lo
	v_add_co_u32 v13, vcc_lo, s6, v13
	s_wait_alu 0xfffd
	v_add_co_ci_u32_e64 v14, null, s7, v14, vcc_lo
	global_load_b32 v0, v[15:16], off
	global_load_b32 v13, v[13:14], off
	s_wait_loadcnt 0x0
	v_sub_f32_e32 v0, v0, v13
	s_delay_alu instid0(VALU_DEP_1) | instskip(SKIP_1) | instid1(VALU_DEP_1)
	v_add_f32_e32 v16, v17, v0
	v_add_nc_u32_e32 v0, s0, v12
	v_lshlrev_b64_e32 v[12:13], 2, v[0:1]
	v_add_nc_u32_e32 v0, s3, v0
	s_delay_alu instid0(VALU_DEP_2) | instskip(SKIP_1) | instid1(VALU_DEP_3)
	v_add_co_u32 v14, vcc_lo, s4, v12
	s_wait_alu 0xfffd
	v_add_co_ci_u32_e64 v15, null, s5, v13, vcc_lo
	v_add_co_u32 v12, vcc_lo, s6, v12
	s_wait_alu 0xfffd
	v_add_co_ci_u32_e64 v13, null, s7, v13, vcc_lo
	global_load_b32 v14, v[14:15], off
	global_load_b32 v12, v[12:13], off
	s_wait_loadcnt 0x0
	v_sub_f32_e32 v12, v14, v12
	s_delay_alu instid0(VALU_DEP_1) | instskip(SKIP_2) | instid1(VALU_DEP_2)
	v_sub_f32_e32 v16, v16, v12
	v_lshlrev_b64_e32 v[12:13], 2, v[0:1]
	v_add_nc_u32_e32 v0, s11, v0
	v_add_co_u32 v14, vcc_lo, s4, v12
	s_wait_alu 0xfffd
	s_delay_alu instid0(VALU_DEP_3)
	v_add_co_ci_u32_e64 v15, null, s5, v13, vcc_lo
	v_add_co_u32 v12, vcc_lo, s6, v12
	s_wait_alu 0xfffd
	v_add_co_ci_u32_e64 v13, null, s7, v13, vcc_lo
	global_load_b32 v14, v[14:15], off
	global_load_b32 v12, v[12:13], off
	s_wait_loadcnt 0x0
	v_sub_f32_e32 v12, v14, v12
	s_delay_alu instid0(VALU_DEP_1) | instskip(SKIP_3) | instid1(VALU_DEP_2)
	v_add_f32_e32 v16, v16, v12
	v_lshlrev_b64_e32 v[12:13], 2, v[0:1]
	v_add_nc_u32_e32 v0, s11, v0
	s_mul_i32 s11, s2, 6
	v_add_co_u32 v14, vcc_lo, s4, v12
	s_wait_alu 0xfffd
	s_delay_alu instid0(VALU_DEP_3)
	v_add_co_ci_u32_e64 v15, null, s5, v13, vcc_lo
	v_add_co_u32 v12, vcc_lo, s6, v12
	s_wait_alu 0xfffd
	v_add_co_ci_u32_e64 v13, null, s7, v13, vcc_lo
	global_load_b32 v14, v[14:15], off
	global_load_b32 v12, v[12:13], off
	s_wait_loadcnt 0x0
	v_sub_f32_e32 v12, v14, v12
	s_delay_alu instid0(VALU_DEP_1) | instskip(SKIP_2) | instid1(VALU_DEP_2)
	v_add_f32_e32 v16, v16, v12
	v_lshlrev_b64_e32 v[12:13], 2, v[0:1]
	v_add_nc_u32_e32 v0, s2, v0
	v_add_co_u32 v14, vcc_lo, s4, v12
	s_wait_alu 0xfffd
	s_delay_alu instid0(VALU_DEP_3)
	v_add_co_ci_u32_e64 v15, null, s5, v13, vcc_lo
	v_add_co_u32 v12, vcc_lo, s6, v12
	s_wait_alu 0xfffd
	v_add_co_ci_u32_e64 v13, null, s7, v13, vcc_lo
	global_load_b32 v14, v[14:15], off
	global_load_b32 v12, v[12:13], off
	s_wait_loadcnt 0x0
	v_sub_f32_e32 v14, v14, v12
	v_lshlrev_b64_e32 v[12:13], 2, v[0:1]
	s_delay_alu instid0(VALU_DEP_2) | instskip(NEXT) | instid1(VALU_DEP_2)
	v_dual_sub_f32 v17, v16, v14 :: v_dual_add_nc_u32 v0, s2, v0
	v_add_co_u32 v15, vcc_lo, s4, v12
	s_wait_alu 0xfffd
	s_delay_alu instid0(VALU_DEP_3)
	v_add_co_ci_u32_e64 v16, null, s5, v13, vcc_lo
	v_add_co_u32 v12, vcc_lo, s6, v12
	s_wait_alu 0xfffd
	v_add_co_ci_u32_e64 v13, null, s7, v13, vcc_lo
	global_load_b32 v15, v[15:16], off
	global_load_b32 v12, v[12:13], off
	s_wait_loadcnt 0x0
	v_sub_f32_e32 v12, v15, v12
	s_delay_alu instid0(VALU_DEP_1) | instskip(SKIP_2) | instid1(VALU_DEP_2)
	v_sub_f32_e32 v17, v17, v12
	v_lshlrev_b64_e32 v[12:13], 2, v[0:1]
	v_add_nc_u32_e32 v0, s2, v0
	v_add_co_u32 v15, vcc_lo, s4, v12
	s_wait_alu 0xfffd
	s_delay_alu instid0(VALU_DEP_3)
	v_add_co_ci_u32_e64 v16, null, s5, v13, vcc_lo
	v_add_co_u32 v12, vcc_lo, s6, v12
	s_wait_alu 0xfffd
	v_add_co_ci_u32_e64 v13, null, s7, v13, vcc_lo
	global_load_b32 v15, v[15:16], off
	global_load_b32 v12, v[12:13], off
	s_wait_loadcnt 0x0
	v_sub_f32_e32 v12, v15, v12
	s_delay_alu instid0(VALU_DEP_1) | instskip(SKIP_2) | instid1(VALU_DEP_2)
	v_sub_f32_e32 v17, v17, v12
	v_lshlrev_b64_e32 v[12:13], 2, v[0:1]
	v_add_nc_u32_e32 v0, s0, v0
	v_add_co_u32 v15, vcc_lo, s4, v12
	s_wait_alu 0xfffd
	s_delay_alu instid0(VALU_DEP_3)
	v_add_co_ci_u32_e64 v16, null, s5, v13, vcc_lo
	v_add_co_u32 v12, vcc_lo, s6, v12
	s_wait_alu 0xfffd
	v_add_co_ci_u32_e64 v13, null, s7, v13, vcc_lo
	global_load_b32 v15, v[15:16], off
	global_load_b32 v12, v[12:13], off
	s_wait_loadcnt 0x0
	v_sub_f32_e32 v12, v15, v12
	s_delay_alu instid0(VALU_DEP_1) | instskip(SKIP_1) | instid1(VALU_DEP_1)
	v_add_f32_e32 v17, v17, v12
	v_lshlrev_b64_e32 v[12:13], 2, v[0:1]
	v_add_co_u32 v15, vcc_lo, s4, v12
	s_wait_alu 0xfffd
	s_delay_alu instid0(VALU_DEP_2)
	v_add_co_ci_u32_e64 v16, null, s5, v13, vcc_lo
	v_add_co_u32 v12, vcc_lo, s6, v12
	s_wait_alu 0xfffd
	v_add_co_ci_u32_e64 v13, null, s7, v13, vcc_lo
	global_load_b32 v15, v[15:16], off
	global_load_b32 v12, v[12:13], off
	s_wait_loadcnt 0x0
	v_sub_f32_e32 v12, v15, v12
	s_delay_alu instid0(VALU_DEP_1) | instskip(SKIP_2) | instid1(VALU_DEP_1)
	v_add_f32_e32 v19, v17, v12
	v_mad_co_u64_u32 v[12:13], null, s2, 10, v[0:1]
	v_mov_b32_e32 v13, v1
	v_lshlrev_b64_e32 v[15:16], 2, v[12:13]
	s_delay_alu instid0(VALU_DEP_1) | instskip(SKIP_1) | instid1(VALU_DEP_2)
	v_add_co_u32 v17, vcc_lo, s4, v15
	s_wait_alu 0xfffd
	v_add_co_ci_u32_e64 v18, null, s5, v16, vcc_lo
	v_add_co_u32 v15, vcc_lo, s6, v15
	s_wait_alu 0xfffd
	v_add_co_ci_u32_e64 v16, null, s7, v16, vcc_lo
	global_load_b32 v0, v[17:18], off
	global_load_b32 v13, v[15:16], off
	s_wait_loadcnt 0x0
	v_sub_f32_e32 v0, v0, v13
	v_mad_co_u64_u32 v[12:13], null, s2, 9, v[12:13]
	s_delay_alu instid0(VALU_DEP_2) | instskip(NEXT) | instid1(VALU_DEP_1)
	v_dual_mov_b32 v13, v1 :: v_dual_add_f32 v0, v19, v0
	v_lshlrev_b64_e32 v[15:16], 2, v[12:13]
	s_delay_alu instid0(VALU_DEP_1) | instskip(SKIP_1) | instid1(VALU_DEP_2)
	v_add_co_u32 v17, vcc_lo, s4, v15
	s_wait_alu 0xfffd
	v_add_co_ci_u32_e64 v18, null, s5, v16, vcc_lo
	v_add_co_u32 v15, vcc_lo, s6, v15
	s_wait_alu 0xfffd
	v_add_co_ci_u32_e64 v16, null, s7, v16, vcc_lo
	global_load_b32 v13, v[17:18], off
	global_load_b32 v15, v[15:16], off
	s_wait_loadcnt 0x0
	v_sub_f32_e32 v15, v13, v15
	s_delay_alu instid0(VALU_DEP_1) | instskip(SKIP_1) | instid1(VALU_DEP_1)
	v_sub_f32_e32 v18, v0, v15
	v_add_nc_u32_e32 v0, s2, v12
	v_lshlrev_b64_e32 v[12:13], 2, v[0:1]
	s_delay_alu instid0(VALU_DEP_1) | instskip(SKIP_1) | instid1(VALU_DEP_2)
	v_add_co_u32 v16, vcc_lo, s4, v12
	s_wait_alu 0xfffd
	v_add_co_ci_u32_e64 v17, null, s5, v13, vcc_lo
	v_add_co_u32 v12, vcc_lo, s6, v12
	s_wait_alu 0xfffd
	v_add_co_ci_u32_e64 v13, null, s7, v13, vcc_lo
	global_load_b32 v16, v[16:17], off
	global_load_b32 v12, v[12:13], off
	s_wait_loadcnt 0x0
	v_sub_f32_e32 v12, v16, v12
	s_delay_alu instid0(VALU_DEP_1) | instskip(SKIP_2) | instid1(VALU_DEP_1)
	v_sub_f32_e32 v20, v18, v12
	v_mad_co_u64_u32 v[12:13], null, s2, 3, v[0:1]
	v_mov_b32_e32 v13, v1
	v_lshlrev_b64_e32 v[16:17], 2, v[12:13]
	s_delay_alu instid0(VALU_DEP_1) | instskip(SKIP_1) | instid1(VALU_DEP_2)
	v_add_co_u32 v18, vcc_lo, s4, v16
	s_wait_alu 0xfffd
	v_add_co_ci_u32_e64 v19, null, s5, v17, vcc_lo
	v_add_co_u32 v16, vcc_lo, s6, v16
	s_wait_alu 0xfffd
	v_add_co_ci_u32_e64 v17, null, s7, v17, vcc_lo
	global_load_b32 v0, v[18:19], off
	global_load_b32 v13, v[16:17], off
	s_wait_loadcnt 0x0
	v_sub_f32_e32 v0, v0, v13
	s_delay_alu instid0(VALU_DEP_1) | instskip(SKIP_1) | instid1(VALU_DEP_1)
	v_add_f32_e32 v18, v20, v0
	v_add_nc_u32_e32 v0, s1, v12
	v_lshlrev_b64_e32 v[12:13], 2, v[0:1]
	s_wait_alu 0xfffe
	v_add_nc_u32_e32 v0, s11, v0
	s_delay_alu instid0(VALU_DEP_2) | instskip(SKIP_1) | instid1(VALU_DEP_3)
	v_add_co_u32 v16, vcc_lo, s4, v12
	s_wait_alu 0xfffd
	v_add_co_ci_u32_e64 v17, null, s5, v13, vcc_lo
	v_add_co_u32 v12, vcc_lo, s6, v12
	s_wait_alu 0xfffd
	v_add_co_ci_u32_e64 v13, null, s7, v13, vcc_lo
	global_load_b32 v16, v[16:17], off
	global_load_b32 v12, v[12:13], off
	s_wait_loadcnt 0x0
	v_sub_f32_e32 v12, v16, v12
	s_delay_alu instid0(VALU_DEP_1) | instskip(SKIP_2) | instid1(VALU_DEP_2)
	v_add_f32_e32 v18, v18, v12
	v_lshlrev_b64_e32 v[12:13], 2, v[0:1]
	v_add_nc_u32_e32 v0, s2, v0
	v_add_co_u32 v16, vcc_lo, s4, v12
	s_wait_alu 0xfffd
	s_delay_alu instid0(VALU_DEP_3)
	v_add_co_ci_u32_e64 v17, null, s5, v13, vcc_lo
	v_add_co_u32 v12, vcc_lo, s6, v12
	s_wait_alu 0xfffd
	v_add_co_ci_u32_e64 v13, null, s7, v13, vcc_lo
	global_load_b32 v16, v[16:17], off
	global_load_b32 v12, v[12:13], off
	s_wait_loadcnt 0x0
	v_sub_f32_e32 v12, v16, v12
	s_delay_alu instid0(VALU_DEP_1) | instskip(SKIP_2) | instid1(VALU_DEP_2)
	v_add_f32_e32 v18, v18, v12
	v_lshlrev_b64_e32 v[12:13], 2, v[0:1]
	v_add_nc_u32_e32 v0, s3, v0
	v_add_co_u32 v16, vcc_lo, s4, v12
	s_wait_alu 0xfffd
	s_delay_alu instid0(VALU_DEP_3)
	v_add_co_ci_u32_e64 v17, null, s5, v13, vcc_lo
	v_add_co_u32 v12, vcc_lo, s6, v12
	s_wait_alu 0xfffd
	v_add_co_ci_u32_e64 v13, null, s7, v13, vcc_lo
	global_load_b32 v16, v[16:17], off
	global_load_b32 v12, v[12:13], off
	s_wait_loadcnt 0x0
	v_sub_f32_e32 v20, v16, v12
	v_lshlrev_b64_e32 v[12:13], 2, v[0:1]
	v_add_nc_u32_e32 v0, s0, v0
	s_delay_alu instid0(VALU_DEP_3) | instskip(NEXT) | instid1(VALU_DEP_3)
	v_sub_f32_e32 v18, v18, v20
	v_add_co_u32 v16, vcc_lo, s4, v12
	s_wait_alu 0xfffd
	s_delay_alu instid0(VALU_DEP_4)
	v_add_co_ci_u32_e64 v17, null, s5, v13, vcc_lo
	v_add_co_u32 v12, vcc_lo, s6, v12
	s_wait_alu 0xfffd
	v_add_co_ci_u32_e64 v13, null, s7, v13, vcc_lo
	global_load_b32 v16, v[16:17], off
	global_load_b32 v12, v[12:13], off
	s_wait_loadcnt 0x0
	v_sub_f32_e32 v12, v16, v12
	s_delay_alu instid0(VALU_DEP_1) | instskip(SKIP_3) | instid1(VALU_DEP_2)
	v_add_f32_e32 v18, v18, v12
	v_lshlrev_b64_e32 v[12:13], 2, v[0:1]
	v_add_nc_u32_e32 v0, s1, v0
	s_load_b64 s[0:1], s[12:13], 0x20
	v_add_co_u32 v16, vcc_lo, s4, v12
	s_wait_alu 0xfffd
	s_delay_alu instid0(VALU_DEP_3)
	v_add_co_ci_u32_e64 v17, null, s5, v13, vcc_lo
	v_add_co_u32 v12, vcc_lo, s6, v12
	s_wait_alu 0xfffd
	v_add_co_ci_u32_e64 v13, null, s7, v13, vcc_lo
	global_load_b32 v16, v[16:17], off
	global_load_b32 v12, v[12:13], off
	s_wait_loadcnt 0x0
	v_sub_f32_e32 v12, v16, v12
	s_delay_alu instid0(VALU_DEP_1) | instskip(SKIP_2) | instid1(VALU_DEP_2)
	v_add_f32_e32 v18, v18, v12
	v_lshlrev_b64_e32 v[12:13], 2, v[0:1]
	v_add_nc_u32_e32 v0, s2, v0
	v_add_co_u32 v16, vcc_lo, s4, v12
	s_wait_alu 0xfffd
	s_delay_alu instid0(VALU_DEP_3)
	v_add_co_ci_u32_e64 v17, null, s5, v13, vcc_lo
	v_add_co_u32 v12, vcc_lo, s6, v12
	s_wait_alu 0xfffd
	v_add_co_ci_u32_e64 v13, null, s7, v13, vcc_lo
	global_load_b32 v16, v[16:17], off
	global_load_b32 v12, v[12:13], off
	s_wait_loadcnt 0x0
	v_sub_f32_e32 v12, v16, v12
	v_lshlrev_b64_e32 v[16:17], 2, v[0:1]
	v_add_nc_u32_e32 v0, s11, v0
	s_delay_alu instid0(VALU_DEP_3) | instskip(NEXT) | instid1(VALU_DEP_3)
	v_sub_f32_e32 v13, v18, v12
	v_add_co_u32 v18, vcc_lo, s4, v16
	s_wait_alu 0xfffd
	s_delay_alu instid0(VALU_DEP_4)
	v_add_co_ci_u32_e64 v19, null, s5, v17, vcc_lo
	v_add_co_u32 v16, vcc_lo, s6, v16
	s_wait_alu 0xfffd
	v_add_co_ci_u32_e64 v17, null, s7, v17, vcc_lo
	global_load_b32 v18, v[18:19], off
	global_load_b32 v16, v[16:17], off
	s_wait_loadcnt 0x0
	v_sub_f32_e32 v16, v18, v16
	s_delay_alu instid0(VALU_DEP_1) | instskip(SKIP_2) | instid1(VALU_DEP_2)
	v_add_f32_e32 v21, v13, v16
	v_lshlrev_b64_e32 v[16:17], 2, v[0:1]
	v_add_nc_u32_e32 v0, s2, v0
	v_add_co_u32 v18, vcc_lo, s4, v16
	s_wait_alu 0xfffd
	s_delay_alu instid0(VALU_DEP_3)
	v_add_co_ci_u32_e64 v19, null, s5, v17, vcc_lo
	v_add_co_u32 v16, vcc_lo, s6, v16
	s_wait_alu 0xfffd
	v_add_co_ci_u32_e64 v17, null, s7, v17, vcc_lo
	global_load_b32 v13, v[18:19], off
	global_load_b32 v16, v[16:17], off
	s_wait_loadcnt 0x0
	v_sub_f32_e32 v13, v13, v16
	v_lshlrev_b64_e32 v[16:17], 2, v[0:1]
	s_delay_alu instid0(VALU_DEP_2) | instskip(NEXT) | instid1(VALU_DEP_2)
	v_sub_f32_e32 v21, v21, v13
	v_add_co_u32 v18, vcc_lo, s4, v16
	s_wait_alu 0xfffd
	s_delay_alu instid0(VALU_DEP_3)
	v_add_co_ci_u32_e64 v19, null, s5, v17, vcc_lo
	v_add_co_u32 v16, vcc_lo, s6, v16
	s_wait_alu 0xfffd
	v_add_co_ci_u32_e64 v17, null, s7, v17, vcc_lo
	global_load_b32 v18, v[18:19], off
	global_load_b32 v16, v[16:17], off
	s_wait_loadcnt 0x0
	v_sub_f32_e32 v16, v18, v16
	s_delay_alu instid0(VALU_DEP_1) | instskip(NEXT) | instid1(VALU_DEP_1)
	v_add_f32_e32 v16, v21, v16
	v_mul_f32_e32 v16, s10, v16
	s_wait_kmcnt 0x0
	s_delay_alu instid0(VALU_DEP_1) | instskip(SKIP_2) | instid1(VALU_DEP_1)
	v_mul_f32_e32 v21, s0, v16
	v_mad_co_u64_u32 v[16:17], null, 0xffffff3b, s2, v[0:1]
	v_dual_mov_b32 v17, v1 :: v_dual_add_f32 v0, v2, v3
	v_mad_co_u64_u32 v[2:3], null, 0x60, s2, v[16:17]
	v_mov_b32_e32 v3, v1
	v_lshlrev_b64_e32 v[18:19], 2, v[16:17]
	s_delay_alu instid0(VALU_DEP_4) | instskip(NEXT) | instid1(VALU_DEP_3)
	v_add_f32_e32 v0, v0, v4
	v_lshlrev_b64_e32 v[3:4], 2, v[2:3]
	s_delay_alu instid0(VALU_DEP_2) | instskip(NEXT) | instid1(VALU_DEP_4)
	v_add_f32_e32 v0, v0, v5
	v_add_co_u32 v18, vcc_lo, s8, v18
	s_wait_alu 0xfffd
	v_add_co_ci_u32_e64 v19, null, s9, v19, vcc_lo
	s_delay_alu instid0(VALU_DEP_4)
	v_add_co_u32 v5, vcc_lo, s4, v3
	v_add_f32_e32 v0, v0, v6
	s_wait_alu 0xfffd
	v_add_co_ci_u32_e64 v6, null, s5, v4, vcc_lo
	v_add_co_u32 v3, vcc_lo, s6, v3
	s_wait_alu 0xfffd
	v_add_co_ci_u32_e64 v4, null, s7, v4, vcc_lo
	global_load_b32 v5, v[5:6], off
	v_sub_f32_e32 v0, v0, v7
	global_load_b32 v3, v[3:4], off
	v_sub_f32_e32 v0, v0, v8
	s_delay_alu instid0(VALU_DEP_1) | instskip(SKIP_3) | instid1(VALU_DEP_1)
	v_sub_f32_e32 v0, v0, v10
	global_store_b32 v[18:19], v21, off
	s_wait_loadcnt 0x0
	v_sub_f32_e32 v3, v5, v3
	v_sub_f32_e32 v0, v0, v3
	v_mad_co_u64_u32 v[2:3], null, s2, 61, v[2:3]
	s_delay_alu instid0(VALU_DEP_2) | instskip(NEXT) | instid1(VALU_DEP_1)
	v_dual_mov_b32 v3, v1 :: v_dual_sub_f32 v0, v0, v9
	v_lshlrev_b64_e32 v[3:4], 2, v[2:3]
	s_delay_alu instid0(VALU_DEP_2) | instskip(NEXT) | instid1(VALU_DEP_2)
	v_sub_f32_e32 v0, v0, v11
	v_add_co_u32 v5, vcc_lo, s4, v3
	s_wait_alu 0xfffd
	s_delay_alu instid0(VALU_DEP_3)
	v_add_co_ci_u32_e64 v6, null, s5, v4, vcc_lo
	v_add_co_u32 v3, vcc_lo, s6, v3
	s_wait_alu 0xfffd
	v_add_co_ci_u32_e64 v4, null, s7, v4, vcc_lo
	global_load_b32 v5, v[5:6], off
	v_add_f32_e32 v0, v14, v0
	global_load_b32 v3, v[3:4], off
	s_wait_loadcnt 0x0
	v_sub_f32_e32 v3, v5, v3
	s_delay_alu instid0(VALU_DEP_1) | instskip(SKIP_1) | instid1(VALU_DEP_2)
	v_add_f32_e32 v0, v3, v0
	v_mad_co_u64_u32 v[2:3], null, s2, 20, v[2:3]
	v_dual_mov_b32 v3, v1 :: v_dual_add_f32 v0, v15, v0
	s_delay_alu instid0(VALU_DEP_1) | instskip(NEXT) | instid1(VALU_DEP_2)
	v_lshlrev_b64_e32 v[4:5], 2, v[2:3]
	v_add_f32_e32 v0, v20, v0
	s_delay_alu instid0(VALU_DEP_2) | instskip(SKIP_1) | instid1(VALU_DEP_3)
	v_add_co_u32 v6, vcc_lo, s4, v4
	s_wait_alu 0xfffd
	v_add_co_ci_u32_e64 v7, null, s5, v5, vcc_lo
	v_add_co_u32 v4, vcc_lo, s6, v4
	s_wait_alu 0xfffd
	v_add_co_ci_u32_e64 v5, null, s7, v5, vcc_lo
	global_load_b32 v3, v[6:7], off
	global_load_b32 v4, v[4:5], off
	s_wait_loadcnt 0x0
	v_sub_f32_e32 v3, v3, v4
	s_delay_alu instid0(VALU_DEP_1) | instskip(SKIP_1) | instid1(VALU_DEP_2)
	v_add_f32_e32 v0, v3, v0
	v_mad_co_u64_u32 v[2:3], null, 0xffffff50, s2, v[2:3]
	v_dual_mov_b32 v3, v1 :: v_dual_add_f32 v0, v12, v0
	s_delay_alu instid0(VALU_DEP_1) | instskip(NEXT) | instid1(VALU_DEP_1)
	v_add_f32_e32 v0, v13, v0
	v_mul_f32_e32 v0, s10, v0
	s_delay_alu instid0(VALU_DEP_1) | instskip(NEXT) | instid1(VALU_DEP_4)
	v_mul_f32_e32 v4, s1, v0
	v_lshlrev_b64_e32 v[0:1], 2, v[2:3]
	s_delay_alu instid0(VALU_DEP_1) | instskip(SKIP_1) | instid1(VALU_DEP_2)
	v_add_co_u32 v0, vcc_lo, s8, v0
	s_wait_alu 0xfffd
	v_add_co_ci_u32_e64 v1, null, s9, v1, vcc_lo
	global_store_b32 v[0:1], v4, off
	s_endpgm
	.section	.rodata,"a",@progbits
	.p2align	6, 0x0
	.amdhsa_kernel _Z14rdwdot7_kernelIfEvPKT_S2_PS0_S0_S2_
		.amdhsa_group_segment_fixed_size 0
		.amdhsa_private_segment_fixed_size 0
		.amdhsa_kernarg_size 296
		.amdhsa_user_sgpr_count 2
		.amdhsa_user_sgpr_dispatch_ptr 0
		.amdhsa_user_sgpr_queue_ptr 0
		.amdhsa_user_sgpr_kernarg_segment_ptr 1
		.amdhsa_user_sgpr_dispatch_id 0
		.amdhsa_user_sgpr_private_segment_size 0
		.amdhsa_wavefront_size32 1
		.amdhsa_uses_dynamic_stack 0
		.amdhsa_enable_private_segment 0
		.amdhsa_system_sgpr_workgroup_id_x 1
		.amdhsa_system_sgpr_workgroup_id_y 0
		.amdhsa_system_sgpr_workgroup_id_z 0
		.amdhsa_system_sgpr_workgroup_info 0
		.amdhsa_system_vgpr_workitem_id 0
		.amdhsa_next_free_vgpr 22
		.amdhsa_next_free_sgpr 15
		.amdhsa_reserve_vcc 1
		.amdhsa_float_round_mode_32 0
		.amdhsa_float_round_mode_16_64 0
		.amdhsa_float_denorm_mode_32 3
		.amdhsa_float_denorm_mode_16_64 3
		.amdhsa_fp16_overflow 0
		.amdhsa_workgroup_processor_mode 1
		.amdhsa_memory_ordered 1
		.amdhsa_forward_progress 1
		.amdhsa_inst_pref_size 41
		.amdhsa_round_robin_scheduling 0
		.amdhsa_exception_fp_ieee_invalid_op 0
		.amdhsa_exception_fp_denorm_src 0
		.amdhsa_exception_fp_ieee_div_zero 0
		.amdhsa_exception_fp_ieee_overflow 0
		.amdhsa_exception_fp_ieee_underflow 0
		.amdhsa_exception_fp_ieee_inexact 0
		.amdhsa_exception_int_div_zero 0
	.end_amdhsa_kernel
	.section	.text._Z14rdwdot7_kernelIfEvPKT_S2_PS0_S0_S2_,"axG",@progbits,_Z14rdwdot7_kernelIfEvPKT_S2_PS0_S0_S2_,comdat
.Lfunc_end23:
	.size	_Z14rdwdot7_kernelIfEvPKT_S2_PS0_S0_S2_, .Lfunc_end23-_Z14rdwdot7_kernelIfEvPKT_S2_PS0_S0_S2_
                                        ; -- End function
	.set _Z14rdwdot7_kernelIfEvPKT_S2_PS0_S0_S2_.num_vgpr, 22
	.set _Z14rdwdot7_kernelIfEvPKT_S2_PS0_S0_S2_.num_agpr, 0
	.set _Z14rdwdot7_kernelIfEvPKT_S2_PS0_S0_S2_.numbered_sgpr, 15
	.set _Z14rdwdot7_kernelIfEvPKT_S2_PS0_S0_S2_.num_named_barrier, 0
	.set _Z14rdwdot7_kernelIfEvPKT_S2_PS0_S0_S2_.private_seg_size, 0
	.set _Z14rdwdot7_kernelIfEvPKT_S2_PS0_S0_S2_.uses_vcc, 1
	.set _Z14rdwdot7_kernelIfEvPKT_S2_PS0_S0_S2_.uses_flat_scratch, 0
	.set _Z14rdwdot7_kernelIfEvPKT_S2_PS0_S0_S2_.has_dyn_sized_stack, 0
	.set _Z14rdwdot7_kernelIfEvPKT_S2_PS0_S0_S2_.has_recursion, 0
	.set _Z14rdwdot7_kernelIfEvPKT_S2_PS0_S0_S2_.has_indirect_call, 0
	.section	.AMDGPU.csdata,"",@progbits
; Kernel info:
; codeLenInByte = 5204
; TotalNumSgprs: 17
; NumVgprs: 22
; ScratchSize: 0
; MemoryBound: 0
; FloatMode: 240
; IeeeMode: 1
; LDSByteSize: 0 bytes/workgroup (compile time only)
; SGPRBlocks: 0
; VGPRBlocks: 2
; NumSGPRsForWavesPerEU: 17
; NumVGPRsForWavesPerEU: 22
; Occupancy: 16
; WaveLimiterHint : 0
; COMPUTE_PGM_RSRC2:SCRATCH_EN: 0
; COMPUTE_PGM_RSRC2:USER_SGPR: 2
; COMPUTE_PGM_RSRC2:TRAP_HANDLER: 0
; COMPUTE_PGM_RSRC2:TGID_X_EN: 1
; COMPUTE_PGM_RSRC2:TGID_Y_EN: 0
; COMPUTE_PGM_RSRC2:TGID_Z_EN: 0
; COMPUTE_PGM_RSRC2:TIDIG_COMP_CNT: 0
	.section	.text._Z14rdwdot8_kernelIfEvPKT_S2_PS0_S0_S2_,"axG",@progbits,_Z14rdwdot8_kernelIfEvPKT_S2_PS0_S0_S2_,comdat
	.protected	_Z14rdwdot8_kernelIfEvPKT_S2_PS0_S0_S2_ ; -- Begin function _Z14rdwdot8_kernelIfEvPKT_S2_PS0_S0_S2_
	.globl	_Z14rdwdot8_kernelIfEvPKT_S2_PS0_S0_S2_
	.p2align	8
	.type	_Z14rdwdot8_kernelIfEvPKT_S2_PS0_S0_S2_,@function
_Z14rdwdot8_kernelIfEvPKT_S2_PS0_S0_S2_: ; @_Z14rdwdot8_kernelIfEvPKT_S2_PS0_S0_S2_
; %bb.0:
	s_clause 0x3
	s_load_b128 s[4:7], s[0:1], 0x0
	s_load_b96 s[8:10], s[0:1], 0x10
	s_load_b96 s[12:14], s[0:1], 0x20
	s_load_b32 s0, s[0:1], 0x34
	v_mov_b32_e32 v1, 0
	s_wait_kmcnt 0x0
	s_and_b32 s1, s0, 0xffff
	s_delay_alu instid0(SALU_CYCLE_1)
	s_mul_i32 s2, s14, s1
	s_mul_i32 s1, ttmp9, s1
	s_mul_i32 s0, s2, 11
	s_mul_i32 s3, s2, 3
	v_add3_u32 v0, s0, s1, v0
	s_mul_i32 s1, s2, 7
	s_delay_alu instid0(VALU_DEP_1) | instskip(SKIP_1) | instid1(VALU_DEP_2)
	v_lshlrev_b64_e32 v[2:3], 2, v[0:1]
	v_add_nc_u32_e32 v0, s2, v0
	v_add_co_u32 v4, vcc_lo, s4, v2
	s_delay_alu instid0(VALU_DEP_1)
	v_add_co_ci_u32_e64 v5, null, s5, v3, vcc_lo
	v_add_co_u32 v2, vcc_lo, s6, v2
	s_wait_alu 0xfffd
	v_add_co_ci_u32_e64 v3, null, s7, v3, vcc_lo
	global_load_b32 v4, v[4:5], off
	global_load_b32 v2, v[2:3], off
	s_wait_loadcnt 0x0
	v_sub_f32_e32 v6, v4, v2
	v_lshlrev_b64_e32 v[2:3], 2, v[0:1]
	v_add_nc_u32_e32 v0, s2, v0
	s_delay_alu instid0(VALU_DEP_2) | instskip(SKIP_1) | instid1(VALU_DEP_3)
	v_add_co_u32 v4, vcc_lo, s4, v2
	s_wait_alu 0xfffd
	v_add_co_ci_u32_e64 v5, null, s5, v3, vcc_lo
	v_add_co_u32 v2, vcc_lo, s6, v2
	s_wait_alu 0xfffd
	v_add_co_ci_u32_e64 v3, null, s7, v3, vcc_lo
	global_load_b32 v4, v[4:5], off
	global_load_b32 v2, v[2:3], off
	s_wait_loadcnt 0x0
	v_sub_f32_e32 v2, v4, v2
	s_delay_alu instid0(VALU_DEP_1) | instskip(SKIP_2) | instid1(VALU_DEP_2)
	v_add_f32_e32 v6, v6, v2
	v_lshlrev_b64_e32 v[2:3], 2, v[0:1]
	v_add_nc_u32_e32 v0, s2, v0
	v_add_co_u32 v4, vcc_lo, s4, v2
	s_wait_alu 0xfffd
	s_delay_alu instid0(VALU_DEP_3)
	v_add_co_ci_u32_e64 v5, null, s5, v3, vcc_lo
	v_add_co_u32 v2, vcc_lo, s6, v2
	s_wait_alu 0xfffd
	v_add_co_ci_u32_e64 v3, null, s7, v3, vcc_lo
	global_load_b32 v4, v[4:5], off
	global_load_b32 v2, v[2:3], off
	s_wait_loadcnt 0x0
	v_sub_f32_e32 v2, v4, v2
	s_delay_alu instid0(VALU_DEP_1) | instskip(SKIP_3) | instid1(VALU_DEP_2)
	v_add_f32_e32 v6, v6, v2
	v_lshlrev_b64_e32 v[2:3], 2, v[0:1]
	s_wait_alu 0xfffe
	v_add_nc_u32_e32 v0, s1, v0
	v_add_co_u32 v4, vcc_lo, s4, v2
	s_wait_alu 0xfffd
	s_delay_alu instid0(VALU_DEP_3)
	v_add_co_ci_u32_e64 v5, null, s5, v3, vcc_lo
	v_add_co_u32 v2, vcc_lo, s6, v2
	s_wait_alu 0xfffd
	v_add_co_ci_u32_e64 v3, null, s7, v3, vcc_lo
	global_load_b32 v4, v[4:5], off
	global_load_b32 v2, v[2:3], off
	s_wait_loadcnt 0x0
	v_sub_f32_e32 v2, v4, v2
	s_delay_alu instid0(VALU_DEP_1) | instskip(SKIP_2) | instid1(VALU_DEP_2)
	v_add_f32_e32 v9, v6, v2
	v_lshlrev_b64_e32 v[2:3], 2, v[0:1]
	v_add_nc_u32_e32 v0, s2, v0
	v_add_co_u32 v4, vcc_lo, s4, v2
	s_wait_alu 0xfffd
	s_delay_alu instid0(VALU_DEP_3)
	v_add_co_ci_u32_e64 v5, null, s5, v3, vcc_lo
	v_add_co_u32 v2, vcc_lo, s6, v2
	s_wait_alu 0xfffd
	v_add_co_ci_u32_e64 v3, null, s7, v3, vcc_lo
	global_load_b32 v4, v[4:5], off
	global_load_b32 v2, v[2:3], off
	s_wait_loadcnt 0x0
	v_sub_f32_e32 v6, v4, v2
	v_lshlrev_b64_e32 v[2:3], 2, v[0:1]
	v_lshl_add_u32 v0, s2, 2, v0
	s_delay_alu instid0(VALU_DEP_2) | instskip(SKIP_1) | instid1(VALU_DEP_3)
	v_add_co_u32 v4, vcc_lo, s4, v2
	s_wait_alu 0xfffd
	v_add_co_ci_u32_e64 v5, null, s5, v3, vcc_lo
	v_add_co_u32 v2, vcc_lo, s6, v2
	s_wait_alu 0xfffd
	v_add_co_ci_u32_e64 v3, null, s7, v3, vcc_lo
	global_load_b32 v4, v[4:5], off
	global_load_b32 v2, v[2:3], off
	s_wait_loadcnt 0x0
	v_sub_f32_e32 v2, v4, v2
	v_lshlrev_b64_e32 v[4:5], 2, v[0:1]
	s_delay_alu instid0(VALU_DEP_2) | instskip(NEXT) | instid1(VALU_DEP_2)
	v_dual_add_f32 v3, v6, v2 :: v_dual_add_nc_u32 v0, s2, v0
	v_add_co_u32 v6, vcc_lo, s4, v4
	s_wait_alu 0xfffd
	s_delay_alu instid0(VALU_DEP_3)
	v_add_co_ci_u32_e64 v7, null, s5, v5, vcc_lo
	v_add_co_u32 v4, vcc_lo, s6, v4
	s_wait_alu 0xfffd
	v_add_co_ci_u32_e64 v5, null, s7, v5, vcc_lo
	global_load_b32 v2, v[6:7], off
	global_load_b32 v4, v[4:5], off
	s_wait_loadcnt 0x0
	v_sub_f32_e32 v2, v2, v4
	v_lshlrev_b64_e32 v[4:5], 2, v[0:1]
	s_delay_alu instid0(VALU_DEP_1) | instskip(SKIP_1) | instid1(VALU_DEP_2)
	v_add_co_u32 v6, vcc_lo, s4, v4
	s_wait_alu 0xfffd
	v_add_co_ci_u32_e64 v7, null, s5, v5, vcc_lo
	v_add_co_u32 v4, vcc_lo, s6, v4
	s_wait_alu 0xfffd
	v_add_co_ci_u32_e64 v5, null, s7, v5, vcc_lo
	global_load_b32 v6, v[6:7], off
	global_load_b32 v4, v[4:5], off
	s_wait_loadcnt 0x0
	v_sub_f32_e32 v4, v6, v4
	s_delay_alu instid0(VALU_DEP_1) | instskip(SKIP_2) | instid1(VALU_DEP_1)
	v_add_f32_e32 v2, v2, v4
	v_mad_co_u64_u32 v[4:5], null, s2, -11, v[0:1]
	v_mov_b32_e32 v5, v1
	v_lshlrev_b64_e32 v[5:6], 2, v[4:5]
	s_delay_alu instid0(VALU_DEP_1) | instskip(SKIP_1) | instid1(VALU_DEP_2)
	v_add_co_u32 v7, vcc_lo, s4, v5
	s_wait_alu 0xfffd
	v_add_co_ci_u32_e64 v8, null, s5, v6, vcc_lo
	v_add_co_u32 v5, vcc_lo, s6, v5
	s_wait_alu 0xfffd
	v_add_co_ci_u32_e64 v6, null, s7, v6, vcc_lo
	global_load_b32 v0, v[7:8], off
	global_load_b32 v5, v[5:6], off
	s_wait_loadcnt 0x0
	v_sub_f32_e32 v0, v0, v5
	s_delay_alu instid0(VALU_DEP_1) | instskip(SKIP_1) | instid1(VALU_DEP_1)
	v_sub_f32_e32 v8, v9, v0
	v_add_nc_u32_e32 v0, s2, v4
	v_lshlrev_b64_e32 v[4:5], 2, v[0:1]
	v_add_nc_u32_e32 v0, s2, v0
	s_delay_alu instid0(VALU_DEP_2) | instskip(SKIP_1) | instid1(VALU_DEP_3)
	v_add_co_u32 v6, vcc_lo, s4, v4
	s_wait_alu 0xfffd
	v_add_co_ci_u32_e64 v7, null, s5, v5, vcc_lo
	v_add_co_u32 v4, vcc_lo, s6, v4
	s_wait_alu 0xfffd
	v_add_co_ci_u32_e64 v5, null, s7, v5, vcc_lo
	global_load_b32 v6, v[6:7], off
	global_load_b32 v4, v[4:5], off
	s_wait_loadcnt 0x0
	v_sub_f32_e32 v4, v6, v4
	s_delay_alu instid0(VALU_DEP_1) | instskip(SKIP_2) | instid1(VALU_DEP_2)
	v_sub_f32_e32 v8, v8, v4
	v_lshlrev_b64_e32 v[4:5], 2, v[0:1]
	v_add_nc_u32_e32 v0, s2, v0
	v_add_co_u32 v6, vcc_lo, s4, v4
	s_wait_alu 0xfffd
	s_delay_alu instid0(VALU_DEP_3)
	v_add_co_ci_u32_e64 v7, null, s5, v5, vcc_lo
	v_add_co_u32 v4, vcc_lo, s6, v4
	s_wait_alu 0xfffd
	v_add_co_ci_u32_e64 v5, null, s7, v5, vcc_lo
	global_load_b32 v6, v[6:7], off
	global_load_b32 v4, v[4:5], off
	s_wait_loadcnt 0x0
	v_sub_f32_e32 v4, v6, v4
	s_delay_alu instid0(VALU_DEP_1) | instskip(SKIP_2) | instid1(VALU_DEP_2)
	v_sub_f32_e32 v8, v8, v4
	v_lshlrev_b64_e32 v[4:5], 2, v[0:1]
	v_add_nc_u32_e32 v0, s2, v0
	v_add_co_u32 v6, vcc_lo, s4, v4
	s_wait_alu 0xfffd
	s_delay_alu instid0(VALU_DEP_3)
	;; [unrolled: 15-line block ×3, first 2 shown]
	v_add_co_ci_u32_e64 v7, null, s5, v5, vcc_lo
	v_add_co_u32 v4, vcc_lo, s6, v4
	s_wait_alu 0xfffd
	v_add_co_ci_u32_e64 v5, null, s7, v5, vcc_lo
	global_load_b32 v6, v[6:7], off
	global_load_b32 v4, v[4:5], off
	s_wait_loadcnt 0x0
	v_sub_f32_e32 v4, v6, v4
	s_delay_alu instid0(VALU_DEP_1) | instskip(NEXT) | instid1(VALU_DEP_1)
	v_sub_f32_e32 v4, v8, v4
	v_sub_f32_e32 v4, v4, v3
	s_delay_alu instid0(VALU_DEP_1) | instskip(SKIP_2) | instid1(VALU_DEP_2)
	v_sub_f32_e32 v8, v4, v3
	v_lshlrev_b64_e32 v[4:5], 2, v[0:1]
	v_lshl_add_u32 v0, s2, 1, v0
	v_add_co_u32 v6, vcc_lo, s4, v4
	s_wait_alu 0xfffd
	s_delay_alu instid0(VALU_DEP_3)
	v_add_co_ci_u32_e64 v7, null, s5, v5, vcc_lo
	v_add_co_u32 v4, vcc_lo, s6, v4
	s_wait_alu 0xfffd
	v_add_co_ci_u32_e64 v5, null, s7, v5, vcc_lo
	global_load_b32 v6, v[6:7], off
	global_load_b32 v4, v[4:5], off
	s_wait_loadcnt 0x0
	v_sub_f32_e32 v6, v6, v4
	v_lshlrev_b64_e32 v[4:5], 2, v[0:1]
	v_add_nc_u32_e32 v0, s1, v0
	s_lshl_b32 s1, s2, 3
	s_delay_alu instid0(VALU_DEP_3) | instskip(NEXT) | instid1(VALU_DEP_3)
	v_add_f32_e32 v9, v6, v8
	v_add_co_u32 v7, vcc_lo, s4, v4
	s_wait_alu 0xfffd
	v_add_co_ci_u32_e64 v8, null, s5, v5, vcc_lo
	v_add_co_u32 v4, vcc_lo, s6, v4
	s_wait_alu 0xfffd
	v_add_co_ci_u32_e64 v5, null, s7, v5, vcc_lo
	global_load_b32 v7, v[7:8], off
	global_load_b32 v4, v[4:5], off
	s_wait_loadcnt 0x0
	v_sub_f32_e32 v4, v7, v4
	v_lshlrev_b64_e32 v[7:8], 2, v[0:1]
	s_delay_alu instid0(VALU_DEP_2) | instskip(NEXT) | instid1(VALU_DEP_2)
	v_add_f32_e32 v5, v9, v4
	v_add_co_u32 v9, vcc_lo, s4, v7
	s_wait_alu 0xfffd
	s_delay_alu instid0(VALU_DEP_3)
	v_add_co_ci_u32_e64 v10, null, s5, v8, vcc_lo
	v_add_co_u32 v7, vcc_lo, s6, v7
	s_wait_alu 0xfffd
	v_add_co_ci_u32_e64 v8, null, s7, v8, vcc_lo
	global_load_b32 v9, v[9:10], off
	v_add_f32_e32 v5, v2, v5
	global_load_b32 v7, v[7:8], off
	s_wait_loadcnt 0x0
	v_sub_f32_e32 v7, v9, v7
	s_delay_alu instid0(VALU_DEP_1) | instskip(SKIP_2) | instid1(VALU_DEP_1)
	v_sub_f32_e32 v5, v5, v7
	v_mad_co_u64_u32 v[7:8], null, s2, 14, v[0:1]
	v_mov_b32_e32 v8, v1
	v_lshlrev_b64_e32 v[8:9], 2, v[7:8]
	s_delay_alu instid0(VALU_DEP_1) | instskip(SKIP_1) | instid1(VALU_DEP_2)
	v_add_co_u32 v10, vcc_lo, s4, v8
	s_wait_alu 0xfffd
	v_add_co_ci_u32_e64 v11, null, s5, v9, vcc_lo
	v_add_co_u32 v8, vcc_lo, s6, v8
	s_wait_alu 0xfffd
	v_add_co_ci_u32_e64 v9, null, s7, v9, vcc_lo
	global_load_b32 v0, v[10:11], off
	global_load_b32 v8, v[8:9], off
	s_wait_loadcnt 0x0
	v_sub_f32_e32 v0, v0, v8
	s_wait_alu 0xfffe
	s_delay_alu instid0(VALU_DEP_1) | instskip(NEXT) | instid1(VALU_DEP_1)
	v_dual_add_f32 v5, v5, v0 :: v_dual_add_nc_u32 v0, s1, v7
	v_lshlrev_b64_e32 v[7:8], 2, v[0:1]
	s_delay_alu instid0(VALU_DEP_1) | instskip(SKIP_1) | instid1(VALU_DEP_2)
	v_add_co_u32 v9, vcc_lo, s4, v7
	s_wait_alu 0xfffd
	v_add_co_ci_u32_e64 v10, null, s5, v8, vcc_lo
	v_add_co_u32 v7, vcc_lo, s6, v7
	s_wait_alu 0xfffd
	v_add_co_ci_u32_e64 v8, null, s7, v8, vcc_lo
	global_load_b32 v9, v[9:10], off
	global_load_b32 v7, v[7:8], off
	s_wait_loadcnt 0x0
	v_sub_f32_e32 v7, v9, v7
	s_delay_alu instid0(VALU_DEP_1) | instskip(SKIP_2) | instid1(VALU_DEP_1)
	v_sub_f32_e32 v5, v5, v7
	v_mad_co_u64_u32 v[7:8], null, s2, 20, v[0:1]
	v_mov_b32_e32 v8, v1
	v_lshlrev_b64_e32 v[8:9], 2, v[7:8]
	s_delay_alu instid0(VALU_DEP_1) | instskip(SKIP_1) | instid1(VALU_DEP_2)
	v_add_co_u32 v10, vcc_lo, s4, v8
	s_wait_alu 0xfffd
	v_add_co_ci_u32_e64 v11, null, s5, v9, vcc_lo
	v_add_co_u32 v8, vcc_lo, s6, v8
	s_wait_alu 0xfffd
	v_add_co_ci_u32_e64 v9, null, s7, v9, vcc_lo
	global_load_b32 v0, v[10:11], off
	global_load_b32 v8, v[8:9], off
	s_wait_loadcnt 0x0
	v_sub_f32_e32 v0, v0, v8
	s_delay_alu instid0(VALU_DEP_1) | instskip(NEXT) | instid1(VALU_DEP_1)
	v_dual_add_f32 v11, v5, v0 :: v_dual_add_nc_u32 v0, s2, v7
	v_lshlrev_b64_e32 v[7:8], 2, v[0:1]
	v_add_nc_u32_e32 v0, s1, v0
	s_delay_alu instid0(VALU_DEP_2) | instskip(SKIP_1) | instid1(VALU_DEP_3)
	v_add_co_u32 v9, vcc_lo, s4, v7
	s_wait_alu 0xfffd
	v_add_co_ci_u32_e64 v10, null, s5, v8, vcc_lo
	v_add_co_u32 v7, vcc_lo, s6, v7
	s_wait_alu 0xfffd
	v_add_co_ci_u32_e64 v8, null, s7, v8, vcc_lo
	global_load_b32 v5, v[9:10], off
	global_load_b32 v7, v[7:8], off
	s_wait_loadcnt 0x0
	v_sub_f32_e32 v5, v5, v7
	v_lshlrev_b64_e32 v[7:8], 2, v[0:1]
	s_delay_alu instid0(VALU_DEP_2) | instskip(NEXT) | instid1(VALU_DEP_2)
	v_dual_sub_f32 v11, v11, v5 :: v_dual_add_nc_u32 v0, s2, v0
	v_add_co_u32 v9, vcc_lo, s4, v7
	s_wait_alu 0xfffd
	s_delay_alu instid0(VALU_DEP_3)
	v_add_co_ci_u32_e64 v10, null, s5, v8, vcc_lo
	v_add_co_u32 v7, vcc_lo, s6, v7
	s_wait_alu 0xfffd
	v_add_co_ci_u32_e64 v8, null, s7, v8, vcc_lo
	global_load_b32 v9, v[9:10], off
	global_load_b32 v7, v[7:8], off
	s_wait_loadcnt 0x0
	v_sub_f32_e32 v7, v9, v7
	s_delay_alu instid0(VALU_DEP_1) | instskip(SKIP_2) | instid1(VALU_DEP_2)
	v_sub_f32_e32 v11, v11, v7
	v_lshlrev_b64_e32 v[7:8], 2, v[0:1]
	v_add_nc_u32_e32 v0, s2, v0
	v_add_co_u32 v9, vcc_lo, s4, v7
	s_wait_alu 0xfffd
	s_delay_alu instid0(VALU_DEP_3)
	v_add_co_ci_u32_e64 v10, null, s5, v8, vcc_lo
	v_add_co_u32 v7, vcc_lo, s6, v7
	s_wait_alu 0xfffd
	v_add_co_ci_u32_e64 v8, null, s7, v8, vcc_lo
	global_load_b32 v9, v[9:10], off
	global_load_b32 v7, v[7:8], off
	s_wait_loadcnt 0x0
	v_sub_f32_e32 v7, v9, v7
	s_delay_alu instid0(VALU_DEP_1) | instskip(SKIP_1) | instid1(VALU_DEP_1)
	v_sub_f32_e32 v11, v11, v7
	v_lshlrev_b64_e32 v[7:8], 2, v[0:1]
	v_add_co_u32 v9, vcc_lo, s4, v7
	s_wait_alu 0xfffd
	s_delay_alu instid0(VALU_DEP_2)
	v_add_co_ci_u32_e64 v10, null, s5, v8, vcc_lo
	v_add_co_u32 v7, vcc_lo, s6, v7
	s_wait_alu 0xfffd
	v_add_co_ci_u32_e64 v8, null, s7, v8, vcc_lo
	global_load_b32 v9, v[9:10], off
	global_load_b32 v7, v[7:8], off
	s_wait_loadcnt 0x0
	v_sub_f32_e32 v7, v9, v7
	v_mad_co_u64_u32 v[8:9], null, s2, 15, v[0:1]
	v_mov_b32_e32 v9, v1
	s_delay_alu instid0(VALU_DEP_3) | instskip(NEXT) | instid1(VALU_DEP_2)
	v_add_f32_e32 v13, v11, v7
	v_lshlrev_b64_e32 v[9:10], 2, v[8:9]
	s_delay_alu instid0(VALU_DEP_1) | instskip(SKIP_1) | instid1(VALU_DEP_2)
	v_add_co_u32 v11, vcc_lo, s4, v9
	s_wait_alu 0xfffd
	v_add_co_ci_u32_e64 v12, null, s5, v10, vcc_lo
	v_add_co_u32 v9, vcc_lo, s6, v9
	s_wait_alu 0xfffd
	v_add_co_ci_u32_e64 v10, null, s7, v10, vcc_lo
	global_load_b32 v0, v[11:12], off
	global_load_b32 v9, v[9:10], off
	s_wait_loadcnt 0x0
	v_sub_f32_e32 v0, v0, v9
	v_mad_co_u64_u32 v[8:9], null, s2, 37, v[8:9]
	v_mov_b32_e32 v9, v1
	s_delay_alu instid0(VALU_DEP_3) | instskip(NEXT) | instid1(VALU_DEP_2)
	v_add_f32_e32 v0, v13, v0
	v_lshlrev_b64_e32 v[9:10], 2, v[8:9]
	s_delay_alu instid0(VALU_DEP_1) | instskip(SKIP_1) | instid1(VALU_DEP_2)
	v_add_co_u32 v11, vcc_lo, s4, v9
	s_wait_alu 0xfffd
	v_add_co_ci_u32_e64 v12, null, s5, v10, vcc_lo
	v_add_co_u32 v9, vcc_lo, s6, v9
	s_wait_alu 0xfffd
	v_add_co_ci_u32_e64 v10, null, s7, v10, vcc_lo
	global_load_b32 v11, v[11:12], off
	global_load_b32 v9, v[9:10], off
	s_wait_loadcnt 0x0
	v_sub_f32_e32 v9, v11, v9
	s_delay_alu instid0(VALU_DEP_1) | instskip(SKIP_2) | instid1(VALU_DEP_1)
	v_add_f32_e32 v12, v0, v9
	v_add_nc_u32_e32 v0, s3, v8
	s_mul_i32 s3, s2, 9
	v_lshlrev_b64_e32 v[8:9], 2, v[0:1]
	v_add_nc_u32_e32 v0, s2, v0
	s_delay_alu instid0(VALU_DEP_2) | instskip(SKIP_1) | instid1(VALU_DEP_3)
	v_add_co_u32 v10, vcc_lo, s4, v8
	s_wait_alu 0xfffd
	v_add_co_ci_u32_e64 v11, null, s5, v9, vcc_lo
	v_add_co_u32 v8, vcc_lo, s6, v8
	s_wait_alu 0xfffd
	v_add_co_ci_u32_e64 v9, null, s7, v9, vcc_lo
	global_load_b32 v10, v[10:11], off
	global_load_b32 v8, v[8:9], off
	s_wait_loadcnt 0x0
	v_sub_f32_e32 v8, v10, v8
	s_delay_alu instid0(VALU_DEP_1) | instskip(SKIP_2) | instid1(VALU_DEP_2)
	v_sub_f32_e32 v12, v12, v8
	v_lshlrev_b64_e32 v[8:9], 2, v[0:1]
	v_add_nc_u32_e32 v0, s0, v0
	v_add_co_u32 v10, vcc_lo, s4, v8
	s_wait_alu 0xfffd
	s_delay_alu instid0(VALU_DEP_3)
	v_add_co_ci_u32_e64 v11, null, s5, v9, vcc_lo
	v_add_co_u32 v8, vcc_lo, s6, v8
	s_wait_alu 0xfffd
	v_add_co_ci_u32_e64 v9, null, s7, v9, vcc_lo
	global_load_b32 v10, v[10:11], off
	global_load_b32 v8, v[8:9], off
	s_wait_loadcnt 0x0
	v_sub_f32_e32 v8, v10, v8
	v_lshlrev_b64_e32 v[9:10], 2, v[0:1]
	s_wait_alu 0xfffe
	v_add_nc_u32_e32 v0, s3, v0
	s_delay_alu instid0(VALU_DEP_3) | instskip(NEXT) | instid1(VALU_DEP_3)
	v_add_f32_e32 v13, v12, v8
	v_add_co_u32 v11, vcc_lo, s4, v9
	s_wait_alu 0xfffd
	v_add_co_ci_u32_e64 v12, null, s5, v10, vcc_lo
	v_add_co_u32 v9, vcc_lo, s6, v9
	s_wait_alu 0xfffd
	v_add_co_ci_u32_e64 v10, null, s7, v10, vcc_lo
	global_load_b32 v11, v[11:12], off
	global_load_b32 v9, v[9:10], off
	s_wait_loadcnt 0x0
	v_sub_f32_e32 v9, v11, v9
	s_delay_alu instid0(VALU_DEP_1) | instskip(SKIP_2) | instid1(VALU_DEP_2)
	v_add_f32_e32 v13, v13, v9
	v_lshlrev_b64_e32 v[9:10], 2, v[0:1]
	v_add_nc_u32_e32 v0, s2, v0
	v_add_co_u32 v11, vcc_lo, s4, v9
	s_wait_alu 0xfffd
	s_delay_alu instid0(VALU_DEP_3)
	v_add_co_ci_u32_e64 v12, null, s5, v10, vcc_lo
	v_add_co_u32 v9, vcc_lo, s6, v9
	s_wait_alu 0xfffd
	v_add_co_ci_u32_e64 v10, null, s7, v10, vcc_lo
	global_load_b32 v11, v[11:12], off
	global_load_b32 v9, v[9:10], off
	s_wait_loadcnt 0x0
	v_sub_f32_e32 v9, v11, v9
	s_delay_alu instid0(VALU_DEP_1) | instskip(SKIP_3) | instid1(VALU_DEP_2)
	v_add_f32_e32 v13, v13, v9
	v_lshlrev_b64_e32 v[9:10], 2, v[0:1]
	v_add_nc_u32_e32 v0, s0, v0
	s_load_b64 s[0:1], s[12:13], 0x18
	v_add_co_u32 v11, vcc_lo, s4, v9
	s_wait_alu 0xfffd
	s_delay_alu instid0(VALU_DEP_3)
	v_add_co_ci_u32_e64 v12, null, s5, v10, vcc_lo
	v_add_co_u32 v9, vcc_lo, s6, v9
	s_wait_alu 0xfffd
	v_add_co_ci_u32_e64 v10, null, s7, v10, vcc_lo
	global_load_b32 v11, v[11:12], off
	global_load_b32 v9, v[9:10], off
	s_wait_loadcnt 0x0
	v_sub_f32_e32 v9, v11, v9
	s_delay_alu instid0(VALU_DEP_1) | instskip(SKIP_2) | instid1(VALU_DEP_2)
	v_sub_f32_e32 v13, v13, v9
	v_lshlrev_b64_e32 v[9:10], 2, v[0:1]
	v_add_nc_u32_e32 v0, s2, v0
	v_add_co_u32 v11, vcc_lo, s4, v9
	s_wait_alu 0xfffd
	s_delay_alu instid0(VALU_DEP_3)
	v_add_co_ci_u32_e64 v12, null, s5, v10, vcc_lo
	v_add_co_u32 v9, vcc_lo, s6, v9
	s_wait_alu 0xfffd
	v_add_co_ci_u32_e64 v10, null, s7, v10, vcc_lo
	global_load_b32 v11, v[11:12], off
	global_load_b32 v9, v[9:10], off
	s_wait_loadcnt 0x0
	v_sub_f32_e32 v9, v11, v9
	s_delay_alu instid0(VALU_DEP_1) | instskip(SKIP_2) | instid1(VALU_DEP_2)
	v_add_f32_e32 v13, v13, v9
	v_lshlrev_b64_e32 v[9:10], 2, v[0:1]
	v_add_nc_u32_e32 v0, s2, v0
	v_add_co_u32 v11, vcc_lo, s4, v9
	s_wait_alu 0xfffd
	s_delay_alu instid0(VALU_DEP_3)
	v_add_co_ci_u32_e64 v12, null, s5, v10, vcc_lo
	v_add_co_u32 v9, vcc_lo, s6, v9
	s_wait_alu 0xfffd
	v_add_co_ci_u32_e64 v10, null, s7, v10, vcc_lo
	global_load_b32 v11, v[11:12], off
	global_load_b32 v9, v[9:10], off
	s_wait_loadcnt 0x0
	v_sub_f32_e32 v9, v11, v9
	s_delay_alu instid0(VALU_DEP_1) | instskip(SKIP_2) | instid1(VALU_DEP_2)
	v_sub_f32_e32 v13, v13, v9
	v_lshlrev_b64_e32 v[9:10], 2, v[0:1]
	v_add_nc_u32_e32 v0, s2, v0
	v_add_co_u32 v11, vcc_lo, s4, v9
	s_wait_alu 0xfffd
	s_delay_alu instid0(VALU_DEP_3)
	v_add_co_ci_u32_e64 v12, null, s5, v10, vcc_lo
	v_add_co_u32 v9, vcc_lo, s6, v9
	s_wait_alu 0xfffd
	v_add_co_ci_u32_e64 v10, null, s7, v10, vcc_lo
	global_load_b32 v11, v[11:12], off
	global_load_b32 v9, v[9:10], off
	s_wait_loadcnt 0x0
	v_sub_f32_e32 v9, v11, v9
	v_lshlrev_b64_e32 v[10:11], 2, v[0:1]
	v_add_nc_u32_e32 v0, s2, v0
	s_delay_alu instid0(VALU_DEP_3) | instskip(NEXT) | instid1(VALU_DEP_3)
	v_sub_f32_e32 v14, v13, v9
	v_add_co_u32 v12, vcc_lo, s4, v10
	s_wait_alu 0xfffd
	s_delay_alu instid0(VALU_DEP_4)
	v_add_co_ci_u32_e64 v13, null, s5, v11, vcc_lo
	v_add_co_u32 v10, vcc_lo, s6, v10
	s_wait_alu 0xfffd
	v_add_co_ci_u32_e64 v11, null, s7, v11, vcc_lo
	global_load_b32 v12, v[12:13], off
	global_load_b32 v10, v[10:11], off
	s_wait_loadcnt 0x0
	v_sub_f32_e32 v10, v12, v10
	s_delay_alu instid0(VALU_DEP_1) | instskip(SKIP_2) | instid1(VALU_DEP_2)
	v_sub_f32_e32 v14, v14, v10
	v_lshlrev_b64_e32 v[10:11], 2, v[0:1]
	v_add_nc_u32_e32 v0, s3, v0
	v_add_co_u32 v12, vcc_lo, s4, v10
	s_wait_alu 0xfffd
	s_delay_alu instid0(VALU_DEP_3)
	v_add_co_ci_u32_e64 v13, null, s5, v11, vcc_lo
	v_add_co_u32 v10, vcc_lo, s6, v10
	s_wait_alu 0xfffd
	v_add_co_ci_u32_e64 v11, null, s7, v11, vcc_lo
	global_load_b32 v12, v[12:13], off
	global_load_b32 v10, v[10:11], off
	s_wait_loadcnt 0x0
	v_sub_f32_e32 v15, v12, v10
	v_lshlrev_b64_e32 v[10:11], 2, v[0:1]
	v_add_nc_u32_e32 v0, s2, v0
	s_delay_alu instid0(VALU_DEP_3) | instskip(NEXT) | instid1(VALU_DEP_3)
	v_add_f32_e32 v14, v14, v15
	v_add_co_u32 v12, vcc_lo, s4, v10
	s_wait_alu 0xfffd
	s_delay_alu instid0(VALU_DEP_4)
	v_add_co_ci_u32_e64 v13, null, s5, v11, vcc_lo
	v_add_co_u32 v10, vcc_lo, s6, v10
	s_wait_alu 0xfffd
	v_add_co_ci_u32_e64 v11, null, s7, v11, vcc_lo
	global_load_b32 v12, v[12:13], off
	global_load_b32 v10, v[10:11], off
	s_wait_loadcnt 0x0
	v_sub_f32_e32 v10, v12, v10
	s_delay_alu instid0(VALU_DEP_1) | instskip(SKIP_2) | instid1(VALU_DEP_2)
	v_sub_f32_e32 v14, v14, v10
	v_lshlrev_b64_e32 v[10:11], 2, v[0:1]
	v_add_nc_u32_e32 v0, s3, v0
	v_add_co_u32 v12, vcc_lo, s4, v10
	s_wait_alu 0xfffd
	s_delay_alu instid0(VALU_DEP_3)
	v_add_co_ci_u32_e64 v13, null, s5, v11, vcc_lo
	v_add_co_u32 v10, vcc_lo, s6, v10
	s_wait_alu 0xfffd
	v_add_co_ci_u32_e64 v11, null, s7, v11, vcc_lo
	global_load_b32 v12, v[12:13], off
	global_load_b32 v10, v[10:11], off
	s_wait_loadcnt 0x0
	v_sub_f32_e32 v10, v12, v10
	s_delay_alu instid0(VALU_DEP_1) | instskip(SKIP_1) | instid1(VALU_DEP_1)
	v_sub_f32_e32 v14, v14, v10
	v_lshlrev_b64_e32 v[10:11], 2, v[0:1]
	v_add_co_u32 v12, vcc_lo, s4, v10
	s_wait_alu 0xfffd
	s_delay_alu instid0(VALU_DEP_2)
	v_add_co_ci_u32_e64 v13, null, s5, v11, vcc_lo
	v_add_co_u32 v10, vcc_lo, s6, v10
	s_wait_alu 0xfffd
	v_add_co_ci_u32_e64 v11, null, s7, v11, vcc_lo
	global_load_b32 v12, v[12:13], off
	global_load_b32 v10, v[10:11], off
	s_wait_loadcnt 0x0
	v_sub_f32_e32 v16, v12, v10
	v_mad_co_u64_u32 v[10:11], null, s2, 6, v[0:1]
	v_mov_b32_e32 v11, v1
	s_delay_alu instid0(VALU_DEP_3) | instskip(NEXT) | instid1(VALU_DEP_2)
	v_sub_f32_e32 v17, v14, v16
	v_lshlrev_b64_e32 v[11:12], 2, v[10:11]
	s_delay_alu instid0(VALU_DEP_1) | instskip(SKIP_1) | instid1(VALU_DEP_2)
	v_add_co_u32 v13, vcc_lo, s4, v11
	s_wait_alu 0xfffd
	v_add_co_ci_u32_e64 v14, null, s5, v12, vcc_lo
	v_add_co_u32 v11, vcc_lo, s6, v11
	s_wait_alu 0xfffd
	v_add_co_ci_u32_e64 v12, null, s7, v12, vcc_lo
	global_load_b32 v0, v[13:14], off
	global_load_b32 v11, v[11:12], off
	s_wait_loadcnt 0x0
	v_sub_f32_e32 v0, v0, v11
	s_delay_alu instid0(VALU_DEP_1) | instskip(SKIP_1) | instid1(VALU_DEP_1)
	v_add_f32_e32 v14, v17, v0
	v_add_nc_u32_e32 v0, s2, v10
	v_lshlrev_b64_e32 v[10:11], 2, v[0:1]
	s_delay_alu instid0(VALU_DEP_1) | instskip(SKIP_1) | instid1(VALU_DEP_2)
	v_add_co_u32 v12, vcc_lo, s4, v10
	s_wait_alu 0xfffd
	v_add_co_ci_u32_e64 v13, null, s5, v11, vcc_lo
	v_add_co_u32 v10, vcc_lo, s6, v10
	s_wait_alu 0xfffd
	v_add_co_ci_u32_e64 v11, null, s7, v11, vcc_lo
	global_load_b32 v12, v[12:13], off
	global_load_b32 v10, v[10:11], off
	s_wait_loadcnt 0x0
	v_sub_f32_e32 v10, v12, v10
	s_delay_alu instid0(VALU_DEP_1) | instskip(NEXT) | instid1(VALU_DEP_1)
	v_sub_f32_e32 v10, v14, v10
	v_mul_f32_e32 v10, s10, v10
	s_wait_kmcnt 0x0
	s_delay_alu instid0(VALU_DEP_1) | instskip(SKIP_2) | instid1(VALU_DEP_1)
	v_mul_f32_e32 v13, s0, v10
	v_mad_co_u64_u32 v[10:11], null, 0xffffff3b, s2, v[0:1]
	v_mov_b32_e32 v11, v1
	v_lshlrev_b64_e32 v[11:12], 2, v[10:11]
	v_add_nc_u32_e32 v0, s3, v10
	s_delay_alu instid0(VALU_DEP_2) | instskip(SKIP_1) | instid1(VALU_DEP_3)
	v_add_co_u32 v11, vcc_lo, s8, v11
	s_wait_alu 0xfffd
	v_add_co_ci_u32_e64 v12, null, s9, v12, vcc_lo
	global_store_b32 v[11:12], v13, off
	v_lshlrev_b64_e32 v[10:11], 2, v[0:1]
	v_add_nc_u32_e32 v0, s3, v0
	s_delay_alu instid0(VALU_DEP_2) | instskip(SKIP_1) | instid1(VALU_DEP_3)
	v_add_co_u32 v12, vcc_lo, s4, v10
	s_wait_alu 0xfffd
	v_add_co_ci_u32_e64 v13, null, s5, v11, vcc_lo
	v_add_co_u32 v10, vcc_lo, s6, v10
	s_wait_alu 0xfffd
	v_add_co_ci_u32_e64 v11, null, s7, v11, vcc_lo
	global_load_b32 v12, v[12:13], off
	global_load_b32 v10, v[10:11], off
	s_wait_loadcnt 0x0
	v_sub_f32_e32 v10, v12, v10
	s_delay_alu instid0(VALU_DEP_1) | instskip(SKIP_1) | instid1(VALU_DEP_2)
	v_add_f32_e32 v3, v3, v10
	v_lshlrev_b64_e32 v[10:11], 2, v[0:1]
	v_sub_f32_e32 v3, v3, v6
	s_delay_alu instid0(VALU_DEP_2) | instskip(SKIP_1) | instid1(VALU_DEP_3)
	v_add_co_u32 v12, vcc_lo, s4, v10
	s_wait_alu 0xfffd
	v_add_co_ci_u32_e64 v13, null, s5, v11, vcc_lo
	v_add_co_u32 v10, vcc_lo, s6, v10
	s_wait_alu 0xfffd
	v_add_co_ci_u32_e64 v11, null, s7, v11, vcc_lo
	global_load_b32 v6, v[12:13], off
	global_load_b32 v10, v[10:11], off
	s_wait_loadcnt 0x0
	v_sub_f32_e32 v6, v6, v10
	s_delay_alu instid0(VALU_DEP_1) | instskip(NEXT) | instid1(VALU_DEP_1)
	v_sub_f32_e32 v3, v3, v6
	v_sub_f32_e32 v3, v3, v4
	s_delay_alu instid0(VALU_DEP_1) | instskip(NEXT) | instid1(VALU_DEP_1)
	v_sub_f32_e32 v2, v3, v2
	v_add_f32_e32 v2, v5, v2
	s_delay_alu instid0(VALU_DEP_1) | instskip(NEXT) | instid1(VALU_DEP_1)
	v_sub_f32_e32 v2, v2, v7
	v_sub_f32_e32 v2, v2, v8
	s_delay_alu instid0(VALU_DEP_1) | instskip(NEXT) | instid1(VALU_DEP_1)
	v_add_f32_e32 v2, v9, v2
	v_sub_f32_e32 v2, v2, v15
	s_delay_alu instid0(VALU_DEP_1) | instskip(NEXT) | instid1(VALU_DEP_1)
	v_add_f32_e32 v2, v16, v2
	v_mul_f32_e32 v2, s10, v2
	s_delay_alu instid0(VALU_DEP_1) | instskip(SKIP_2) | instid1(VALU_DEP_1)
	v_mul_f32_e32 v4, s1, v2
	v_mad_co_u64_u32 v[2:3], null, 0xffffffef, s2, v[0:1]
	v_mov_b32_e32 v3, v1
	v_lshlrev_b64_e32 v[0:1], 2, v[2:3]
	s_delay_alu instid0(VALU_DEP_1) | instskip(SKIP_1) | instid1(VALU_DEP_2)
	v_add_co_u32 v0, vcc_lo, s8, v0
	s_wait_alu 0xfffd
	v_add_co_ci_u32_e64 v1, null, s9, v1, vcc_lo
	global_store_b32 v[0:1], v4, off
	s_endpgm
	.section	.rodata,"a",@progbits
	.p2align	6, 0x0
	.amdhsa_kernel _Z14rdwdot8_kernelIfEvPKT_S2_PS0_S0_S2_
		.amdhsa_group_segment_fixed_size 0
		.amdhsa_private_segment_fixed_size 0
		.amdhsa_kernarg_size 296
		.amdhsa_user_sgpr_count 2
		.amdhsa_user_sgpr_dispatch_ptr 0
		.amdhsa_user_sgpr_queue_ptr 0
		.amdhsa_user_sgpr_kernarg_segment_ptr 1
		.amdhsa_user_sgpr_dispatch_id 0
		.amdhsa_user_sgpr_private_segment_size 0
		.amdhsa_wavefront_size32 1
		.amdhsa_uses_dynamic_stack 0
		.amdhsa_enable_private_segment 0
		.amdhsa_system_sgpr_workgroup_id_x 1
		.amdhsa_system_sgpr_workgroup_id_y 0
		.amdhsa_system_sgpr_workgroup_id_z 0
		.amdhsa_system_sgpr_workgroup_info 0
		.amdhsa_system_vgpr_workitem_id 0
		.amdhsa_next_free_vgpr 18
		.amdhsa_next_free_sgpr 15
		.amdhsa_reserve_vcc 1
		.amdhsa_float_round_mode_32 0
		.amdhsa_float_round_mode_16_64 0
		.amdhsa_float_denorm_mode_32 3
		.amdhsa_float_denorm_mode_16_64 3
		.amdhsa_fp16_overflow 0
		.amdhsa_workgroup_processor_mode 1
		.amdhsa_memory_ordered 1
		.amdhsa_forward_progress 1
		.amdhsa_inst_pref_size 33
		.amdhsa_round_robin_scheduling 0
		.amdhsa_exception_fp_ieee_invalid_op 0
		.amdhsa_exception_fp_denorm_src 0
		.amdhsa_exception_fp_ieee_div_zero 0
		.amdhsa_exception_fp_ieee_overflow 0
		.amdhsa_exception_fp_ieee_underflow 0
		.amdhsa_exception_fp_ieee_inexact 0
		.amdhsa_exception_int_div_zero 0
	.end_amdhsa_kernel
	.section	.text._Z14rdwdot8_kernelIfEvPKT_S2_PS0_S0_S2_,"axG",@progbits,_Z14rdwdot8_kernelIfEvPKT_S2_PS0_S0_S2_,comdat
.Lfunc_end24:
	.size	_Z14rdwdot8_kernelIfEvPKT_S2_PS0_S0_S2_, .Lfunc_end24-_Z14rdwdot8_kernelIfEvPKT_S2_PS0_S0_S2_
                                        ; -- End function
	.set _Z14rdwdot8_kernelIfEvPKT_S2_PS0_S0_S2_.num_vgpr, 18
	.set _Z14rdwdot8_kernelIfEvPKT_S2_PS0_S0_S2_.num_agpr, 0
	.set _Z14rdwdot8_kernelIfEvPKT_S2_PS0_S0_S2_.numbered_sgpr, 15
	.set _Z14rdwdot8_kernelIfEvPKT_S2_PS0_S0_S2_.num_named_barrier, 0
	.set _Z14rdwdot8_kernelIfEvPKT_S2_PS0_S0_S2_.private_seg_size, 0
	.set _Z14rdwdot8_kernelIfEvPKT_S2_PS0_S0_S2_.uses_vcc, 1
	.set _Z14rdwdot8_kernelIfEvPKT_S2_PS0_S0_S2_.uses_flat_scratch, 0
	.set _Z14rdwdot8_kernelIfEvPKT_S2_PS0_S0_S2_.has_dyn_sized_stack, 0
	.set _Z14rdwdot8_kernelIfEvPKT_S2_PS0_S0_S2_.has_recursion, 0
	.set _Z14rdwdot8_kernelIfEvPKT_S2_PS0_S0_S2_.has_indirect_call, 0
	.section	.AMDGPU.csdata,"",@progbits
; Kernel info:
; codeLenInByte = 4208
; TotalNumSgprs: 17
; NumVgprs: 18
; ScratchSize: 0
; MemoryBound: 0
; FloatMode: 240
; IeeeMode: 1
; LDSByteSize: 0 bytes/workgroup (compile time only)
; SGPRBlocks: 0
; VGPRBlocks: 2
; NumSGPRsForWavesPerEU: 17
; NumVGPRsForWavesPerEU: 18
; Occupancy: 16
; WaveLimiterHint : 0
; COMPUTE_PGM_RSRC2:SCRATCH_EN: 0
; COMPUTE_PGM_RSRC2:USER_SGPR: 2
; COMPUTE_PGM_RSRC2:TRAP_HANDLER: 0
; COMPUTE_PGM_RSRC2:TGID_X_EN: 1
; COMPUTE_PGM_RSRC2:TGID_Y_EN: 0
; COMPUTE_PGM_RSRC2:TGID_Z_EN: 0
; COMPUTE_PGM_RSRC2:TIDIG_COMP_CNT: 0
	.section	.text._Z14rdwdot9_kernelIfEvPKT_S2_PS0_S0_S2_,"axG",@progbits,_Z14rdwdot9_kernelIfEvPKT_S2_PS0_S0_S2_,comdat
	.protected	_Z14rdwdot9_kernelIfEvPKT_S2_PS0_S0_S2_ ; -- Begin function _Z14rdwdot9_kernelIfEvPKT_S2_PS0_S0_S2_
	.globl	_Z14rdwdot9_kernelIfEvPKT_S2_PS0_S0_S2_
	.p2align	8
	.type	_Z14rdwdot9_kernelIfEvPKT_S2_PS0_S0_S2_,@function
_Z14rdwdot9_kernelIfEvPKT_S2_PS0_S0_S2_: ; @_Z14rdwdot9_kernelIfEvPKT_S2_PS0_S0_S2_
; %bb.0:
	s_clause 0x3
	s_load_b128 s[4:7], s[0:1], 0x0
	s_load_b96 s[8:10], s[0:1], 0x10
	s_load_b96 s[12:14], s[0:1], 0x20
	s_load_b32 s0, s[0:1], 0x34
	s_wait_kmcnt 0x0
	s_and_b32 s1, s0, 0xffff
	s_delay_alu instid0(SALU_CYCLE_1)
	v_mad_co_u64_u32 v[3:4], null, ttmp9, s1, v[0:1]
	s_mul_i32 s0, s14, s1
	s_wait_alu 0xfffe
	s_mul_i32 s14, s0, 5
	s_mul_i32 s1, s0, 6
	;; [unrolled: 1-line block ×3, first 2 shown]
	s_lshl_b32 s11, s0, 2
	v_mad_co_u64_u32 v[0:1], null, s0, 26, v[3:4]
	v_mov_b32_e32 v1, 0
	s_lshl_b32 s2, s0, 1
	s_lshl_b32 s15, s0, 3
	s_delay_alu instid0(VALU_DEP_1) | instskip(SKIP_1) | instid1(VALU_DEP_2)
	v_lshlrev_b64_e32 v[4:5], 2, v[0:1]
	v_add_nc_u32_e32 v0, s0, v0
	v_add_co_u32 v6, vcc_lo, s4, v4
	s_delay_alu instid0(VALU_DEP_1)
	v_add_co_ci_u32_e64 v7, null, s5, v5, vcc_lo
	v_add_co_u32 v4, vcc_lo, s6, v4
	s_wait_alu 0xfffd
	v_add_co_ci_u32_e64 v5, null, s7, v5, vcc_lo
	global_load_b32 v2, v[6:7], off
	global_load_b32 v4, v[4:5], off
	s_wait_loadcnt 0x0
	v_sub_f32_e32 v2, v2, v4
	v_lshlrev_b64_e32 v[4:5], 2, v[0:1]
	s_delay_alu instid0(VALU_DEP_1) | instskip(SKIP_1) | instid1(VALU_DEP_2)
	v_add_co_u32 v6, vcc_lo, s4, v4
	s_wait_alu 0xfffd
	v_add_co_ci_u32_e64 v7, null, s5, v5, vcc_lo
	v_add_co_u32 v4, vcc_lo, s6, v4
	s_wait_alu 0xfffd
	v_add_co_ci_u32_e64 v5, null, s7, v5, vcc_lo
	global_load_b32 v0, v[6:7], off
	global_load_b32 v4, v[4:5], off
	s_wait_loadcnt 0x0
	v_sub_f32_e32 v0, v0, v4
	v_mov_b32_e32 v4, v1
	s_delay_alu instid0(VALU_DEP_2) | instskip(NEXT) | instid1(VALU_DEP_2)
	v_add_f32_e32 v2, v2, v0
	v_lshlrev_b64_e32 v[4:5], 2, v[3:4]
	s_delay_alu instid0(VALU_DEP_1) | instskip(SKIP_1) | instid1(VALU_DEP_2)
	v_add_co_u32 v6, vcc_lo, s4, v4
	s_wait_alu 0xfffd
	v_add_co_ci_u32_e64 v7, null, s5, v5, vcc_lo
	v_add_co_u32 v4, vcc_lo, s6, v4
	s_wait_alu 0xfffd
	v_add_co_ci_u32_e64 v5, null, s7, v5, vcc_lo
	global_load_b32 v0, v[6:7], off
	global_load_b32 v4, v[4:5], off
	s_wait_loadcnt 0x0
	v_dual_sub_f32 v7, v0, v4 :: v_dual_add_nc_u32 v0, s0, v3
	s_delay_alu instid0(VALU_DEP_1) | instskip(SKIP_1) | instid1(VALU_DEP_2)
	v_lshlrev_b64_e32 v[3:4], 2, v[0:1]
	v_add_nc_u32_e32 v0, s0, v0
	v_add_co_u32 v5, vcc_lo, s4, v3
	s_wait_alu 0xfffd
	s_delay_alu instid0(VALU_DEP_3)
	v_add_co_ci_u32_e64 v6, null, s5, v4, vcc_lo
	v_add_co_u32 v3, vcc_lo, s6, v3
	s_wait_alu 0xfffd
	v_add_co_ci_u32_e64 v4, null, s7, v4, vcc_lo
	global_load_b32 v5, v[5:6], off
	global_load_b32 v3, v[3:4], off
	s_wait_loadcnt 0x0
	v_sub_f32_e32 v3, v5, v3
	s_delay_alu instid0(VALU_DEP_1) | instskip(SKIP_2) | instid1(VALU_DEP_2)
	v_add_f32_e32 v7, v7, v3
	v_lshlrev_b64_e32 v[3:4], 2, v[0:1]
	v_add_nc_u32_e32 v0, s0, v0
	v_add_co_u32 v5, vcc_lo, s4, v3
	s_wait_alu 0xfffd
	s_delay_alu instid0(VALU_DEP_3)
	v_add_co_ci_u32_e64 v6, null, s5, v4, vcc_lo
	v_add_co_u32 v3, vcc_lo, s6, v3
	s_wait_alu 0xfffd
	v_add_co_ci_u32_e64 v4, null, s7, v4, vcc_lo
	global_load_b32 v5, v[5:6], off
	global_load_b32 v3, v[3:4], off
	s_wait_loadcnt 0x0
	v_sub_f32_e32 v3, v5, v3
	s_delay_alu instid0(VALU_DEP_1) | instskip(SKIP_1) | instid1(VALU_DEP_1)
	v_sub_f32_e32 v7, v7, v3
	v_lshlrev_b64_e32 v[3:4], 2, v[0:1]
	v_add_co_u32 v5, vcc_lo, s4, v3
	s_wait_alu 0xfffd
	s_delay_alu instid0(VALU_DEP_2)
	v_add_co_ci_u32_e64 v6, null, s5, v4, vcc_lo
	v_add_co_u32 v3, vcc_lo, s6, v3
	s_wait_alu 0xfffd
	v_add_co_ci_u32_e64 v4, null, s7, v4, vcc_lo
	global_load_b32 v5, v[5:6], off
	global_load_b32 v3, v[3:4], off
	s_wait_loadcnt 0x0
	v_sub_f32_e32 v3, v5, v3
	s_delay_alu instid0(VALU_DEP_1) | instskip(NEXT) | instid1(VALU_DEP_1)
	v_sub_f32_e32 v4, v7, v3
	v_dual_sub_f32 v7, v4, v3 :: v_dual_add_nc_u32 v0, s14, v0
	s_delay_alu instid0(VALU_DEP_1) | instskip(NEXT) | instid1(VALU_DEP_1)
	v_lshlrev_b64_e32 v[3:4], 2, v[0:1]
	v_add_co_u32 v5, vcc_lo, s4, v3
	s_wait_alu 0xfffd
	s_delay_alu instid0(VALU_DEP_2)
	v_add_co_ci_u32_e64 v6, null, s5, v4, vcc_lo
	v_add_co_u32 v3, vcc_lo, s6, v3
	s_wait_alu 0xfffd
	v_add_co_ci_u32_e64 v4, null, s7, v4, vcc_lo
	global_load_b32 v5, v[5:6], off
	global_load_b32 v3, v[3:4], off
	s_wait_loadcnt 0x0
	v_dual_sub_f32 v3, v5, v3 :: v_dual_add_nc_u32 v0, s0, v0
	s_delay_alu instid0(VALU_DEP_1) | instskip(NEXT) | instid1(VALU_DEP_2)
	v_sub_f32_e32 v7, v7, v3
	v_lshlrev_b64_e32 v[3:4], 2, v[0:1]
	s_wait_alu 0xfffe
	v_add_nc_u32_e32 v0, s1, v0
	s_delay_alu instid0(VALU_DEP_2) | instskip(SKIP_1) | instid1(VALU_DEP_3)
	v_add_co_u32 v5, vcc_lo, s4, v3
	s_wait_alu 0xfffd
	v_add_co_ci_u32_e64 v6, null, s5, v4, vcc_lo
	v_add_co_u32 v3, vcc_lo, s6, v3
	s_wait_alu 0xfffd
	v_add_co_ci_u32_e64 v4, null, s7, v4, vcc_lo
	global_load_b32 v5, v[5:6], off
	global_load_b32 v3, v[3:4], off
	s_wait_loadcnt 0x0
	v_sub_f32_e32 v3, v5, v3
	s_delay_alu instid0(VALU_DEP_1) | instskip(SKIP_2) | instid1(VALU_DEP_2)
	v_add_f32_e32 v7, v7, v3
	v_lshlrev_b64_e32 v[3:4], 2, v[0:1]
	v_add_nc_u32_e32 v0, s3, v0
	v_add_co_u32 v5, vcc_lo, s4, v3
	s_wait_alu 0xfffd
	s_delay_alu instid0(VALU_DEP_3)
	v_add_co_ci_u32_e64 v6, null, s5, v4, vcc_lo
	v_add_co_u32 v3, vcc_lo, s6, v3
	s_wait_alu 0xfffd
	v_add_co_ci_u32_e64 v4, null, s7, v4, vcc_lo
	global_load_b32 v5, v[5:6], off
	global_load_b32 v3, v[3:4], off
	s_wait_loadcnt 0x0
	v_sub_f32_e32 v3, v5, v3
	s_delay_alu instid0(VALU_DEP_1) | instskip(NEXT) | instid1(VALU_DEP_1)
	v_sub_f32_e32 v4, v7, v3
	v_sub_f32_e32 v7, v4, v3
	v_lshlrev_b64_e32 v[3:4], 2, v[0:1]
	v_add_nc_u32_e32 v0, s0, v0
	s_delay_alu instid0(VALU_DEP_2) | instskip(SKIP_1) | instid1(VALU_DEP_3)
	v_add_co_u32 v5, vcc_lo, s4, v3
	s_wait_alu 0xfffd
	v_add_co_ci_u32_e64 v6, null, s5, v4, vcc_lo
	v_add_co_u32 v3, vcc_lo, s6, v3
	s_wait_alu 0xfffd
	v_add_co_ci_u32_e64 v4, null, s7, v4, vcc_lo
	global_load_b32 v5, v[5:6], off
	global_load_b32 v3, v[3:4], off
	s_wait_loadcnt 0x0
	v_sub_f32_e32 v3, v5, v3
	s_delay_alu instid0(VALU_DEP_1) | instskip(NEXT) | instid1(VALU_DEP_1)
	v_add_f32_e32 v4, v7, v3
	v_add_f32_e32 v7, v3, v4
	v_lshlrev_b64_e32 v[3:4], 2, v[0:1]
	v_add_nc_u32_e32 v0, s0, v0
	s_delay_alu instid0(VALU_DEP_2) | instskip(SKIP_1) | instid1(VALU_DEP_3)
	v_add_co_u32 v5, vcc_lo, s4, v3
	s_wait_alu 0xfffd
	v_add_co_ci_u32_e64 v6, null, s5, v4, vcc_lo
	v_add_co_u32 v3, vcc_lo, s6, v3
	s_wait_alu 0xfffd
	v_add_co_ci_u32_e64 v4, null, s7, v4, vcc_lo
	global_load_b32 v5, v[5:6], off
	global_load_b32 v3, v[3:4], off
	s_wait_loadcnt 0x0
	v_sub_f32_e32 v3, v5, v3
	s_delay_alu instid0(VALU_DEP_1) | instskip(SKIP_2) | instid1(VALU_DEP_2)
	v_add_f32_e32 v7, v7, v3
	v_lshlrev_b64_e32 v[3:4], 2, v[0:1]
	v_add_nc_u32_e32 v0, s11, v0
	v_add_co_u32 v5, vcc_lo, s4, v3
	s_wait_alu 0xfffd
	s_delay_alu instid0(VALU_DEP_3)
	v_add_co_ci_u32_e64 v6, null, s5, v4, vcc_lo
	v_add_co_u32 v3, vcc_lo, s6, v3
	s_wait_alu 0xfffd
	v_add_co_ci_u32_e64 v4, null, s7, v4, vcc_lo
	global_load_b32 v5, v[5:6], off
	global_load_b32 v3, v[3:4], off
	s_wait_loadcnt 0x0
	v_sub_f32_e32 v3, v5, v3
	s_delay_alu instid0(VALU_DEP_1) | instskip(SKIP_2) | instid1(VALU_DEP_2)
	v_sub_f32_e32 v7, v7, v3
	v_lshlrev_b64_e32 v[3:4], 2, v[0:1]
	v_add_nc_u32_e32 v0, s0, v0
	v_add_co_u32 v5, vcc_lo, s4, v3
	s_wait_alu 0xfffd
	s_delay_alu instid0(VALU_DEP_3)
	v_add_co_ci_u32_e64 v6, null, s5, v4, vcc_lo
	v_add_co_u32 v3, vcc_lo, s6, v3
	s_wait_alu 0xfffd
	v_add_co_ci_u32_e64 v4, null, s7, v4, vcc_lo
	global_load_b32 v5, v[5:6], off
	global_load_b32 v3, v[3:4], off
	s_wait_loadcnt 0x0
	v_sub_f32_e32 v3, v5, v3
	s_delay_alu instid0(VALU_DEP_1) | instskip(SKIP_2) | instid1(VALU_DEP_2)
	v_add_f32_e32 v7, v7, v3
	v_lshlrev_b64_e32 v[3:4], 2, v[0:1]
	v_add_nc_u32_e32 v0, s11, v0
	v_add_co_u32 v5, vcc_lo, s4, v3
	s_wait_alu 0xfffd
	s_delay_alu instid0(VALU_DEP_3)
	v_add_co_ci_u32_e64 v6, null, s5, v4, vcc_lo
	v_add_co_u32 v3, vcc_lo, s6, v3
	s_wait_alu 0xfffd
	v_add_co_ci_u32_e64 v4, null, s7, v4, vcc_lo
	global_load_b32 v5, v[5:6], off
	global_load_b32 v3, v[3:4], off
	s_wait_loadcnt 0x0
	v_sub_f32_e32 v3, v5, v3
	s_delay_alu instid0(VALU_DEP_1) | instskip(NEXT) | instid1(VALU_DEP_1)
	v_add_f32_e32 v3, v7, v3
	v_sub_f32_e32 v6, v3, v2
	v_lshlrev_b64_e32 v[2:3], 2, v[0:1]
	v_add_nc_u32_e32 v0, s3, v0
	s_delay_alu instid0(VALU_DEP_2) | instskip(SKIP_1) | instid1(VALU_DEP_3)
	v_add_co_u32 v4, vcc_lo, s4, v2
	s_wait_alu 0xfffd
	v_add_co_ci_u32_e64 v5, null, s5, v3, vcc_lo
	v_add_co_u32 v2, vcc_lo, s6, v2
	s_wait_alu 0xfffd
	v_add_co_ci_u32_e64 v3, null, s7, v3, vcc_lo
	global_load_b32 v4, v[4:5], off
	global_load_b32 v2, v[2:3], off
	s_wait_loadcnt 0x0
	v_sub_f32_e32 v2, v4, v2
	s_delay_alu instid0(VALU_DEP_1) | instskip(SKIP_2) | instid1(VALU_DEP_2)
	v_sub_f32_e32 v6, v6, v2
	v_lshlrev_b64_e32 v[2:3], 2, v[0:1]
	v_add_nc_u32_e32 v0, s2, v0
	v_add_co_u32 v4, vcc_lo, s4, v2
	s_wait_alu 0xfffd
	s_delay_alu instid0(VALU_DEP_3)
	v_add_co_ci_u32_e64 v5, null, s5, v3, vcc_lo
	v_add_co_u32 v2, vcc_lo, s6, v2
	s_wait_alu 0xfffd
	v_add_co_ci_u32_e64 v3, null, s7, v3, vcc_lo
	global_load_b32 v4, v[4:5], off
	global_load_b32 v2, v[2:3], off
	s_wait_loadcnt 0x0
	v_sub_f32_e32 v2, v4, v2
	s_delay_alu instid0(VALU_DEP_1) | instskip(SKIP_2) | instid1(VALU_DEP_2)
	v_add_f32_e32 v6, v6, v2
	v_lshlrev_b64_e32 v[2:3], 2, v[0:1]
	v_add_nc_u32_e32 v0, s15, v0
	v_add_co_u32 v4, vcc_lo, s4, v2
	s_wait_alu 0xfffd
	s_delay_alu instid0(VALU_DEP_3)
	v_add_co_ci_u32_e64 v5, null, s5, v3, vcc_lo
	v_add_co_u32 v2, vcc_lo, s6, v2
	s_wait_alu 0xfffd
	v_add_co_ci_u32_e64 v3, null, s7, v3, vcc_lo
	global_load_b32 v4, v[4:5], off
	global_load_b32 v2, v[2:3], off
	s_wait_loadcnt 0x0
	v_sub_f32_e32 v2, v4, v2
	s_delay_alu instid0(VALU_DEP_1) | instskip(SKIP_2) | instid1(VALU_DEP_2)
	v_sub_f32_e32 v6, v6, v2
	v_lshlrev_b64_e32 v[2:3], 2, v[0:1]
	v_add_nc_u32_e32 v0, s2, v0
	v_add_co_u32 v4, vcc_lo, s4, v2
	s_wait_alu 0xfffd
	s_delay_alu instid0(VALU_DEP_3)
	v_add_co_ci_u32_e64 v5, null, s5, v3, vcc_lo
	v_add_co_u32 v2, vcc_lo, s6, v2
	s_wait_alu 0xfffd
	v_add_co_ci_u32_e64 v3, null, s7, v3, vcc_lo
	global_load_b32 v4, v[4:5], off
	global_load_b32 v2, v[2:3], off
	s_wait_loadcnt 0x0
	v_sub_f32_e32 v2, v4, v2
	s_delay_alu instid0(VALU_DEP_1) | instskip(SKIP_2) | instid1(VALU_DEP_2)
	v_add_f32_e32 v6, v6, v2
	v_lshlrev_b64_e32 v[2:3], 2, v[0:1]
	v_add_nc_u32_e32 v0, s1, v0
	v_add_co_u32 v4, vcc_lo, s4, v2
	s_wait_alu 0xfffd
	s_delay_alu instid0(VALU_DEP_3)
	;; [unrolled: 30-line block ×3, first 2 shown]
	v_add_co_ci_u32_e64 v5, null, s5, v3, vcc_lo
	v_add_co_u32 v2, vcc_lo, s6, v2
	s_wait_alu 0xfffd
	v_add_co_ci_u32_e64 v3, null, s7, v3, vcc_lo
	global_load_b32 v4, v[4:5], off
	global_load_b32 v2, v[2:3], off
	s_wait_loadcnt 0x0
	v_sub_f32_e32 v2, v4, v2
	s_delay_alu instid0(VALU_DEP_1) | instskip(SKIP_2) | instid1(VALU_DEP_2)
	v_sub_f32_e32 v6, v6, v2
	v_lshlrev_b64_e32 v[2:3], 2, v[0:1]
	v_add_nc_u32_e32 v0, s0, v0
	v_add_co_u32 v4, vcc_lo, s4, v2
	s_wait_alu 0xfffd
	s_delay_alu instid0(VALU_DEP_3)
	v_add_co_ci_u32_e64 v5, null, s5, v3, vcc_lo
	v_add_co_u32 v2, vcc_lo, s6, v2
	s_wait_alu 0xfffd
	v_add_co_ci_u32_e64 v3, null, s7, v3, vcc_lo
	global_load_b32 v4, v[4:5], off
	global_load_b32 v2, v[2:3], off
	s_wait_loadcnt 0x0
	v_sub_f32_e32 v2, v4, v2
	s_delay_alu instid0(VALU_DEP_1) | instskip(SKIP_2) | instid1(VALU_DEP_2)
	v_sub_f32_e32 v6, v6, v2
	v_lshlrev_b64_e32 v[2:3], 2, v[0:1]
	v_add_nc_u32_e32 v0, s15, v0
	v_add_co_u32 v4, vcc_lo, s4, v2
	s_wait_alu 0xfffd
	s_delay_alu instid0(VALU_DEP_3)
	v_add_co_ci_u32_e64 v5, null, s5, v3, vcc_lo
	v_add_co_u32 v2, vcc_lo, s6, v2
	s_wait_alu 0xfffd
	v_add_co_ci_u32_e64 v3, null, s7, v3, vcc_lo
	global_load_b32 v4, v[4:5], off
	global_load_b32 v2, v[2:3], off
	s_wait_loadcnt 0x0
	v_sub_f32_e32 v2, v4, v2
	s_delay_alu instid0(VALU_DEP_1) | instskip(SKIP_2) | instid1(VALU_DEP_2)
	v_add_f32_e32 v6, v6, v2
	v_lshlrev_b64_e32 v[2:3], 2, v[0:1]
	v_add_nc_u32_e32 v0, s2, v0
	v_add_co_u32 v4, vcc_lo, s4, v2
	s_wait_alu 0xfffd
	s_delay_alu instid0(VALU_DEP_3)
	v_add_co_ci_u32_e64 v5, null, s5, v3, vcc_lo
	v_add_co_u32 v2, vcc_lo, s6, v2
	s_wait_alu 0xfffd
	v_add_co_ci_u32_e64 v3, null, s7, v3, vcc_lo
	global_load_b32 v4, v[4:5], off
	global_load_b32 v2, v[2:3], off
	s_wait_loadcnt 0x0
	v_sub_f32_e32 v2, v4, v2
	s_delay_alu instid0(VALU_DEP_1) | instskip(SKIP_2) | instid1(VALU_DEP_2)
	v_sub_f32_e32 v6, v6, v2
	v_lshlrev_b64_e32 v[2:3], 2, v[0:1]
	v_add_nc_u32_e32 v0, s15, v0
	v_add_co_u32 v4, vcc_lo, s4, v2
	s_wait_alu 0xfffd
	s_delay_alu instid0(VALU_DEP_3)
	v_add_co_ci_u32_e64 v5, null, s5, v3, vcc_lo
	v_add_co_u32 v2, vcc_lo, s6, v2
	s_wait_alu 0xfffd
	v_add_co_ci_u32_e64 v3, null, s7, v3, vcc_lo
	global_load_b32 v4, v[4:5], off
	global_load_b32 v2, v[2:3], off
	s_wait_loadcnt 0x0
	v_sub_f32_e32 v2, v4, v2
	s_delay_alu instid0(VALU_DEP_1) | instskip(SKIP_2) | instid1(VALU_DEP_2)
	v_add_f32_e32 v6, v6, v2
	v_lshlrev_b64_e32 v[2:3], 2, v[0:1]
	v_add_nc_u32_e32 v0, s0, v0
	v_add_co_u32 v4, vcc_lo, s4, v2
	s_wait_alu 0xfffd
	s_delay_alu instid0(VALU_DEP_3)
	v_add_co_ci_u32_e64 v5, null, s5, v3, vcc_lo
	v_add_co_u32 v2, vcc_lo, s6, v2
	s_wait_alu 0xfffd
	v_add_co_ci_u32_e64 v3, null, s7, v3, vcc_lo
	global_load_b32 v4, v[4:5], off
	global_load_b32 v2, v[2:3], off
	s_wait_loadcnt 0x0
	v_sub_f32_e32 v2, v4, v2
	s_delay_alu instid0(VALU_DEP_1) | instskip(SKIP_2) | instid1(VALU_DEP_2)
	v_add_f32_e32 v6, v6, v2
	v_lshlrev_b64_e32 v[2:3], 2, v[0:1]
	v_add_nc_u32_e32 v0, s1, v0
	v_add_co_u32 v4, vcc_lo, s4, v2
	s_wait_alu 0xfffd
	s_delay_alu instid0(VALU_DEP_3)
	v_add_co_ci_u32_e64 v5, null, s5, v3, vcc_lo
	v_add_co_u32 v2, vcc_lo, s6, v2
	s_wait_alu 0xfffd
	v_add_co_ci_u32_e64 v3, null, s7, v3, vcc_lo
	global_load_b32 v4, v[4:5], off
	global_load_b32 v2, v[2:3], off
	s_wait_loadcnt 0x0
	v_sub_f32_e32 v2, v4, v2
	s_delay_alu instid0(VALU_DEP_1) | instskip(SKIP_2) | instid1(VALU_DEP_2)
	v_sub_f32_e32 v6, v6, v2
	v_lshlrev_b64_e32 v[2:3], 2, v[0:1]
	v_add_nc_u32_e32 v0, s0, v0
	v_add_co_u32 v4, vcc_lo, s4, v2
	s_wait_alu 0xfffd
	s_delay_alu instid0(VALU_DEP_3)
	v_add_co_ci_u32_e64 v5, null, s5, v3, vcc_lo
	v_add_co_u32 v2, vcc_lo, s6, v2
	s_wait_alu 0xfffd
	v_add_co_ci_u32_e64 v3, null, s7, v3, vcc_lo
	global_load_b32 v4, v[4:5], off
	global_load_b32 v2, v[2:3], off
	s_wait_loadcnt 0x0
	v_sub_f32_e32 v2, v4, v2
	s_delay_alu instid0(VALU_DEP_1) | instskip(SKIP_2) | instid1(VALU_DEP_2)
	v_sub_f32_e32 v6, v6, v2
	;; [unrolled: 15-line block ×3, first 2 shown]
	v_lshlrev_b64_e32 v[2:3], 2, v[0:1]
	v_add_nc_u32_e32 v0, s2, v0
	v_add_co_u32 v4, vcc_lo, s4, v2
	s_wait_alu 0xfffd
	s_delay_alu instid0(VALU_DEP_3)
	v_add_co_ci_u32_e64 v5, null, s5, v3, vcc_lo
	v_add_co_u32 v2, vcc_lo, s6, v2
	s_wait_alu 0xfffd
	v_add_co_ci_u32_e64 v3, null, s7, v3, vcc_lo
	global_load_b32 v4, v[4:5], off
	global_load_b32 v2, v[2:3], off
	s_wait_loadcnt 0x0
	v_sub_f32_e32 v2, v4, v2
	s_delay_alu instid0(VALU_DEP_1) | instskip(SKIP_1) | instid1(VALU_DEP_1)
	v_add_f32_e32 v6, v6, v2
	v_lshlrev_b64_e32 v[2:3], 2, v[0:1]
	v_add_co_u32 v4, vcc_lo, s4, v2
	s_wait_alu 0xfffd
	s_delay_alu instid0(VALU_DEP_2)
	v_add_co_ci_u32_e64 v5, null, s5, v3, vcc_lo
	v_add_co_u32 v2, vcc_lo, s6, v2
	s_wait_alu 0xfffd
	v_add_co_ci_u32_e64 v3, null, s7, v3, vcc_lo
	global_load_b32 v4, v[4:5], off
	global_load_b32 v2, v[2:3], off
	s_wait_loadcnt 0x0
	v_sub_f32_e32 v2, v4, v2
	s_delay_alu instid0(VALU_DEP_1) | instskip(SKIP_2) | instid1(VALU_DEP_1)
	v_add_f32_e32 v7, v6, v2
	v_mad_co_u64_u32 v[2:3], null, s0, 12, v[0:1]
	v_mov_b32_e32 v3, v1
	v_lshlrev_b64_e32 v[3:4], 2, v[2:3]
	s_delay_alu instid0(VALU_DEP_1) | instskip(SKIP_1) | instid1(VALU_DEP_2)
	v_add_co_u32 v5, vcc_lo, s4, v3
	s_wait_alu 0xfffd
	v_add_co_ci_u32_e64 v6, null, s5, v4, vcc_lo
	v_add_co_u32 v3, vcc_lo, s6, v3
	s_wait_alu 0xfffd
	v_add_co_ci_u32_e64 v4, null, s7, v4, vcc_lo
	global_load_b32 v0, v[5:6], off
	global_load_b32 v3, v[3:4], off
	s_wait_loadcnt 0x0
	v_sub_f32_e32 v0, v0, v3
	s_delay_alu instid0(VALU_DEP_1) | instskip(SKIP_1) | instid1(VALU_DEP_1)
	v_add_f32_e32 v6, v7, v0
	v_add_nc_u32_e32 v0, s2, v2
	v_lshlrev_b64_e32 v[2:3], 2, v[0:1]
	v_add_nc_u32_e32 v0, s0, v0
	s_delay_alu instid0(VALU_DEP_2) | instskip(SKIP_1) | instid1(VALU_DEP_3)
	v_add_co_u32 v4, vcc_lo, s4, v2
	s_wait_alu 0xfffd
	v_add_co_ci_u32_e64 v5, null, s5, v3, vcc_lo
	v_add_co_u32 v2, vcc_lo, s6, v2
	s_wait_alu 0xfffd
	v_add_co_ci_u32_e64 v3, null, s7, v3, vcc_lo
	global_load_b32 v4, v[4:5], off
	global_load_b32 v2, v[2:3], off
	s_wait_loadcnt 0x0
	v_sub_f32_e32 v2, v4, v2
	s_delay_alu instid0(VALU_DEP_1) | instskip(SKIP_2) | instid1(VALU_DEP_2)
	v_add_f32_e32 v6, v6, v2
	v_lshlrev_b64_e32 v[2:3], 2, v[0:1]
	v_add_nc_u32_e32 v0, s3, v0
	v_add_co_u32 v4, vcc_lo, s4, v2
	s_wait_alu 0xfffd
	s_delay_alu instid0(VALU_DEP_3)
	v_add_co_ci_u32_e64 v5, null, s5, v3, vcc_lo
	v_add_co_u32 v2, vcc_lo, s6, v2
	s_wait_alu 0xfffd
	v_add_co_ci_u32_e64 v3, null, s7, v3, vcc_lo
	global_load_b32 v4, v[4:5], off
	global_load_b32 v2, v[2:3], off
	s_wait_loadcnt 0x0
	v_sub_f32_e32 v2, v4, v2
	s_delay_alu instid0(VALU_DEP_1) | instskip(SKIP_2) | instid1(VALU_DEP_2)
	v_sub_f32_e32 v6, v6, v2
	v_lshlrev_b64_e32 v[2:3], 2, v[0:1]
	v_add_nc_u32_e32 v0, s0, v0
	v_add_co_u32 v4, vcc_lo, s4, v2
	s_wait_alu 0xfffd
	s_delay_alu instid0(VALU_DEP_3)
	v_add_co_ci_u32_e64 v5, null, s5, v3, vcc_lo
	v_add_co_u32 v2, vcc_lo, s6, v2
	s_wait_alu 0xfffd
	v_add_co_ci_u32_e64 v3, null, s7, v3, vcc_lo
	global_load_b32 v4, v[4:5], off
	global_load_b32 v2, v[2:3], off
	s_wait_loadcnt 0x0
	v_sub_f32_e32 v2, v4, v2
	s_delay_alu instid0(VALU_DEP_1) | instskip(SKIP_2) | instid1(VALU_DEP_2)
	v_add_f32_e32 v6, v6, v2
	v_lshlrev_b64_e32 v[2:3], 2, v[0:1]
	v_add_nc_u32_e32 v0, s1, v0
	v_add_co_u32 v4, vcc_lo, s4, v2
	s_wait_alu 0xfffd
	s_delay_alu instid0(VALU_DEP_3)
	v_add_co_ci_u32_e64 v5, null, s5, v3, vcc_lo
	v_add_co_u32 v2, vcc_lo, s6, v2
	s_wait_alu 0xfffd
	v_add_co_ci_u32_e64 v3, null, s7, v3, vcc_lo
	global_load_b32 v4, v[4:5], off
	global_load_b32 v2, v[2:3], off
	s_wait_loadcnt 0x0
	v_sub_f32_e32 v2, v4, v2
	s_delay_alu instid0(VALU_DEP_1) | instskip(SKIP_2) | instid1(VALU_DEP_2)
	v_sub_f32_e32 v6, v6, v2
	v_lshlrev_b64_e32 v[2:3], 2, v[0:1]
	v_add_nc_u32_e32 v0, s15, v0
	v_add_co_u32 v4, vcc_lo, s4, v2
	s_wait_alu 0xfffd
	s_delay_alu instid0(VALU_DEP_3)
	;; [unrolled: 30-line block ×3, first 2 shown]
	v_add_co_ci_u32_e64 v5, null, s5, v3, vcc_lo
	v_add_co_u32 v2, vcc_lo, s6, v2
	s_wait_alu 0xfffd
	v_add_co_ci_u32_e64 v3, null, s7, v3, vcc_lo
	global_load_b32 v4, v[4:5], off
	global_load_b32 v2, v[2:3], off
	s_wait_loadcnt 0x0
	v_sub_f32_e32 v2, v4, v2
	s_delay_alu instid0(VALU_DEP_1) | instskip(SKIP_2) | instid1(VALU_DEP_2)
	v_sub_f32_e32 v6, v6, v2
	v_lshlrev_b64_e32 v[2:3], 2, v[0:1]
	v_add_nc_u32_e32 v0, s14, v0
	v_add_co_u32 v4, vcc_lo, s4, v2
	s_wait_alu 0xfffd
	s_delay_alu instid0(VALU_DEP_3)
	v_add_co_ci_u32_e64 v5, null, s5, v3, vcc_lo
	v_add_co_u32 v2, vcc_lo, s6, v2
	s_wait_alu 0xfffd
	v_add_co_ci_u32_e64 v3, null, s7, v3, vcc_lo
	global_load_b32 v4, v[4:5], off
	global_load_b32 v2, v[2:3], off
	s_wait_loadcnt 0x0
	v_sub_f32_e32 v2, v4, v2
	s_delay_alu instid0(VALU_DEP_1) | instskip(SKIP_2) | instid1(VALU_DEP_2)
	v_sub_f32_e32 v6, v6, v2
	v_lshlrev_b64_e32 v[2:3], 2, v[0:1]
	v_add_nc_u32_e32 v0, s2, v0
	v_add_co_u32 v4, vcc_lo, s4, v2
	s_wait_alu 0xfffd
	s_delay_alu instid0(VALU_DEP_3)
	v_add_co_ci_u32_e64 v5, null, s5, v3, vcc_lo
	v_add_co_u32 v2, vcc_lo, s6, v2
	s_wait_alu 0xfffd
	v_add_co_ci_u32_e64 v3, null, s7, v3, vcc_lo
	global_load_b32 v4, v[4:5], off
	global_load_b32 v2, v[2:3], off
	s_wait_loadcnt 0x0
	v_sub_f32_e32 v2, v4, v2
	s_delay_alu instid0(VALU_DEP_1) | instskip(SKIP_2) | instid1(VALU_DEP_2)
	v_add_f32_e32 v6, v6, v2
	v_lshlrev_b64_e32 v[2:3], 2, v[0:1]
	v_add_nc_u32_e32 v0, s1, v0
	v_add_co_u32 v4, vcc_lo, s4, v2
	s_wait_alu 0xfffd
	s_delay_alu instid0(VALU_DEP_3)
	v_add_co_ci_u32_e64 v5, null, s5, v3, vcc_lo
	v_add_co_u32 v2, vcc_lo, s6, v2
	s_wait_alu 0xfffd
	v_add_co_ci_u32_e64 v3, null, s7, v3, vcc_lo
	global_load_b32 v4, v[4:5], off
	global_load_b32 v2, v[2:3], off
	s_wait_loadcnt 0x0
	v_sub_f32_e32 v2, v4, v2
	s_delay_alu instid0(VALU_DEP_1) | instskip(SKIP_2) | instid1(VALU_DEP_2)
	v_sub_f32_e32 v6, v6, v2
	v_lshlrev_b64_e32 v[2:3], 2, v[0:1]
	v_add_nc_u32_e32 v0, s11, v0
	v_add_co_u32 v4, vcc_lo, s4, v2
	s_wait_alu 0xfffd
	s_delay_alu instid0(VALU_DEP_3)
	v_add_co_ci_u32_e64 v5, null, s5, v3, vcc_lo
	v_add_co_u32 v2, vcc_lo, s6, v2
	s_wait_alu 0xfffd
	v_add_co_ci_u32_e64 v3, null, s7, v3, vcc_lo
	global_load_b32 v4, v[4:5], off
	global_load_b32 v2, v[2:3], off
	s_wait_loadcnt 0x0
	v_sub_f32_e32 v2, v4, v2
	s_delay_alu instid0(VALU_DEP_1) | instskip(SKIP_1) | instid1(VALU_DEP_1)
	v_sub_f32_e32 v6, v6, v2
	v_lshlrev_b64_e32 v[2:3], 2, v[0:1]
	v_add_co_u32 v4, vcc_lo, s4, v2
	s_wait_alu 0xfffd
	s_delay_alu instid0(VALU_DEP_2)
	v_add_co_ci_u32_e64 v5, null, s5, v3, vcc_lo
	v_add_co_u32 v2, vcc_lo, s6, v2
	s_wait_alu 0xfffd
	v_add_co_ci_u32_e64 v3, null, s7, v3, vcc_lo
	global_load_b32 v4, v[4:5], off
	global_load_b32 v2, v[2:3], off
	s_wait_loadcnt 0x0
	v_sub_f32_e32 v2, v4, v2
	s_delay_alu instid0(VALU_DEP_1) | instskip(SKIP_2) | instid1(VALU_DEP_1)
	v_add_f32_e32 v7, v6, v2
	v_mad_co_u64_u32 v[2:3], null, s0, 10, v[0:1]
	v_mov_b32_e32 v3, v1
	v_lshlrev_b64_e32 v[3:4], 2, v[2:3]
	s_delay_alu instid0(VALU_DEP_1) | instskip(SKIP_1) | instid1(VALU_DEP_2)
	v_add_co_u32 v5, vcc_lo, s4, v3
	s_wait_alu 0xfffd
	v_add_co_ci_u32_e64 v6, null, s5, v4, vcc_lo
	v_add_co_u32 v3, vcc_lo, s6, v3
	s_wait_alu 0xfffd
	v_add_co_ci_u32_e64 v4, null, s7, v4, vcc_lo
	global_load_b32 v0, v[5:6], off
	global_load_b32 v3, v[3:4], off
	s_wait_loadcnt 0x0
	v_sub_f32_e32 v0, v0, v3
	s_delay_alu instid0(VALU_DEP_1) | instskip(SKIP_1) | instid1(VALU_DEP_1)
	v_add_f32_e32 v6, v7, v0
	v_add_nc_u32_e32 v0, s0, v2
	v_lshlrev_b64_e32 v[2:3], 2, v[0:1]
	v_add_nc_u32_e32 v0, s2, v0
	s_delay_alu instid0(VALU_DEP_2) | instskip(SKIP_1) | instid1(VALU_DEP_3)
	v_add_co_u32 v4, vcc_lo, s4, v2
	s_wait_alu 0xfffd
	v_add_co_ci_u32_e64 v5, null, s5, v3, vcc_lo
	v_add_co_u32 v2, vcc_lo, s6, v2
	s_wait_alu 0xfffd
	v_add_co_ci_u32_e64 v3, null, s7, v3, vcc_lo
	global_load_b32 v4, v[4:5], off
	global_load_b32 v2, v[2:3], off
	s_wait_loadcnt 0x0
	v_sub_f32_e32 v2, v4, v2
	s_delay_alu instid0(VALU_DEP_1) | instskip(SKIP_2) | instid1(VALU_DEP_2)
	v_sub_f32_e32 v6, v6, v2
	v_lshlrev_b64_e32 v[2:3], 2, v[0:1]
	v_add_nc_u32_e32 v0, s11, v0
	v_add_co_u32 v4, vcc_lo, s4, v2
	s_wait_alu 0xfffd
	s_delay_alu instid0(VALU_DEP_3)
	v_add_co_ci_u32_e64 v5, null, s5, v3, vcc_lo
	v_add_co_u32 v2, vcc_lo, s6, v2
	s_wait_alu 0xfffd
	v_add_co_ci_u32_e64 v3, null, s7, v3, vcc_lo
	global_load_b32 v4, v[4:5], off
	global_load_b32 v2, v[2:3], off
	s_wait_loadcnt 0x0
	v_sub_f32_e32 v2, v4, v2
	s_delay_alu instid0(VALU_DEP_1) | instskip(SKIP_2) | instid1(VALU_DEP_2)
	v_add_f32_e32 v6, v6, v2
	v_lshlrev_b64_e32 v[2:3], 2, v[0:1]
	v_add_nc_u32_e32 v0, s3, v0
	v_add_co_u32 v4, vcc_lo, s4, v2
	s_wait_alu 0xfffd
	s_delay_alu instid0(VALU_DEP_3)
	v_add_co_ci_u32_e64 v5, null, s5, v3, vcc_lo
	v_add_co_u32 v2, vcc_lo, s6, v2
	s_wait_alu 0xfffd
	v_add_co_ci_u32_e64 v3, null, s7, v3, vcc_lo
	global_load_b32 v4, v[4:5], off
	global_load_b32 v2, v[2:3], off
	s_wait_loadcnt 0x0
	v_sub_f32_e32 v2, v4, v2
	s_delay_alu instid0(VALU_DEP_1) | instskip(SKIP_2) | instid1(VALU_DEP_2)
	v_add_f32_e32 v6, v6, v2
	v_lshlrev_b64_e32 v[2:3], 2, v[0:1]
	v_add_nc_u32_e32 v0, s2, v0
	v_add_co_u32 v4, vcc_lo, s4, v2
	s_wait_alu 0xfffd
	s_delay_alu instid0(VALU_DEP_3)
	v_add_co_ci_u32_e64 v5, null, s5, v3, vcc_lo
	v_add_co_u32 v2, vcc_lo, s6, v2
	s_wait_alu 0xfffd
	v_add_co_ci_u32_e64 v3, null, s7, v3, vcc_lo
	global_load_b32 v4, v[4:5], off
	global_load_b32 v2, v[2:3], off
	s_wait_loadcnt 0x0
	v_sub_f32_e32 v2, v4, v2
	s_delay_alu instid0(VALU_DEP_1) | instskip(SKIP_1) | instid1(VALU_DEP_1)
	v_sub_f32_e32 v6, v6, v2
	v_lshlrev_b64_e32 v[2:3], 2, v[0:1]
	v_add_co_u32 v4, vcc_lo, s4, v2
	s_wait_alu 0xfffd
	s_delay_alu instid0(VALU_DEP_2)
	v_add_co_ci_u32_e64 v5, null, s5, v3, vcc_lo
	v_add_co_u32 v2, vcc_lo, s6, v2
	s_wait_alu 0xfffd
	v_add_co_ci_u32_e64 v3, null, s7, v3, vcc_lo
	global_load_b32 v4, v[4:5], off
	global_load_b32 v2, v[2:3], off
	s_wait_loadcnt 0x0
	v_sub_f32_e32 v2, v4, v2
	s_delay_alu instid0(VALU_DEP_1) | instskip(SKIP_2) | instid1(VALU_DEP_1)
	v_add_f32_e32 v7, v6, v2
	v_mad_co_u64_u32 v[2:3], null, s0, 14, v[0:1]
	v_mov_b32_e32 v3, v1
	v_lshlrev_b64_e32 v[3:4], 2, v[2:3]
	s_delay_alu instid0(VALU_DEP_1) | instskip(SKIP_1) | instid1(VALU_DEP_2)
	v_add_co_u32 v5, vcc_lo, s4, v3
	s_wait_alu 0xfffd
	v_add_co_ci_u32_e64 v6, null, s5, v4, vcc_lo
	v_add_co_u32 v3, vcc_lo, s6, v3
	s_wait_alu 0xfffd
	v_add_co_ci_u32_e64 v4, null, s7, v4, vcc_lo
	global_load_b32 v0, v[5:6], off
	global_load_b32 v3, v[3:4], off
	s_wait_loadcnt 0x0
	v_sub_f32_e32 v0, v0, v3
	s_delay_alu instid0(VALU_DEP_1) | instskip(SKIP_1) | instid1(VALU_DEP_1)
	v_add_f32_e32 v6, v7, v0
	v_add_nc_u32_e32 v0, s11, v2
	v_lshlrev_b64_e32 v[2:3], 2, v[0:1]
	v_add_nc_u32_e32 v0, s0, v0
	s_delay_alu instid0(VALU_DEP_2) | instskip(SKIP_1) | instid1(VALU_DEP_3)
	v_add_co_u32 v4, vcc_lo, s4, v2
	s_wait_alu 0xfffd
	v_add_co_ci_u32_e64 v5, null, s5, v3, vcc_lo
	v_add_co_u32 v2, vcc_lo, s6, v2
	s_wait_alu 0xfffd
	v_add_co_ci_u32_e64 v3, null, s7, v3, vcc_lo
	global_load_b32 v4, v[4:5], off
	global_load_b32 v2, v[2:3], off
	s_wait_loadcnt 0x0
	v_sub_f32_e32 v2, v4, v2
	s_delay_alu instid0(VALU_DEP_1) | instskip(SKIP_2) | instid1(VALU_DEP_2)
	v_add_f32_e32 v6, v6, v2
	v_lshlrev_b64_e32 v[2:3], 2, v[0:1]
	v_add_nc_u32_e32 v0, s1, v0
	v_add_co_u32 v4, vcc_lo, s4, v2
	s_wait_alu 0xfffd
	s_delay_alu instid0(VALU_DEP_3)
	v_add_co_ci_u32_e64 v5, null, s5, v3, vcc_lo
	v_add_co_u32 v2, vcc_lo, s6, v2
	s_wait_alu 0xfffd
	v_add_co_ci_u32_e64 v3, null, s7, v3, vcc_lo
	global_load_b32 v4, v[4:5], off
	global_load_b32 v2, v[2:3], off
	s_wait_loadcnt 0x0
	v_sub_f32_e32 v2, v4, v2
	s_delay_alu instid0(VALU_DEP_1) | instskip(SKIP_1) | instid1(VALU_DEP_1)
	v_sub_f32_e32 v6, v6, v2
	v_lshlrev_b64_e32 v[2:3], 2, v[0:1]
	v_add_co_u32 v4, vcc_lo, s4, v2
	s_wait_alu 0xfffd
	s_delay_alu instid0(VALU_DEP_2)
	v_add_co_ci_u32_e64 v5, null, s5, v3, vcc_lo
	v_add_co_u32 v2, vcc_lo, s6, v2
	s_wait_alu 0xfffd
	v_add_co_ci_u32_e64 v3, null, s7, v3, vcc_lo
	global_load_b32 v4, v[4:5], off
	global_load_b32 v2, v[2:3], off
	s_wait_loadcnt 0x0
	v_sub_f32_e32 v2, v4, v2
	s_delay_alu instid0(VALU_DEP_1) | instskip(SKIP_2) | instid1(VALU_DEP_1)
	v_add_f32_e32 v7, v6, v2
	v_mad_co_u64_u32 v[2:3], null, s0, 7, v[0:1]
	v_mov_b32_e32 v3, v1
	v_lshlrev_b64_e32 v[3:4], 2, v[2:3]
	s_delay_alu instid0(VALU_DEP_1) | instskip(SKIP_1) | instid1(VALU_DEP_2)
	v_add_co_u32 v5, vcc_lo, s4, v3
	s_wait_alu 0xfffd
	v_add_co_ci_u32_e64 v6, null, s5, v4, vcc_lo
	v_add_co_u32 v3, vcc_lo, s6, v3
	s_wait_alu 0xfffd
	v_add_co_ci_u32_e64 v4, null, s7, v4, vcc_lo
	global_load_b32 v0, v[5:6], off
	global_load_b32 v3, v[3:4], off
	s_wait_loadcnt 0x0
	v_sub_f32_e32 v0, v0, v3
	s_delay_alu instid0(VALU_DEP_1) | instskip(SKIP_1) | instid1(VALU_DEP_1)
	v_add_f32_e32 v6, v7, v0
	v_add_nc_u32_e32 v0, s0, v2
	v_lshlrev_b64_e32 v[2:3], 2, v[0:1]
	v_add_nc_u32_e32 v0, s1, v0
	s_load_b32 s1, s[12:13], 0x10
	s_delay_alu instid0(VALU_DEP_2) | instskip(SKIP_1) | instid1(VALU_DEP_3)
	v_add_co_u32 v4, vcc_lo, s4, v2
	s_wait_alu 0xfffd
	v_add_co_ci_u32_e64 v5, null, s5, v3, vcc_lo
	v_add_co_u32 v2, vcc_lo, s6, v2
	s_wait_alu 0xfffd
	v_add_co_ci_u32_e64 v3, null, s7, v3, vcc_lo
	global_load_b32 v4, v[4:5], off
	global_load_b32 v2, v[2:3], off
	s_wait_loadcnt 0x0
	v_sub_f32_e32 v2, v4, v2
	s_delay_alu instid0(VALU_DEP_1) | instskip(SKIP_2) | instid1(VALU_DEP_2)
	v_sub_f32_e32 v6, v6, v2
	v_lshlrev_b64_e32 v[2:3], 2, v[0:1]
	v_add_nc_u32_e32 v0, s2, v0
	v_add_co_u32 v4, vcc_lo, s4, v2
	s_wait_alu 0xfffd
	s_delay_alu instid0(VALU_DEP_3)
	v_add_co_ci_u32_e64 v5, null, s5, v3, vcc_lo
	v_add_co_u32 v2, vcc_lo, s6, v2
	s_wait_alu 0xfffd
	v_add_co_ci_u32_e64 v3, null, s7, v3, vcc_lo
	global_load_b32 v4, v[4:5], off
	global_load_b32 v2, v[2:3], off
	s_wait_loadcnt 0x0
	v_sub_f32_e32 v2, v4, v2
	s_delay_alu instid0(VALU_DEP_1) | instskip(SKIP_1) | instid1(VALU_DEP_1)
	v_sub_f32_e32 v6, v6, v2
	v_lshlrev_b64_e32 v[2:3], 2, v[0:1]
	v_add_co_u32 v4, vcc_lo, s4, v2
	s_wait_alu 0xfffd
	s_delay_alu instid0(VALU_DEP_2)
	v_add_co_ci_u32_e64 v5, null, s5, v3, vcc_lo
	v_add_co_u32 v2, vcc_lo, s6, v2
	s_wait_alu 0xfffd
	v_add_co_ci_u32_e64 v3, null, s7, v3, vcc_lo
	global_load_b32 v4, v[4:5], off
	global_load_b32 v2, v[2:3], off
	s_wait_loadcnt 0x0
	v_sub_f32_e32 v2, v4, v2
	s_delay_alu instid0(VALU_DEP_1) | instskip(NEXT) | instid1(VALU_DEP_1)
	v_add_f32_e32 v2, v6, v2
	v_mul_f32_e32 v2, s10, v2
	s_wait_kmcnt 0x0
	s_delay_alu instid0(VALU_DEP_1) | instskip(SKIP_2) | instid1(VALU_DEP_1)
	v_mul_f32_e32 v4, s1, v2
	v_mad_co_u64_u32 v[2:3], null, 0xffffff39, s0, v[0:1]
	v_mov_b32_e32 v3, v1
	v_lshlrev_b64_e32 v[0:1], 2, v[2:3]
	s_delay_alu instid0(VALU_DEP_1) | instskip(SKIP_1) | instid1(VALU_DEP_2)
	v_add_co_u32 v0, vcc_lo, s8, v0
	s_wait_alu 0xfffd
	v_add_co_ci_u32_e64 v1, null, s9, v1, vcc_lo
	global_store_b32 v[0:1], v4, off
	s_endpgm
	.section	.rodata,"a",@progbits
	.p2align	6, 0x0
	.amdhsa_kernel _Z14rdwdot9_kernelIfEvPKT_S2_PS0_S0_S2_
		.amdhsa_group_segment_fixed_size 0
		.amdhsa_private_segment_fixed_size 0
		.amdhsa_kernarg_size 296
		.amdhsa_user_sgpr_count 2
		.amdhsa_user_sgpr_dispatch_ptr 0
		.amdhsa_user_sgpr_queue_ptr 0
		.amdhsa_user_sgpr_kernarg_segment_ptr 1
		.amdhsa_user_sgpr_dispatch_id 0
		.amdhsa_user_sgpr_private_segment_size 0
		.amdhsa_wavefront_size32 1
		.amdhsa_uses_dynamic_stack 0
		.amdhsa_enable_private_segment 0
		.amdhsa_system_sgpr_workgroup_id_x 1
		.amdhsa_system_sgpr_workgroup_id_y 0
		.amdhsa_system_sgpr_workgroup_id_z 0
		.amdhsa_system_sgpr_workgroup_info 0
		.amdhsa_system_vgpr_workitem_id 0
		.amdhsa_next_free_vgpr 8
		.amdhsa_next_free_sgpr 16
		.amdhsa_reserve_vcc 1
		.amdhsa_float_round_mode_32 0
		.amdhsa_float_round_mode_16_64 0
		.amdhsa_float_denorm_mode_32 3
		.amdhsa_float_denorm_mode_16_64 3
		.amdhsa_fp16_overflow 0
		.amdhsa_workgroup_processor_mode 1
		.amdhsa_memory_ordered 1
		.amdhsa_forward_progress 1
		.amdhsa_inst_pref_size 44
		.amdhsa_round_robin_scheduling 0
		.amdhsa_exception_fp_ieee_invalid_op 0
		.amdhsa_exception_fp_denorm_src 0
		.amdhsa_exception_fp_ieee_div_zero 0
		.amdhsa_exception_fp_ieee_overflow 0
		.amdhsa_exception_fp_ieee_underflow 0
		.amdhsa_exception_fp_ieee_inexact 0
		.amdhsa_exception_int_div_zero 0
	.end_amdhsa_kernel
	.section	.text._Z14rdwdot9_kernelIfEvPKT_S2_PS0_S0_S2_,"axG",@progbits,_Z14rdwdot9_kernelIfEvPKT_S2_PS0_S0_S2_,comdat
.Lfunc_end25:
	.size	_Z14rdwdot9_kernelIfEvPKT_S2_PS0_S0_S2_, .Lfunc_end25-_Z14rdwdot9_kernelIfEvPKT_S2_PS0_S0_S2_
                                        ; -- End function
	.set _Z14rdwdot9_kernelIfEvPKT_S2_PS0_S0_S2_.num_vgpr, 8
	.set _Z14rdwdot9_kernelIfEvPKT_S2_PS0_S0_S2_.num_agpr, 0
	.set _Z14rdwdot9_kernelIfEvPKT_S2_PS0_S0_S2_.numbered_sgpr, 16
	.set _Z14rdwdot9_kernelIfEvPKT_S2_PS0_S0_S2_.num_named_barrier, 0
	.set _Z14rdwdot9_kernelIfEvPKT_S2_PS0_S0_S2_.private_seg_size, 0
	.set _Z14rdwdot9_kernelIfEvPKT_S2_PS0_S0_S2_.uses_vcc, 1
	.set _Z14rdwdot9_kernelIfEvPKT_S2_PS0_S0_S2_.uses_flat_scratch, 0
	.set _Z14rdwdot9_kernelIfEvPKT_S2_PS0_S0_S2_.has_dyn_sized_stack, 0
	.set _Z14rdwdot9_kernelIfEvPKT_S2_PS0_S0_S2_.has_recursion, 0
	.set _Z14rdwdot9_kernelIfEvPKT_S2_PS0_S0_S2_.has_indirect_call, 0
	.section	.AMDGPU.csdata,"",@progbits
; Kernel info:
; codeLenInByte = 5564
; TotalNumSgprs: 18
; NumVgprs: 8
; ScratchSize: 0
; MemoryBound: 0
; FloatMode: 240
; IeeeMode: 1
; LDSByteSize: 0 bytes/workgroup (compile time only)
; SGPRBlocks: 0
; VGPRBlocks: 0
; NumSGPRsForWavesPerEU: 18
; NumVGPRsForWavesPerEU: 8
; Occupancy: 16
; WaveLimiterHint : 0
; COMPUTE_PGM_RSRC2:SCRATCH_EN: 0
; COMPUTE_PGM_RSRC2:USER_SGPR: 2
; COMPUTE_PGM_RSRC2:TRAP_HANDLER: 0
; COMPUTE_PGM_RSRC2:TGID_X_EN: 1
; COMPUTE_PGM_RSRC2:TGID_Y_EN: 0
; COMPUTE_PGM_RSRC2:TGID_Z_EN: 0
; COMPUTE_PGM_RSRC2:TIDIG_COMP_CNT: 0
	.section	.text._Z15rdwdot10_kernelIfEvPKT_S2_PS0_S0_S2_,"axG",@progbits,_Z15rdwdot10_kernelIfEvPKT_S2_PS0_S0_S2_,comdat
	.protected	_Z15rdwdot10_kernelIfEvPKT_S2_PS0_S0_S2_ ; -- Begin function _Z15rdwdot10_kernelIfEvPKT_S2_PS0_S0_S2_
	.globl	_Z15rdwdot10_kernelIfEvPKT_S2_PS0_S0_S2_
	.p2align	8
	.type	_Z15rdwdot10_kernelIfEvPKT_S2_PS0_S0_S2_,@function
_Z15rdwdot10_kernelIfEvPKT_S2_PS0_S0_S2_: ; @_Z15rdwdot10_kernelIfEvPKT_S2_PS0_S0_S2_
; %bb.0:
	s_clause 0x3
	s_load_b128 s[4:7], s[0:1], 0x0
	s_load_b96 s[8:10], s[0:1], 0x10
	s_load_b96 s[12:14], s[0:1], 0x20
	s_load_b32 s0, s[0:1], 0x34
	v_mov_b32_e32 v3, 0
	s_wait_kmcnt 0x0
	s_load_b32 s21, s[12:13], 0x0
	s_and_b32 s0, s0, 0xffff
	s_delay_alu instid0(SALU_CYCLE_1) | instskip(SKIP_1) | instid1(SALU_CYCLE_1)
	v_mad_co_u64_u32 v[10:11], null, ttmp9, s0, v[0:1]
	s_mul_i32 s2, s14, s0
	s_mul_i32 s1, s2, 11
	;; [unrolled: 1-line block ×3, first 2 shown]
	s_lshl_b32 s3, s2, 2
	s_mul_i32 s14, s2, 15
	s_wait_alu 0xfffe
	v_add_nc_u32_e32 v2, s1, v10
	s_mul_i32 s11, s2, 6
	s_mul_i32 s22, s2, 5
	;; [unrolled: 1-line block ×3, first 2 shown]
	s_lshl_b32 s16, s2, 1
	v_lshlrev_b64_e32 v[0:1], 2, v[2:3]
	v_add_nc_u32_e32 v2, s2, v2
	s_mul_i32 s23, s2, 3
	s_lshl_b32 s18, s2, 3
	s_lshl_b32 s19, s2, 4
	s_mul_i32 s17, s2, 14
	v_add_co_u32 v4, vcc_lo, s4, v0
	s_delay_alu instid0(VALU_DEP_1)
	v_add_co_ci_u32_e64 v5, null, s5, v1, vcc_lo
	v_add_co_u32 v0, vcc_lo, s6, v0
	s_wait_alu 0xfffd
	v_add_co_ci_u32_e64 v1, null, s7, v1, vcc_lo
	global_load_b32 v4, v[4:5], off
	s_mul_i32 s20, s2, 12
	global_load_b32 v0, v[0:1], off
	s_wait_loadcnt 0x0
	v_sub_f32_e32 v6, v4, v0
	v_lshlrev_b64_e32 v[0:1], 2, v[2:3]
	v_add_nc_u32_e32 v2, s2, v2
	s_delay_alu instid0(VALU_DEP_2) | instskip(SKIP_1) | instid1(VALU_DEP_3)
	v_add_co_u32 v4, vcc_lo, s4, v0
	s_wait_alu 0xfffd
	v_add_co_ci_u32_e64 v5, null, s5, v1, vcc_lo
	v_add_co_u32 v0, vcc_lo, s6, v0
	s_wait_alu 0xfffd
	v_add_co_ci_u32_e64 v1, null, s7, v1, vcc_lo
	global_load_b32 v4, v[4:5], off
	global_load_b32 v0, v[0:1], off
	s_wait_loadcnt 0x0
	v_sub_f32_e32 v0, v4, v0
	s_delay_alu instid0(VALU_DEP_1) | instskip(SKIP_2) | instid1(VALU_DEP_2)
	v_add_f32_e32 v6, v6, v0
	v_lshlrev_b64_e32 v[0:1], 2, v[2:3]
	v_add_nc_u32_e32 v2, s2, v2
	v_add_co_u32 v4, vcc_lo, s4, v0
	s_wait_alu 0xfffd
	s_delay_alu instid0(VALU_DEP_3)
	v_add_co_ci_u32_e64 v5, null, s5, v1, vcc_lo
	v_add_co_u32 v0, vcc_lo, s6, v0
	s_wait_alu 0xfffd
	v_add_co_ci_u32_e64 v1, null, s7, v1, vcc_lo
	global_load_b32 v4, v[4:5], off
	global_load_b32 v0, v[0:1], off
	s_wait_loadcnt 0x0
	v_sub_f32_e32 v0, v4, v0
	s_delay_alu instid0(VALU_DEP_1) | instskip(SKIP_2) | instid1(VALU_DEP_2)
	v_add_f32_e32 v6, v6, v0
	v_lshlrev_b64_e32 v[0:1], 2, v[2:3]
	v_add_nc_u32_e32 v2, s0, v2
	v_add_co_u32 v4, vcc_lo, s4, v0
	s_wait_alu 0xfffd
	s_delay_alu instid0(VALU_DEP_3)
	;; [unrolled: 15-line block ×3, first 2 shown]
	v_add_co_ci_u32_e64 v5, null, s5, v1, vcc_lo
	v_add_co_u32 v0, vcc_lo, s6, v0
	s_wait_alu 0xfffd
	v_add_co_ci_u32_e64 v1, null, s7, v1, vcc_lo
	global_load_b32 v4, v[4:5], off
	global_load_b32 v0, v[0:1], off
	s_wait_loadcnt 0x0
	v_sub_f32_e32 v6, v4, v0
	v_lshlrev_b64_e32 v[0:1], 2, v[2:3]
	v_add_nc_u32_e32 v2, s3, v2
	s_delay_alu instid0(VALU_DEP_2) | instskip(SKIP_1) | instid1(VALU_DEP_3)
	v_add_co_u32 v4, vcc_lo, s4, v0
	s_wait_alu 0xfffd
	v_add_co_ci_u32_e64 v5, null, s5, v1, vcc_lo
	v_add_co_u32 v0, vcc_lo, s6, v0
	s_wait_alu 0xfffd
	v_add_co_ci_u32_e64 v1, null, s7, v1, vcc_lo
	global_load_b32 v4, v[4:5], off
	global_load_b32 v0, v[0:1], off
	s_wait_loadcnt 0x0
	v_sub_f32_e32 v0, v4, v0
	s_delay_alu instid0(VALU_DEP_1) | instskip(SKIP_2) | instid1(VALU_DEP_2)
	v_add_f32_e32 v39, v6, v0
	v_lshlrev_b64_e32 v[0:1], 2, v[2:3]
	v_add_nc_u32_e32 v2, s2, v2
	v_add_co_u32 v4, vcc_lo, s4, v0
	s_wait_alu 0xfffd
	s_delay_alu instid0(VALU_DEP_3)
	v_add_co_ci_u32_e64 v5, null, s5, v1, vcc_lo
	v_add_co_u32 v0, vcc_lo, s6, v0
	s_wait_alu 0xfffd
	v_add_co_ci_u32_e64 v1, null, s7, v1, vcc_lo
	global_load_b32 v4, v[4:5], off
	global_load_b32 v0, v[0:1], off
	s_wait_loadcnt 0x0
	v_sub_f32_e32 v6, v4, v0
	v_lshlrev_b64_e32 v[0:1], 2, v[2:3]
	s_delay_alu instid0(VALU_DEP_1) | instskip(SKIP_1) | instid1(VALU_DEP_2)
	v_add_co_u32 v4, vcc_lo, s4, v0
	s_wait_alu 0xfffd
	v_add_co_ci_u32_e64 v5, null, s5, v1, vcc_lo
	v_add_co_u32 v0, vcc_lo, s6, v0
	s_wait_alu 0xfffd
	v_add_co_ci_u32_e64 v1, null, s7, v1, vcc_lo
	global_load_b32 v4, v[4:5], off
	global_load_b32 v0, v[0:1], off
	s_wait_loadcnt 0x0
	v_sub_f32_e32 v0, v4, v0
	s_delay_alu instid0(VALU_DEP_1) | instskip(SKIP_2) | instid1(VALU_DEP_1)
	v_add_f32_e32 v38, v6, v0
	v_mad_co_u64_u32 v[0:1], null, 0xffffffe9, s2, v[2:3]
	v_mov_b32_e32 v1, v3
	v_lshlrev_b64_e32 v[1:2], 2, v[0:1]
	s_delay_alu instid0(VALU_DEP_1) | instskip(SKIP_1) | instid1(VALU_DEP_2)
	v_add_co_u32 v4, vcc_lo, s4, v1
	s_wait_alu 0xfffd
	v_add_co_ci_u32_e64 v5, null, s5, v2, vcc_lo
	v_add_co_u32 v1, vcc_lo, s6, v1
	s_wait_alu 0xfffd
	v_add_co_ci_u32_e64 v2, null, s7, v2, vcc_lo
	global_load_b32 v4, v[4:5], off
	global_load_b32 v1, v[1:2], off
	v_add_nc_u32_e32 v2, s2, v0
	s_wait_loadcnt 0x0
	v_sub_f32_e32 v6, v4, v1
	s_delay_alu instid0(VALU_DEP_2) | instskip(SKIP_1) | instid1(VALU_DEP_2)
	v_lshlrev_b64_e32 v[0:1], 2, v[2:3]
	v_add_nc_u32_e32 v2, s2, v2
	v_add_co_u32 v4, vcc_lo, s4, v0
	s_wait_alu 0xfffd
	s_delay_alu instid0(VALU_DEP_3)
	v_add_co_ci_u32_e64 v5, null, s5, v1, vcc_lo
	global_load_b32 v7, v[4:5], off
	v_add_co_u32 v4, vcc_lo, s6, v0
	s_wait_alu 0xfffd
	v_add_co_ci_u32_e64 v5, null, s7, v1, vcc_lo
	global_load_b32 v4, v[4:5], off
	s_wait_loadcnt 0x0
	v_sub_f32_e32 v4, v7, v4
	s_delay_alu instid0(VALU_DEP_1) | instskip(SKIP_2) | instid1(VALU_DEP_2)
	v_add_f32_e32 v8, v6, v4
	v_lshlrev_b64_e32 v[4:5], 2, v[2:3]
	v_add_nc_u32_e32 v2, s2, v2
	v_add_co_u32 v6, vcc_lo, s4, v4
	s_wait_alu 0xfffd
	s_delay_alu instid0(VALU_DEP_3)
	v_add_co_ci_u32_e64 v7, null, s5, v5, vcc_lo
	v_add_co_u32 v4, vcc_lo, s6, v4
	s_wait_alu 0xfffd
	v_add_co_ci_u32_e64 v5, null, s7, v5, vcc_lo
	global_load_b32 v6, v[6:7], off
	global_load_b32 v4, v[4:5], off
	s_wait_loadcnt 0x0
	v_sub_f32_e32 v4, v6, v4
	s_delay_alu instid0(VALU_DEP_1) | instskip(SKIP_1) | instid1(VALU_DEP_1)
	v_add_f32_e32 v8, v8, v4
	v_lshlrev_b64_e32 v[4:5], 2, v[2:3]
	v_add_co_u32 v6, vcc_lo, s4, v4
	s_wait_alu 0xfffd
	s_delay_alu instid0(VALU_DEP_2)
	v_add_co_ci_u32_e64 v7, null, s5, v5, vcc_lo
	v_add_co_u32 v4, vcc_lo, s6, v4
	s_wait_alu 0xfffd
	v_add_co_ci_u32_e64 v5, null, s7, v5, vcc_lo
	global_load_b32 v2, v[6:7], off
	global_load_b32 v4, v[4:5], off
	s_wait_loadcnt 0x0
	v_sub_f32_e32 v2, v2, v4
	s_delay_alu instid0(VALU_DEP_1) | instskip(SKIP_1) | instid1(VALU_DEP_1)
	v_add_f32_e32 v11, v8, v2
	v_add_nc_u32_e32 v2, s2, v10
	v_lshlrev_b64_e32 v[4:5], 2, v[2:3]
	v_add_nc_u32_e32 v2, s2, v2
	s_delay_alu instid0(VALU_DEP_2) | instskip(SKIP_1) | instid1(VALU_DEP_3)
	v_add_co_u32 v6, vcc_lo, s4, v4
	s_wait_alu 0xfffd
	v_add_co_ci_u32_e64 v7, null, s5, v5, vcc_lo
	v_add_co_u32 v4, vcc_lo, s6, v4
	s_wait_alu 0xfffd
	v_add_co_ci_u32_e64 v5, null, s7, v5, vcc_lo
	global_load_b32 v6, v[6:7], off
	v_lshlrev_b64_e32 v[8:9], 2, v[2:3]
	v_add_nc_u32_e32 v2, s14, v2
	global_load_b32 v4, v[4:5], off
	s_wait_loadcnt 0x0
	v_sub_f32_e32 v12, v6, v4
	v_add_co_u32 v4, vcc_lo, s4, v8
	s_wait_alu 0xfffd
	v_add_co_ci_u32_e64 v5, null, s5, v9, vcc_lo
	v_add_co_u32 v6, vcc_lo, s6, v8
	s_wait_alu 0xfffd
	v_add_co_ci_u32_e64 v7, null, s7, v9, vcc_lo
	global_load_b32 v13, v[4:5], off
	global_load_b32 v14, v[6:7], off
	s_wait_loadcnt 0x0
	v_sub_f32_e32 v13, v13, v14
	s_delay_alu instid0(VALU_DEP_1) | instskip(NEXT) | instid1(VALU_DEP_1)
	v_sub_f32_e64 v13, -v12, v13
	v_add_f32_e32 v11, v11, v13
	v_lshlrev_b64_e32 v[13:14], 2, v[2:3]
	v_add_nc_u32_e32 v2, s11, v2
	s_delay_alu instid0(VALU_DEP_2) | instskip(SKIP_1) | instid1(VALU_DEP_3)
	v_add_co_u32 v15, vcc_lo, s4, v13
	s_wait_alu 0xfffd
	v_add_co_ci_u32_e64 v16, null, s5, v14, vcc_lo
	v_add_co_u32 v13, vcc_lo, s6, v13
	s_wait_alu 0xfffd
	v_add_co_ci_u32_e64 v14, null, s7, v14, vcc_lo
	global_load_b32 v15, v[15:16], off
	global_load_b32 v13, v[13:14], off
	s_wait_loadcnt 0x0
	v_sub_f32_e32 v37, v15, v13
	v_lshlrev_b64_e32 v[13:14], 2, v[2:3]
	s_delay_alu instid0(VALU_DEP_2) | instskip(NEXT) | instid1(VALU_DEP_2)
	v_dual_add_f32 v11, v11, v37 :: v_dual_add_nc_u32 v2, s0, v2
	v_add_co_u32 v15, vcc_lo, s4, v13
	s_wait_alu 0xfffd
	s_delay_alu instid0(VALU_DEP_3)
	v_add_co_ci_u32_e64 v16, null, s5, v14, vcc_lo
	v_add_co_u32 v13, vcc_lo, s6, v13
	s_wait_alu 0xfffd
	v_add_co_ci_u32_e64 v14, null, s7, v14, vcc_lo
	global_load_b32 v15, v[15:16], off
	global_load_b32 v13, v[13:14], off
	s_wait_loadcnt 0x0
	v_sub_f32_e32 v13, v15, v13
	s_delay_alu instid0(VALU_DEP_1) | instskip(SKIP_2) | instid1(VALU_DEP_2)
	v_add_f32_e32 v11, v11, v13
	v_lshlrev_b64_e32 v[13:14], 2, v[2:3]
	v_add_nc_u32_e32 v2, s22, v2
	v_add_co_u32 v15, vcc_lo, s4, v13
	s_wait_alu 0xfffd
	s_delay_alu instid0(VALU_DEP_3)
	v_add_co_ci_u32_e64 v16, null, s5, v14, vcc_lo
	v_add_co_u32 v13, vcc_lo, s6, v13
	s_wait_alu 0xfffd
	v_add_co_ci_u32_e64 v14, null, s7, v14, vcc_lo
	global_load_b32 v15, v[15:16], off
	global_load_b32 v13, v[13:14], off
	s_wait_loadcnt 0x0
	v_sub_f32_e32 v13, v15, v13
	s_delay_alu instid0(VALU_DEP_1) | instskip(SKIP_2) | instid1(VALU_DEP_2)
	v_sub_f32_e32 v11, v11, v13
	v_lshlrev_b64_e32 v[13:14], 2, v[2:3]
	v_add_nc_u32_e32 v2, s11, v2
	v_add_co_u32 v15, vcc_lo, s4, v13
	s_wait_alu 0xfffd
	s_delay_alu instid0(VALU_DEP_3)
	v_add_co_ci_u32_e64 v16, null, s5, v14, vcc_lo
	v_add_co_u32 v13, vcc_lo, s6, v13
	s_wait_alu 0xfffd
	v_add_co_ci_u32_e64 v14, null, s7, v14, vcc_lo
	global_load_b32 v15, v[15:16], off
	global_load_b32 v13, v[13:14], off
	s_wait_loadcnt 0x0
	v_sub_f32_e32 v13, v15, v13
	s_delay_alu instid0(VALU_DEP_1) | instskip(SKIP_2) | instid1(VALU_DEP_2)
	v_sub_f32_e32 v11, v11, v13
	v_lshlrev_b64_e32 v[13:14], 2, v[2:3]
	v_add_nc_u32_e32 v2, s0, v2
	v_add_co_u32 v15, vcc_lo, s4, v13
	s_wait_alu 0xfffd
	s_delay_alu instid0(VALU_DEP_3)
	v_add_co_ci_u32_e64 v16, null, s5, v14, vcc_lo
	v_add_co_u32 v13, vcc_lo, s6, v13
	s_wait_alu 0xfffd
	v_add_co_ci_u32_e64 v14, null, s7, v14, vcc_lo
	global_load_b32 v15, v[15:16], off
	global_load_b32 v13, v[13:14], off
	s_wait_loadcnt 0x0
	v_sub_f32_e32 v13, v15, v13
	s_delay_alu instid0(VALU_DEP_1) | instskip(SKIP_2) | instid1(VALU_DEP_2)
	v_add_f32_e32 v11, v11, v13
	v_lshlrev_b64_e32 v[13:14], 2, v[2:3]
	v_add_nc_u32_e32 v2, s15, v2
	v_add_co_u32 v15, vcc_lo, s4, v13
	s_wait_alu 0xfffd
	s_delay_alu instid0(VALU_DEP_3)
	v_add_co_ci_u32_e64 v16, null, s5, v14, vcc_lo
	v_add_co_u32 v13, vcc_lo, s6, v13
	s_wait_alu 0xfffd
	v_add_co_ci_u32_e64 v14, null, s7, v14, vcc_lo
	global_load_b32 v15, v[15:16], off
	global_load_b32 v13, v[13:14], off
	s_wait_loadcnt 0x0
	v_sub_f32_e32 v13, v15, v13
	s_delay_alu instid0(VALU_DEP_1) | instskip(SKIP_2) | instid1(VALU_DEP_2)
	v_sub_f32_e32 v11, v11, v13
	v_lshlrev_b64_e32 v[13:14], 2, v[2:3]
	v_add_nc_u32_e32 v2, s16, v2
	v_add_co_u32 v15, vcc_lo, s4, v13
	s_wait_alu 0xfffd
	s_delay_alu instid0(VALU_DEP_3)
	v_add_co_ci_u32_e64 v16, null, s5, v14, vcc_lo
	v_add_co_u32 v13, vcc_lo, s6, v13
	s_wait_alu 0xfffd
	v_add_co_ci_u32_e64 v14, null, s7, v14, vcc_lo
	global_load_b32 v15, v[15:16], off
	global_load_b32 v13, v[13:14], off
	s_wait_loadcnt 0x0
	v_sub_f32_e32 v13, v15, v13
	s_delay_alu instid0(VALU_DEP_1) | instskip(SKIP_2) | instid1(VALU_DEP_2)
	v_add_f32_e32 v11, v11, v13
	v_lshlrev_b64_e32 v[13:14], 2, v[2:3]
	v_add_nc_u32_e32 v2, s2, v2
	v_add_co_u32 v15, vcc_lo, s4, v13
	s_wait_alu 0xfffd
	s_delay_alu instid0(VALU_DEP_3)
	v_add_co_ci_u32_e64 v16, null, s5, v14, vcc_lo
	v_add_co_u32 v13, vcc_lo, s6, v13
	s_wait_alu 0xfffd
	v_add_co_ci_u32_e64 v14, null, s7, v14, vcc_lo
	global_load_b32 v15, v[15:16], off
	global_load_b32 v13, v[13:14], off
	s_wait_loadcnt 0x0
	v_sub_f32_e32 v13, v15, v13
	s_delay_alu instid0(VALU_DEP_1) | instskip(SKIP_2) | instid1(VALU_DEP_2)
	v_add_f32_e32 v11, v11, v13
	v_lshlrev_b64_e32 v[13:14], 2, v[2:3]
	v_add_nc_u32_e32 v2, s23, v2
	v_add_co_u32 v15, vcc_lo, s4, v13
	s_wait_alu 0xfffd
	s_delay_alu instid0(VALU_DEP_3)
	v_add_co_ci_u32_e64 v16, null, s5, v14, vcc_lo
	v_add_co_u32 v13, vcc_lo, s6, v13
	s_wait_alu 0xfffd
	v_add_co_ci_u32_e64 v14, null, s7, v14, vcc_lo
	global_load_b32 v15, v[15:16], off
	global_load_b32 v13, v[13:14], off
	s_wait_loadcnt 0x0
	v_sub_f32_e32 v24, v15, v13
	v_lshlrev_b64_e32 v[13:14], 2, v[2:3]
	s_delay_alu instid0(VALU_DEP_2) | instskip(NEXT) | instid1(VALU_DEP_2)
	v_dual_add_f32 v11, v11, v24 :: v_dual_add_nc_u32 v2, s18, v2
	v_add_co_u32 v15, vcc_lo, s4, v13
	s_wait_alu 0xfffd
	s_delay_alu instid0(VALU_DEP_3)
	v_add_co_ci_u32_e64 v16, null, s5, v14, vcc_lo
	v_add_co_u32 v13, vcc_lo, s6, v13
	s_wait_alu 0xfffd
	v_add_co_ci_u32_e64 v14, null, s7, v14, vcc_lo
	global_load_b32 v15, v[15:16], off
	global_load_b32 v13, v[13:14], off
	s_wait_loadcnt 0x0
	v_sub_f32_e32 v13, v15, v13
	s_delay_alu instid0(VALU_DEP_1) | instskip(SKIP_1) | instid1(VALU_DEP_1)
	v_sub_f32_e32 v11, v11, v13
	v_lshlrev_b64_e32 v[13:14], 2, v[2:3]
	v_add_co_u32 v15, vcc_lo, s4, v13
	s_wait_alu 0xfffd
	s_delay_alu instid0(VALU_DEP_2)
	v_add_co_ci_u32_e64 v16, null, s5, v14, vcc_lo
	v_add_co_u32 v13, vcc_lo, s6, v13
	s_wait_alu 0xfffd
	v_add_co_ci_u32_e64 v14, null, s7, v14, vcc_lo
	global_load_b32 v15, v[15:16], off
	global_load_b32 v13, v[13:14], off
	s_wait_loadcnt 0x0
	v_sub_f32_e32 v13, v15, v13
	s_delay_alu instid0(VALU_DEP_1) | instskip(SKIP_2) | instid1(VALU_DEP_1)
	v_add_f32_e32 v11, v11, v13
	v_mad_co_u64_u32 v[13:14], null, s2, 24, v[2:3]
	v_mov_b32_e32 v14, v3
	v_lshlrev_b64_e32 v[14:15], 2, v[13:14]
	s_delay_alu instid0(VALU_DEP_1) | instskip(SKIP_1) | instid1(VALU_DEP_2)
	v_add_co_u32 v16, vcc_lo, s4, v14
	s_wait_alu 0xfffd
	v_add_co_ci_u32_e64 v17, null, s5, v15, vcc_lo
	v_add_co_u32 v14, vcc_lo, s6, v14
	s_wait_alu 0xfffd
	v_add_co_ci_u32_e64 v15, null, s7, v15, vcc_lo
	global_load_b32 v2, v[16:17], off
	global_load_b32 v14, v[14:15], off
	s_wait_loadcnt 0x0
	v_sub_f32_e32 v2, v2, v14
	s_delay_alu instid0(VALU_DEP_1) | instskip(NEXT) | instid1(VALU_DEP_1)
	v_dual_add_f32 v11, v11, v2 :: v_dual_add_nc_u32 v2, s11, v13
	v_lshlrev_b64_e32 v[13:14], 2, v[2:3]
	s_delay_alu instid0(VALU_DEP_1) | instskip(SKIP_1) | instid1(VALU_DEP_2)
	v_add_co_u32 v15, vcc_lo, s4, v13
	s_wait_alu 0xfffd
	v_add_co_ci_u32_e64 v16, null, s5, v14, vcc_lo
	v_add_co_u32 v13, vcc_lo, s6, v13
	s_wait_alu 0xfffd
	v_add_co_ci_u32_e64 v14, null, s7, v14, vcc_lo
	global_load_b32 v15, v[15:16], off
	global_load_b32 v13, v[13:14], off
	s_wait_loadcnt 0x0
	v_sub_f32_e32 v13, v15, v13
	s_delay_alu instid0(VALU_DEP_1) | instskip(SKIP_2) | instid1(VALU_DEP_1)
	v_add_f32_e32 v11, v11, v13
	v_mad_co_u64_u32 v[13:14], null, s2, 25, v[2:3]
	v_mov_b32_e32 v14, v3
	v_lshlrev_b64_e32 v[14:15], 2, v[13:14]
	s_delay_alu instid0(VALU_DEP_1) | instskip(SKIP_1) | instid1(VALU_DEP_2)
	v_add_co_u32 v16, vcc_lo, s4, v14
	s_wait_alu 0xfffd
	v_add_co_ci_u32_e64 v17, null, s5, v15, vcc_lo
	v_add_co_u32 v14, vcc_lo, s6, v14
	s_wait_alu 0xfffd
	v_add_co_ci_u32_e64 v15, null, s7, v15, vcc_lo
	global_load_b32 v2, v[16:17], off
	global_load_b32 v14, v[14:15], off
	s_wait_loadcnt 0x0
	v_sub_f32_e32 v2, v2, v14
	s_delay_alu instid0(VALU_DEP_1) | instskip(NEXT) | instid1(VALU_DEP_1)
	v_dual_add_f32 v11, v11, v2 :: v_dual_add_nc_u32 v2, s11, v13
	v_lshlrev_b64_e32 v[13:14], 2, v[2:3]
	v_add_nc_u32_e32 v2, s2, v2
	s_delay_alu instid0(VALU_DEP_2) | instskip(SKIP_1) | instid1(VALU_DEP_3)
	v_add_co_u32 v15, vcc_lo, s4, v13
	s_wait_alu 0xfffd
	v_add_co_ci_u32_e64 v16, null, s5, v14, vcc_lo
	v_add_co_u32 v13, vcc_lo, s6, v13
	s_wait_alu 0xfffd
	v_add_co_ci_u32_e64 v14, null, s7, v14, vcc_lo
	global_load_b32 v15, v[15:16], off
	global_load_b32 v13, v[13:14], off
	s_wait_loadcnt 0x0
	v_sub_f32_e32 v13, v15, v13
	s_delay_alu instid0(VALU_DEP_1) | instskip(SKIP_2) | instid1(VALU_DEP_2)
	v_add_f32_e32 v11, v11, v13
	v_lshlrev_b64_e32 v[13:14], 2, v[2:3]
	v_add_nc_u32_e32 v2, s19, v2
	v_add_co_u32 v15, vcc_lo, s4, v13
	s_wait_alu 0xfffd
	s_delay_alu instid0(VALU_DEP_3)
	v_add_co_ci_u32_e64 v16, null, s5, v14, vcc_lo
	v_add_co_u32 v13, vcc_lo, s6, v13
	s_wait_alu 0xfffd
	v_add_co_ci_u32_e64 v14, null, s7, v14, vcc_lo
	global_load_b32 v15, v[15:16], off
	global_load_b32 v13, v[13:14], off
	s_wait_loadcnt 0x0
	v_sub_f32_e32 v13, v15, v13
	s_delay_alu instid0(VALU_DEP_1) | instskip(SKIP_2) | instid1(VALU_DEP_2)
	v_add_f32_e32 v11, v11, v13
	v_lshlrev_b64_e32 v[13:14], 2, v[2:3]
	v_add_nc_u32_e32 v2, s22, v2
	v_add_co_u32 v15, vcc_lo, s4, v13
	s_wait_alu 0xfffd
	s_delay_alu instid0(VALU_DEP_3)
	;; [unrolled: 15-line block ×7, first 2 shown]
	v_add_co_ci_u32_e64 v16, null, s5, v14, vcc_lo
	v_add_co_u32 v13, vcc_lo, s6, v13
	s_wait_alu 0xfffd
	v_add_co_ci_u32_e64 v14, null, s7, v14, vcc_lo
	global_load_b32 v15, v[15:16], off
	global_load_b32 v13, v[13:14], off
	s_wait_loadcnt 0x0
	v_sub_f32_e32 v13, v15, v13
	s_delay_alu instid0(VALU_DEP_1) | instskip(SKIP_1) | instid1(VALU_DEP_1)
	v_add_f32_e32 v11, v11, v13
	v_lshlrev_b64_e32 v[13:14], 2, v[2:3]
	v_add_co_u32 v15, vcc_lo, s4, v13
	s_wait_alu 0xfffd
	s_delay_alu instid0(VALU_DEP_2)
	v_add_co_ci_u32_e64 v16, null, s5, v14, vcc_lo
	v_add_co_u32 v13, vcc_lo, s6, v13
	s_wait_alu 0xfffd
	v_add_co_ci_u32_e64 v14, null, s7, v14, vcc_lo
	global_load_b32 v15, v[15:16], off
	v_mad_co_u64_u32 v[16:17], null, 0xffffff3c, s2, v[2:3]
	global_load_b32 v13, v[13:14], off
	v_mov_b32_e32 v17, v3
	s_wait_loadcnt 0x0
	v_sub_f32_e32 v13, v15, v13
	s_delay_alu instid0(VALU_DEP_1) | instskip(NEXT) | instid1(VALU_DEP_1)
	v_add_f32_e32 v11, v11, v13
	v_mul_f32_e32 v11, s10, v11
	s_wait_kmcnt 0x0
	s_delay_alu instid0(VALU_DEP_1) | instskip(SKIP_2) | instid1(VALU_DEP_1)
	v_mul_f32_e32 v15, s21, v11
	v_mov_b32_e32 v11, v3
	s_mul_i32 s21, s2, 17
	v_lshlrev_b64_e32 v[10:11], 2, v[10:11]
	s_delay_alu instid0(VALU_DEP_1) | instskip(SKIP_1) | instid1(VALU_DEP_2)
	v_add_co_u32 v13, vcc_lo, s8, v10
	s_wait_alu 0xfffd
	v_add_co_ci_u32_e64 v14, null, s9, v11, vcc_lo
	global_store_b32 v[13:14], v15, off
	v_add_co_u32 v13, vcc_lo, s4, v10
	s_wait_alu 0xfffd
	v_add_co_ci_u32_e64 v14, null, s5, v11, vcc_lo
	v_add_co_u32 v10, vcc_lo, s6, v10
	s_wait_alu 0xfffd
	v_add_co_ci_u32_e64 v11, null, s7, v11, vcc_lo
	global_load_b32 v13, v[13:14], off
	v_lshlrev_b64_e32 v[14:15], 2, v[16:17]
	global_load_b32 v10, v[10:11], off
	s_wait_loadcnt 0x0
	v_sub_f32_e32 v40, v13, v10
	v_add_co_u32 v10, vcc_lo, s4, v14
	s_wait_alu 0xfffd
	v_add_co_ci_u32_e64 v11, null, s5, v15, vcc_lo
	s_delay_alu instid0(VALU_DEP_3)
	v_sub_f32_e32 v18, v40, v12
	v_add_co_u32 v12, vcc_lo, s6, v14
	s_wait_alu 0xfffd
	v_add_co_ci_u32_e64 v13, null, s7, v15, vcc_lo
	global_load_b32 v2, v[10:11], off
	global_load_b32 v17, v[12:13], off
	s_wait_loadcnt 0x0
	v_sub_f32_e32 v2, v2, v17
	s_delay_alu instid0(VALU_DEP_1) | instskip(SKIP_1) | instid1(VALU_DEP_1)
	v_add_f32_e32 v20, v18, v2
	v_add_nc_u32_e32 v2, s11, v16
	v_lshlrev_b64_e32 v[16:17], 2, v[2:3]
	v_add_nc_u32_e32 v2, s2, v2
	s_delay_alu instid0(VALU_DEP_2) | instskip(SKIP_1) | instid1(VALU_DEP_3)
	v_add_co_u32 v18, vcc_lo, s4, v16
	s_wait_alu 0xfffd
	v_add_co_ci_u32_e64 v19, null, s5, v17, vcc_lo
	v_add_co_u32 v16, vcc_lo, s6, v16
	s_wait_alu 0xfffd
	v_add_co_ci_u32_e64 v17, null, s7, v17, vcc_lo
	global_load_b32 v18, v[18:19], off
	global_load_b32 v16, v[16:17], off
	s_wait_loadcnt 0x0
	v_sub_f32_e32 v16, v18, v16
	s_delay_alu instid0(VALU_DEP_1) | instskip(SKIP_2) | instid1(VALU_DEP_2)
	v_sub_f32_e32 v20, v20, v16
	v_lshlrev_b64_e32 v[16:17], 2, v[2:3]
	v_add_nc_u32_e32 v2, s11, v2
	v_add_co_u32 v18, vcc_lo, s4, v16
	s_wait_alu 0xfffd
	s_delay_alu instid0(VALU_DEP_3)
	v_add_co_ci_u32_e64 v19, null, s5, v17, vcc_lo
	v_add_co_u32 v16, vcc_lo, s6, v16
	s_wait_alu 0xfffd
	v_add_co_ci_u32_e64 v17, null, s7, v17, vcc_lo
	global_load_b32 v18, v[18:19], off
	global_load_b32 v16, v[16:17], off
	s_wait_loadcnt 0x0
	v_sub_f32_e32 v41, v18, v16
	v_lshlrev_b64_e32 v[18:19], 2, v[2:3]
	v_add_nc_u32_e32 v2, s23, v2
	s_delay_alu instid0(VALU_DEP_3) | instskip(NEXT) | instid1(VALU_DEP_1)
	v_sub_f32_e32 v16, v20, v41
	v_sub_f32_e32 v20, v16, v41
	s_delay_alu instid0(VALU_DEP_4)
	v_add_co_u32 v16, vcc_lo, s4, v18
	s_wait_alu 0xfffd
	v_add_co_ci_u32_e64 v17, null, s5, v19, vcc_lo
	v_add_co_u32 v18, vcc_lo, s6, v18
	s_wait_alu 0xfffd
	v_add_co_ci_u32_e64 v19, null, s7, v19, vcc_lo
	global_load_b32 v21, v[16:17], off
	global_load_b32 v22, v[18:19], off
	s_wait_loadcnt 0x0
	v_sub_f32_e32 v21, v21, v22
	s_delay_alu instid0(VALU_DEP_1) | instskip(SKIP_2) | instid1(VALU_DEP_2)
	v_add_f32_e32 v25, v20, v21
	v_lshlrev_b64_e32 v[20:21], 2, v[2:3]
	v_add_nc_u32_e32 v2, s11, v2
	v_add_co_u32 v22, vcc_lo, s4, v20
	s_wait_alu 0xfffd
	s_delay_alu instid0(VALU_DEP_3)
	v_add_co_ci_u32_e64 v23, null, s5, v21, vcc_lo
	v_add_co_u32 v20, vcc_lo, s6, v20
	s_wait_alu 0xfffd
	v_add_co_ci_u32_e64 v21, null, s7, v21, vcc_lo
	global_load_b32 v22, v[22:23], off
	global_load_b32 v20, v[20:21], off
	s_wait_loadcnt 0x0
	v_sub_f32_e32 v42, v22, v20
	v_lshlrev_b64_e32 v[20:21], 2, v[2:3]
	v_add_nc_u32_e32 v2, s23, v2
	s_delay_alu instid0(VALU_DEP_3) | instskip(NEXT) | instid1(VALU_DEP_3)
	v_sub_f32_e32 v25, v25, v42
	v_add_co_u32 v22, vcc_lo, s4, v20
	s_wait_alu 0xfffd
	s_delay_alu instid0(VALU_DEP_4)
	v_add_co_ci_u32_e64 v23, null, s5, v21, vcc_lo
	v_add_co_u32 v20, vcc_lo, s6, v20
	s_wait_alu 0xfffd
	v_add_co_ci_u32_e64 v21, null, s7, v21, vcc_lo
	global_load_b32 v22, v[22:23], off
	global_load_b32 v20, v[20:21], off
	s_wait_loadcnt 0x0
	v_sub_f32_e32 v20, v22, v20
	s_delay_alu instid0(VALU_DEP_1) | instskip(SKIP_2) | instid1(VALU_DEP_2)
	v_sub_f32_e32 v25, v25, v20
	v_lshlrev_b64_e32 v[20:21], 2, v[2:3]
	v_add_nc_u32_e32 v2, s23, v2
	v_add_co_u32 v22, vcc_lo, s4, v20
	s_wait_alu 0xfffd
	s_delay_alu instid0(VALU_DEP_3)
	v_add_co_ci_u32_e64 v23, null, s5, v21, vcc_lo
	v_add_co_u32 v20, vcc_lo, s6, v20
	s_wait_alu 0xfffd
	v_add_co_ci_u32_e64 v21, null, s7, v21, vcc_lo
	global_load_b32 v22, v[22:23], off
	global_load_b32 v20, v[20:21], off
	s_wait_loadcnt 0x0
	v_sub_f32_e32 v20, v22, v20
	v_lshlrev_b64_e32 v[22:23], 2, v[2:3]
	s_delay_alu instid0(VALU_DEP_2) | instskip(NEXT) | instid1(VALU_DEP_2)
	v_dual_sub_f32 v25, v25, v20 :: v_dual_add_nc_u32 v2, s16, v2
	v_add_co_u32 v20, vcc_lo, s4, v22
	s_wait_alu 0xfffd
	s_delay_alu instid0(VALU_DEP_3)
	v_add_co_ci_u32_e64 v21, null, s5, v23, vcc_lo
	v_add_co_u32 v22, vcc_lo, s6, v22
	s_wait_alu 0xfffd
	v_add_co_ci_u32_e64 v23, null, s7, v23, vcc_lo
	global_load_b32 v26, v[20:21], off
	global_load_b32 v27, v[22:23], off
	s_wait_loadcnt 0x0
	v_sub_f32_e32 v26, v26, v27
	s_delay_alu instid0(VALU_DEP_1) | instskip(SKIP_2) | instid1(VALU_DEP_2)
	v_add_f32_e32 v29, v25, v26
	v_lshlrev_b64_e32 v[25:26], 2, v[2:3]
	v_add_nc_u32_e32 v2, s3, v2
	v_add_co_u32 v27, vcc_lo, s4, v25
	s_wait_alu 0xfffd
	s_delay_alu instid0(VALU_DEP_3)
	v_add_co_ci_u32_e64 v28, null, s5, v26, vcc_lo
	v_add_co_u32 v25, vcc_lo, s6, v25
	s_wait_alu 0xfffd
	v_add_co_ci_u32_e64 v26, null, s7, v26, vcc_lo
	global_load_b32 v27, v[27:28], off
	global_load_b32 v25, v[25:26], off
	s_wait_loadcnt 0x0
	v_sub_f32_e32 v25, v27, v25
	s_delay_alu instid0(VALU_DEP_1) | instskip(SKIP_2) | instid1(VALU_DEP_2)
	v_sub_f32_e32 v27, v29, v25
	v_lshlrev_b64_e32 v[25:26], 2, v[2:3]
	v_add_nc_u32_e32 v2, s22, v2
	v_add_co_u32 v28, vcc_lo, s4, v25
	s_wait_alu 0xfffd
	s_delay_alu instid0(VALU_DEP_3)
	v_add_co_ci_u32_e64 v29, null, s5, v26, vcc_lo
	v_add_co_u32 v30, vcc_lo, s6, v25
	s_wait_alu 0xfffd
	v_add_co_ci_u32_e64 v31, null, s7, v26, vcc_lo
	global_load_b32 v32, v[28:29], off
	global_load_b32 v25, v[30:31], off
	s_wait_loadcnt 0x0
	v_sub_f32_e32 v25, v32, v25
	s_delay_alu instid0(VALU_DEP_1) | instskip(SKIP_2) | instid1(VALU_DEP_2)
	v_add_f32_e32 v27, v27, v25
	v_lshlrev_b64_e32 v[25:26], 2, v[2:3]
	v_add_nc_u32_e32 v2, s2, v2
	v_add_co_u32 v32, vcc_lo, s4, v25
	s_wait_alu 0xfffd
	s_delay_alu instid0(VALU_DEP_3)
	v_add_co_ci_u32_e64 v33, null, s5, v26, vcc_lo
	v_add_co_u32 v25, vcc_lo, s6, v25
	s_wait_alu 0xfffd
	v_add_co_ci_u32_e64 v26, null, s7, v26, vcc_lo
	global_load_b32 v32, v[32:33], off
	global_load_b32 v25, v[25:26], off
	s_wait_loadcnt 0x0
	v_sub_f32_e32 v25, v32, v25
	s_delay_alu instid0(VALU_DEP_1) | instskip(SKIP_2) | instid1(VALU_DEP_2)
	v_sub_f32_e32 v27, v27, v25
	v_lshlrev_b64_e32 v[25:26], 2, v[2:3]
	v_add_nc_u32_e32 v2, s11, v2
	v_add_co_u32 v32, vcc_lo, s4, v25
	s_wait_alu 0xfffd
	s_delay_alu instid0(VALU_DEP_3)
	v_add_co_ci_u32_e64 v33, null, s5, v26, vcc_lo
	v_add_co_u32 v25, vcc_lo, s6, v25
	s_wait_alu 0xfffd
	v_add_co_ci_u32_e64 v26, null, s7, v26, vcc_lo
	global_load_b32 v32, v[32:33], off
	global_load_b32 v25, v[25:26], off
	s_wait_loadcnt 0x0
	v_sub_f32_e32 v25, v32, v25
	s_delay_alu instid0(VALU_DEP_1) | instskip(SKIP_2) | instid1(VALU_DEP_2)
	v_sub_f32_e32 v27, v27, v25
	v_lshlrev_b64_e32 v[25:26], 2, v[2:3]
	v_add_nc_u32_e32 v2, s20, v2
	v_add_co_u32 v32, vcc_lo, s4, v25
	s_wait_alu 0xfffd
	s_delay_alu instid0(VALU_DEP_3)
	v_add_co_ci_u32_e64 v33, null, s5, v26, vcc_lo
	v_add_co_u32 v25, vcc_lo, s6, v25
	s_wait_alu 0xfffd
	v_add_co_ci_u32_e64 v26, null, s7, v26, vcc_lo
	global_load_b32 v32, v[32:33], off
	global_load_b32 v25, v[25:26], off
	s_wait_loadcnt 0x0
	v_sub_f32_e32 v25, v32, v25
	s_delay_alu instid0(VALU_DEP_1) | instskip(NEXT) | instid1(VALU_DEP_1)
	v_sub_f32_e32 v25, v27, v25
	v_sub_f32_e32 v32, v25, v24
	v_lshlrev_b64_e32 v[24:25], 2, v[2:3]
	v_add_nc_u32_e32 v2, s1, v2
	s_delay_alu instid0(VALU_DEP_2) | instskip(SKIP_1) | instid1(VALU_DEP_3)
	v_add_co_u32 v26, vcc_lo, s4, v24
	s_wait_alu 0xfffd
	v_add_co_ci_u32_e64 v27, null, s5, v25, vcc_lo
	v_add_co_u32 v24, vcc_lo, s6, v24
	s_wait_alu 0xfffd
	v_add_co_ci_u32_e64 v25, null, s7, v25, vcc_lo
	global_load_b32 v26, v[26:27], off
	global_load_b32 v24, v[24:25], off
	s_wait_loadcnt 0x0
	v_sub_f32_e32 v24, v26, v24
	s_delay_alu instid0(VALU_DEP_1) | instskip(SKIP_2) | instid1(VALU_DEP_2)
	v_sub_f32_e32 v32, v32, v24
	v_lshlrev_b64_e32 v[24:25], 2, v[2:3]
	v_add_nc_u32_e32 v2, s11, v2
	v_add_co_u32 v26, vcc_lo, s4, v24
	s_wait_alu 0xfffd
	s_delay_alu instid0(VALU_DEP_3)
	v_add_co_ci_u32_e64 v27, null, s5, v25, vcc_lo
	v_add_co_u32 v24, vcc_lo, s6, v24
	s_wait_alu 0xfffd
	v_add_co_ci_u32_e64 v25, null, s7, v25, vcc_lo
	global_load_b32 v26, v[26:27], off
	global_load_b32 v24, v[24:25], off
	s_wait_loadcnt 0x0
	v_sub_f32_e32 v24, v26, v24
	s_delay_alu instid0(VALU_DEP_1) | instskip(SKIP_2) | instid1(VALU_DEP_2)
	v_sub_f32_e32 v32, v32, v24
	v_lshlrev_b64_e32 v[24:25], 2, v[2:3]
	v_add_nc_u32_e32 v2, s23, v2
	v_add_co_u32 v26, vcc_lo, s4, v24
	s_wait_alu 0xfffd
	s_delay_alu instid0(VALU_DEP_3)
	v_add_co_ci_u32_e64 v27, null, s5, v25, vcc_lo
	v_add_co_u32 v24, vcc_lo, s6, v24
	s_wait_alu 0xfffd
	v_add_co_ci_u32_e64 v25, null, s7, v25, vcc_lo
	global_load_b32 v26, v[26:27], off
	global_load_b32 v24, v[24:25], off
	s_wait_loadcnt 0x0
	v_sub_f32_e32 v24, v26, v24
	v_lshlrev_b64_e32 v[26:27], 2, v[2:3]
	s_wait_alu 0xfffe
	v_add_nc_u32_e32 v2, s21, v2
	s_delay_alu instid0(VALU_DEP_3) | instskip(NEXT) | instid1(VALU_DEP_3)
	v_sub_f32_e32 v32, v32, v24
	v_add_co_u32 v24, vcc_lo, s4, v26
	s_wait_alu 0xfffd
	v_add_co_ci_u32_e64 v25, null, s5, v27, vcc_lo
	v_add_co_u32 v26, vcc_lo, s6, v26
	s_wait_alu 0xfffd
	v_add_co_ci_u32_e64 v27, null, s7, v27, vcc_lo
	global_load_b32 v33, v[24:25], off
	global_load_b32 v34, v[26:27], off
	s_wait_loadcnt 0x0
	v_sub_f32_e32 v33, v33, v34
	s_delay_alu instid0(VALU_DEP_1) | instskip(SKIP_2) | instid1(VALU_DEP_2)
	v_add_f32_e32 v43, v32, v33
	v_lshlrev_b64_e32 v[32:33], 2, v[2:3]
	v_add_nc_u32_e32 v2, s3, v2
	v_add_co_u32 v34, vcc_lo, s4, v32
	s_wait_alu 0xfffd
	s_delay_alu instid0(VALU_DEP_3)
	v_add_co_ci_u32_e64 v35, null, s5, v33, vcc_lo
	v_add_co_u32 v32, vcc_lo, s6, v32
	s_wait_alu 0xfffd
	v_add_co_ci_u32_e64 v33, null, s7, v33, vcc_lo
	global_load_b32 v34, v[34:35], off
	global_load_b32 v32, v[32:33], off
	s_wait_loadcnt 0x0
	v_sub_f32_e32 v32, v34, v32
	s_delay_alu instid0(VALU_DEP_1) | instskip(SKIP_2) | instid1(VALU_DEP_2)
	v_sub_f32_e32 v43, v43, v32
	v_lshlrev_b64_e32 v[32:33], 2, v[2:3]
	v_add_nc_u32_e32 v2, s11, v2
	v_add_co_u32 v34, vcc_lo, s4, v32
	s_wait_alu 0xfffd
	s_delay_alu instid0(VALU_DEP_3)
	v_add_co_ci_u32_e64 v35, null, s5, v33, vcc_lo
	v_add_co_u32 v32, vcc_lo, s6, v32
	s_wait_alu 0xfffd
	v_add_co_ci_u32_e64 v33, null, s7, v33, vcc_lo
	global_load_b32 v34, v[34:35], off
	global_load_b32 v32, v[32:33], off
	s_wait_loadcnt 0x0
	v_sub_f32_e32 v32, v34, v32
	s_delay_alu instid0(VALU_DEP_1) | instskip(SKIP_2) | instid1(VALU_DEP_2)
	v_sub_f32_e32 v43, v43, v32
	;; [unrolled: 15-line block ×9, first 2 shown]
	v_lshlrev_b64_e32 v[32:33], 2, v[2:3]
	v_add_nc_u32_e32 v2, s23, v2
	v_add_co_u32 v34, vcc_lo, s4, v32
	s_wait_alu 0xfffd
	s_delay_alu instid0(VALU_DEP_3)
	v_add_co_ci_u32_e64 v35, null, s5, v33, vcc_lo
	v_add_co_u32 v32, vcc_lo, s6, v32
	s_wait_alu 0xfffd
	v_add_co_ci_u32_e64 v33, null, s7, v33, vcc_lo
	global_load_b32 v34, v[34:35], off
	global_load_b32 v32, v[32:33], off
	s_wait_loadcnt 0x0
	v_sub_f32_e32 v32, v34, v32
	v_lshlrev_b64_e32 v[34:35], 2, v[2:3]
	s_delay_alu instid0(VALU_DEP_2) | instskip(NEXT) | instid1(VALU_DEP_2)
	v_dual_sub_f32 v43, v43, v32 :: v_dual_add_nc_u32 v2, s20, v2
	v_add_co_u32 v32, vcc_lo, s4, v34
	s_wait_alu 0xfffd
	s_delay_alu instid0(VALU_DEP_3)
	v_add_co_ci_u32_e64 v33, null, s5, v35, vcc_lo
	v_add_co_u32 v34, vcc_lo, s6, v34
	s_wait_alu 0xfffd
	v_add_co_ci_u32_e64 v35, null, s7, v35, vcc_lo
	global_load_b32 v44, v[32:33], off
	global_load_b32 v45, v[34:35], off
	s_wait_loadcnt 0x0
	v_sub_f32_e32 v44, v44, v45
	s_delay_alu instid0(VALU_DEP_1) | instskip(SKIP_3) | instid1(VALU_DEP_2)
	v_add_f32_e32 v47, v43, v44
	v_lshlrev_b64_e32 v[43:44], 2, v[2:3]
	v_add_nc_u32_e32 v2, s0, v2
	s_load_b64 s[0:1], s[12:13], 0x8
	v_add_co_u32 v45, vcc_lo, s4, v43
	s_wait_alu 0xfffd
	s_delay_alu instid0(VALU_DEP_3)
	v_add_co_ci_u32_e64 v46, null, s5, v44, vcc_lo
	v_add_co_u32 v43, vcc_lo, s6, v43
	s_wait_alu 0xfffd
	v_add_co_ci_u32_e64 v44, null, s7, v44, vcc_lo
	global_load_b32 v45, v[45:46], off
	global_load_b32 v43, v[43:44], off
	s_wait_loadcnt 0x0
	v_sub_f32_e32 v43, v45, v43
	s_delay_alu instid0(VALU_DEP_1) | instskip(SKIP_2) | instid1(VALU_DEP_2)
	v_sub_f32_e32 v47, v47, v43
	v_lshlrev_b64_e32 v[43:44], 2, v[2:3]
	v_add_nc_u32_e32 v2, s2, v2
	v_add_co_u32 v45, vcc_lo, s4, v43
	s_wait_alu 0xfffd
	s_delay_alu instid0(VALU_DEP_3)
	v_add_co_ci_u32_e64 v46, null, s5, v44, vcc_lo
	v_add_co_u32 v43, vcc_lo, s6, v43
	s_wait_alu 0xfffd
	v_add_co_ci_u32_e64 v44, null, s7, v44, vcc_lo
	global_load_b32 v45, v[45:46], off
	global_load_b32 v43, v[43:44], off
	s_wait_loadcnt 0x0
	v_sub_f32_e32 v43, v45, v43
	s_delay_alu instid0(VALU_DEP_1) | instskip(SKIP_2) | instid1(VALU_DEP_2)
	v_sub_f32_e32 v47, v47, v43
	v_lshlrev_b64_e32 v[43:44], 2, v[2:3]
	v_add_nc_u32_e32 v2, s2, v2
	v_add_co_u32 v45, vcc_lo, s4, v43
	s_wait_alu 0xfffd
	s_delay_alu instid0(VALU_DEP_3)
	v_add_co_ci_u32_e64 v46, null, s5, v44, vcc_lo
	v_add_co_u32 v43, vcc_lo, s6, v43
	s_wait_alu 0xfffd
	v_add_co_ci_u32_e64 v44, null, s7, v44, vcc_lo
	global_load_b32 v45, v[45:46], off
	global_load_b32 v43, v[43:44], off
	s_wait_loadcnt 0x0
	v_sub_f32_e32 v43, v45, v43
	s_delay_alu instid0(VALU_DEP_1) | instskip(SKIP_2) | instid1(VALU_DEP_2)
	v_sub_f32_e32 v47, v47, v43
	v_lshlrev_b64_e32 v[43:44], 2, v[2:3]
	v_add_nc_u32_e32 v2, s20, v2
	v_add_co_u32 v45, vcc_lo, s4, v43
	s_wait_alu 0xfffd
	s_delay_alu instid0(VALU_DEP_3)
	v_add_co_ci_u32_e64 v46, null, s5, v44, vcc_lo
	v_add_co_u32 v43, vcc_lo, s6, v43
	s_wait_alu 0xfffd
	v_add_co_ci_u32_e64 v44, null, s7, v44, vcc_lo
	global_load_b32 v45, v[45:46], off
	global_load_b32 v43, v[43:44], off
	s_wait_loadcnt 0x0
	v_sub_f32_e32 v43, v45, v43
	s_delay_alu instid0(VALU_DEP_1) | instskip(SKIP_2) | instid1(VALU_DEP_2)
	v_sub_f32_e32 v47, v47, v43
	v_lshlrev_b64_e32 v[43:44], 2, v[2:3]
	v_add_nc_u32_e32 v2, s2, v2
	v_add_co_u32 v45, vcc_lo, s4, v43
	s_wait_alu 0xfffd
	s_delay_alu instid0(VALU_DEP_3)
	v_add_co_ci_u32_e64 v46, null, s5, v44, vcc_lo
	v_add_co_u32 v43, vcc_lo, s6, v43
	s_wait_alu 0xfffd
	v_add_co_ci_u32_e64 v44, null, s7, v44, vcc_lo
	global_load_b32 v45, v[45:46], off
	global_load_b32 v43, v[43:44], off
	s_wait_loadcnt 0x0
	v_sub_f32_e32 v43, v45, v43
	s_delay_alu instid0(VALU_DEP_1) | instskip(SKIP_2) | instid1(VALU_DEP_2)
	v_sub_f32_e32 v47, v47, v43
	v_lshlrev_b64_e32 v[43:44], 2, v[2:3]
	v_add_nc_u32_e32 v2, s18, v2
	v_add_co_u32 v45, vcc_lo, s4, v43
	s_wait_alu 0xfffd
	s_delay_alu instid0(VALU_DEP_3)
	v_add_co_ci_u32_e64 v46, null, s5, v44, vcc_lo
	v_add_co_u32 v43, vcc_lo, s6, v43
	s_wait_alu 0xfffd
	v_add_co_ci_u32_e64 v44, null, s7, v44, vcc_lo
	global_load_b32 v45, v[45:46], off
	global_load_b32 v43, v[43:44], off
	s_wait_loadcnt 0x0
	v_sub_f32_e32 v43, v45, v43
	s_delay_alu instid0(VALU_DEP_1) | instskip(SKIP_2) | instid1(VALU_DEP_2)
	v_sub_f32_e32 v47, v47, v43
	v_lshlrev_b64_e32 v[43:44], 2, v[2:3]
	v_add_nc_u32_e32 v2, s20, v2
	v_add_co_u32 v45, vcc_lo, s4, v43
	s_wait_alu 0xfffd
	s_delay_alu instid0(VALU_DEP_3)
	v_add_co_ci_u32_e64 v46, null, s5, v44, vcc_lo
	v_add_co_u32 v43, vcc_lo, s6, v43
	s_wait_alu 0xfffd
	v_add_co_ci_u32_e64 v44, null, s7, v44, vcc_lo
	global_load_b32 v45, v[45:46], off
	global_load_b32 v43, v[43:44], off
	s_wait_loadcnt 0x0
	v_sub_f32_e32 v43, v45, v43
	s_delay_alu instid0(VALU_DEP_1) | instskip(SKIP_2) | instid1(VALU_DEP_2)
	v_sub_f32_e32 v47, v47, v43
	v_lshlrev_b64_e32 v[43:44], 2, v[2:3]
	v_add_nc_u32_e32 v2, s2, v2
	v_add_co_u32 v45, vcc_lo, s4, v43
	s_wait_alu 0xfffd
	s_delay_alu instid0(VALU_DEP_3)
	v_add_co_ci_u32_e64 v46, null, s5, v44, vcc_lo
	v_add_co_u32 v43, vcc_lo, s6, v43
	s_wait_alu 0xfffd
	v_add_co_ci_u32_e64 v44, null, s7, v44, vcc_lo
	global_load_b32 v45, v[45:46], off
	global_load_b32 v43, v[43:44], off
	s_wait_loadcnt 0x0
	v_sub_f32_e32 v43, v45, v43
	s_delay_alu instid0(VALU_DEP_1) | instskip(SKIP_2) | instid1(VALU_DEP_2)
	v_sub_f32_e32 v47, v47, v43
	v_lshlrev_b64_e32 v[43:44], 2, v[2:3]
	v_add_nc_u32_e32 v2, s2, v2
	v_add_co_u32 v45, vcc_lo, s4, v43
	s_wait_alu 0xfffd
	s_delay_alu instid0(VALU_DEP_3)
	v_add_co_ci_u32_e64 v46, null, s5, v44, vcc_lo
	v_add_co_u32 v43, vcc_lo, s6, v43
	s_wait_alu 0xfffd
	v_add_co_ci_u32_e64 v44, null, s7, v44, vcc_lo
	global_load_b32 v45, v[45:46], off
	global_load_b32 v43, v[43:44], off
	s_wait_loadcnt 0x0
	v_sub_f32_e32 v43, v45, v43
	s_delay_alu instid0(VALU_DEP_1) | instskip(SKIP_2) | instid1(VALU_DEP_2)
	v_sub_f32_e32 v47, v47, v43
	v_lshlrev_b64_e32 v[43:44], 2, v[2:3]
	v_add_nc_u32_e32 v2, s11, v2
	v_add_co_u32 v45, vcc_lo, s4, v43
	s_wait_alu 0xfffd
	s_delay_alu instid0(VALU_DEP_3)
	v_add_co_ci_u32_e64 v46, null, s5, v44, vcc_lo
	v_add_co_u32 v43, vcc_lo, s6, v43
	s_wait_alu 0xfffd
	v_add_co_ci_u32_e64 v44, null, s7, v44, vcc_lo
	global_load_b32 v45, v[45:46], off
	global_load_b32 v43, v[43:44], off
	s_wait_loadcnt 0x0
	v_sub_f32_e32 v43, v45, v43
	s_delay_alu instid0(VALU_DEP_1) | instskip(SKIP_1) | instid1(VALU_DEP_1)
	v_sub_f32_e32 v47, v47, v43
	v_lshlrev_b64_e32 v[43:44], 2, v[2:3]
	v_add_co_u32 v45, vcc_lo, s4, v43
	s_wait_alu 0xfffd
	s_delay_alu instid0(VALU_DEP_2)
	v_add_co_ci_u32_e64 v46, null, s5, v44, vcc_lo
	v_add_co_u32 v43, vcc_lo, s6, v43
	s_wait_alu 0xfffd
	v_add_co_ci_u32_e64 v44, null, s7, v44, vcc_lo
	global_load_b32 v45, v[45:46], off
	v_add_co_u32 v8, vcc_lo, s8, v8
	global_load_b32 v43, v[43:44], off
	s_wait_alu 0xfffd
	v_add_co_ci_u32_e64 v9, null, s9, v9, vcc_lo
	s_wait_loadcnt 0x0
	v_sub_f32_e32 v43, v45, v43
	s_delay_alu instid0(VALU_DEP_1) | instskip(NEXT) | instid1(VALU_DEP_1)
	v_sub_f32_e32 v43, v47, v43
	v_mul_f32_e32 v43, s10, v43
	s_wait_kmcnt 0x0
	s_delay_alu instid0(VALU_DEP_1) | instskip(SKIP_4) | instid1(VALU_DEP_2)
	v_mul_f32_e32 v43, s0, v43
	s_mul_i32 s0, s2, 13
	global_store_b32 v[8:9], v43, off
	v_sub_f32_e32 v8, v41, v40
	v_mad_co_u64_u32 v[40:41], null, 0xffffff4c, s2, v[2:3]
	v_dual_mov_b32 v41, v3 :: v_dual_sub_f32 v8, v8, v36
	s_delay_alu instid0(VALU_DEP_1) | instskip(NEXT) | instid1(VALU_DEP_2)
	v_add_f32_e32 v8, v37, v8
	v_lshlrev_b64_e32 v[36:37], 2, v[40:41]
	s_delay_alu instid0(VALU_DEP_2) | instskip(NEXT) | instid1(VALU_DEP_2)
	v_add_f32_e32 v42, v8, v42
	v_add_co_u32 v8, vcc_lo, s4, v36
	s_wait_alu 0xfffd
	s_delay_alu instid0(VALU_DEP_3)
	v_add_co_ci_u32_e64 v9, null, s5, v37, vcc_lo
	v_add_co_u32 v36, vcc_lo, s6, v36
	s_wait_alu 0xfffd
	v_add_co_ci_u32_e64 v37, null, s7, v37, vcc_lo
	global_load_b32 v2, v[8:9], off
	global_load_b32 v41, v[36:37], off
	;; [unrolled: 1-line block ×4, first 2 shown]
	s_wait_loadcnt 0x2
	v_sub_f32_e32 v2, v2, v41
	s_wait_loadcnt 0x0
	v_sub_f32_e32 v20, v20, v21
	s_delay_alu instid0(VALU_DEP_2) | instskip(NEXT) | instid1(VALU_DEP_1)
	v_add_f32_e32 v2, v42, v2
	v_add_f32_e32 v2, v39, v2
	s_delay_alu instid0(VALU_DEP_1) | instskip(SKIP_4) | instid1(VALU_DEP_1)
	v_sub_f32_e32 v2, v2, v20
	global_load_b32 v20, v[28:29], off
	global_load_b32 v21, v[30:31], off
	s_wait_loadcnt 0x0
	v_sub_f32_e32 v20, v20, v21
	v_sub_f32_e32 v2, v2, v20
	v_mad_co_u64_u32 v[20:21], null, s2, 26, v[40:41]
	v_mov_b32_e32 v21, v3
	s_delay_alu instid0(VALU_DEP_1) | instskip(NEXT) | instid1(VALU_DEP_1)
	v_lshlrev_b64_e32 v[21:22], 2, v[20:21]
	v_add_co_u32 v28, vcc_lo, s4, v21
	s_wait_alu 0xfffd
	s_delay_alu instid0(VALU_DEP_2)
	v_add_co_ci_u32_e64 v29, null, s5, v22, vcc_lo
	v_add_co_u32 v21, vcc_lo, s6, v21
	s_wait_alu 0xfffd
	v_add_co_ci_u32_e64 v22, null, s7, v22, vcc_lo
	global_load_b32 v23, v[28:29], off
	global_load_b32 v21, v[21:22], off
	s_wait_loadcnt 0x0
	v_sub_f32_e32 v21, v23, v21
	s_delay_alu instid0(VALU_DEP_1) | instskip(SKIP_1) | instid1(VALU_DEP_1)
	v_sub_f32_e32 v28, v2, v21
	v_add_nc_u32_e32 v2, s3, v20
	v_lshlrev_b64_e32 v[20:21], 2, v[2:3]
	v_add_nc_u32_e32 v2, s2, v2
	s_delay_alu instid0(VALU_DEP_2) | instskip(SKIP_1) | instid1(VALU_DEP_3)
	v_add_co_u32 v22, vcc_lo, s4, v20
	s_wait_alu 0xfffd
	v_add_co_ci_u32_e64 v23, null, s5, v21, vcc_lo
	v_add_co_u32 v20, vcc_lo, s6, v20
	s_wait_alu 0xfffd
	v_add_co_ci_u32_e64 v21, null, s7, v21, vcc_lo
	global_load_b32 v22, v[22:23], off
	global_load_b32 v20, v[20:21], off
	s_wait_loadcnt 0x0
	v_sub_f32_e32 v20, v22, v20
	s_delay_alu instid0(VALU_DEP_1) | instskip(SKIP_3) | instid1(VALU_DEP_2)
	v_sub_f32_e32 v28, v28, v20
	v_lshlrev_b64_e32 v[20:21], 2, v[2:3]
	s_wait_alu 0xfffe
	v_add_nc_u32_e32 v2, s0, v2
	v_add_co_u32 v22, vcc_lo, s4, v20
	s_wait_alu 0xfffd
	s_delay_alu instid0(VALU_DEP_3)
	v_add_co_ci_u32_e64 v23, null, s5, v21, vcc_lo
	v_add_co_u32 v20, vcc_lo, s6, v20
	s_wait_alu 0xfffd
	v_add_co_ci_u32_e64 v21, null, s7, v21, vcc_lo
	global_load_b32 v22, v[22:23], off
	global_load_b32 v20, v[20:21], off
	s_wait_loadcnt 0x0
	v_sub_f32_e32 v20, v22, v20
	s_delay_alu instid0(VALU_DEP_1) | instskip(SKIP_2) | instid1(VALU_DEP_2)
	v_sub_f32_e32 v28, v28, v20
	v_lshlrev_b64_e32 v[20:21], 2, v[2:3]
	v_add_nc_u32_e32 v2, s2, v2
	v_add_co_u32 v22, vcc_lo, s4, v20
	s_wait_alu 0xfffd
	s_delay_alu instid0(VALU_DEP_3)
	v_add_co_ci_u32_e64 v23, null, s5, v21, vcc_lo
	v_add_co_u32 v20, vcc_lo, s6, v20
	s_wait_alu 0xfffd
	v_add_co_ci_u32_e64 v21, null, s7, v21, vcc_lo
	global_load_b32 v22, v[22:23], off
	global_load_b32 v20, v[20:21], off
	s_wait_loadcnt 0x0
	v_sub_f32_e32 v20, v22, v20
	v_lshlrev_b64_e32 v[22:23], 2, v[2:3]
	v_add_nc_u32_e32 v2, s15, v2
	s_delay_alu instid0(VALU_DEP_3) | instskip(NEXT) | instid1(VALU_DEP_3)
	v_sub_f32_e32 v28, v28, v20
	v_add_co_u32 v20, vcc_lo, s4, v22
	s_wait_alu 0xfffd
	s_delay_alu instid0(VALU_DEP_4)
	v_add_co_ci_u32_e64 v21, null, s5, v23, vcc_lo
	v_add_co_u32 v22, vcc_lo, s6, v22
	s_wait_alu 0xfffd
	v_add_co_ci_u32_e64 v23, null, s7, v23, vcc_lo
	global_load_b32 v29, v[20:21], off
	global_load_b32 v30, v[22:23], off
	s_wait_loadcnt 0x0
	v_sub_f32_e32 v29, v29, v30
	s_delay_alu instid0(VALU_DEP_1) | instskip(SKIP_2) | instid1(VALU_DEP_2)
	v_sub_f32_e32 v39, v28, v29
	v_lshlrev_b64_e32 v[28:29], 2, v[2:3]
	v_add_nc_u32_e32 v2, s18, v2
	v_add_co_u32 v30, vcc_lo, s4, v28
	s_wait_alu 0xfffd
	s_delay_alu instid0(VALU_DEP_3)
	v_add_co_ci_u32_e64 v31, null, s5, v29, vcc_lo
	v_add_co_u32 v28, vcc_lo, s6, v28
	s_wait_alu 0xfffd
	v_add_co_ci_u32_e64 v29, null, s7, v29, vcc_lo
	global_load_b32 v30, v[30:31], off
	global_load_b32 v28, v[28:29], off
	;; [unrolled: 1-line block ×4, first 2 shown]
	s_wait_loadcnt 0x2
	v_sub_f32_e32 v28, v30, v28
	s_wait_loadcnt 0x0
	v_sub_f32_e32 v24, v24, v25
	s_delay_alu instid0(VALU_DEP_2) | instskip(NEXT) | instid1(VALU_DEP_1)
	v_sub_f32_e32 v28, v39, v28
	v_sub_f32_e32 v28, v28, v24
	v_lshlrev_b64_e32 v[24:25], 2, v[2:3]
	v_add_nc_u32_e32 v2, s2, v2
	s_delay_alu instid0(VALU_DEP_2) | instskip(SKIP_1) | instid1(VALU_DEP_3)
	v_add_co_u32 v26, vcc_lo, s4, v24
	s_wait_alu 0xfffd
	v_add_co_ci_u32_e64 v27, null, s5, v25, vcc_lo
	v_add_co_u32 v24, vcc_lo, s6, v24
	s_wait_alu 0xfffd
	v_add_co_ci_u32_e64 v25, null, s7, v25, vcc_lo
	global_load_b32 v26, v[26:27], off
	global_load_b32 v24, v[24:25], off
	s_wait_loadcnt 0x0
	v_sub_f32_e32 v24, v26, v24
	s_delay_alu instid0(VALU_DEP_1) | instskip(SKIP_2) | instid1(VALU_DEP_2)
	v_sub_f32_e32 v28, v28, v24
	v_lshlrev_b64_e32 v[24:25], 2, v[2:3]
	v_add_nc_u32_e32 v2, s21, v2
	v_add_co_u32 v26, vcc_lo, s4, v24
	s_wait_alu 0xfffd
	s_delay_alu instid0(VALU_DEP_3)
	v_add_co_ci_u32_e64 v27, null, s5, v25, vcc_lo
	v_add_co_u32 v24, vcc_lo, s6, v24
	s_wait_alu 0xfffd
	v_add_co_ci_u32_e64 v25, null, s7, v25, vcc_lo
	global_load_b32 v26, v[26:27], off
	global_load_b32 v24, v[24:25], off
	s_wait_loadcnt 0x0
	v_sub_f32_e32 v24, v26, v24
	s_delay_alu instid0(VALU_DEP_1) | instskip(SKIP_2) | instid1(VALU_DEP_2)
	v_add_f32_e32 v28, v28, v24
	v_lshlrev_b64_e32 v[24:25], 2, v[2:3]
	v_add_nc_u32_e32 v2, s15, v2
	v_add_co_u32 v26, vcc_lo, s4, v24
	s_wait_alu 0xfffd
	s_delay_alu instid0(VALU_DEP_3)
	v_add_co_ci_u32_e64 v27, null, s5, v25, vcc_lo
	v_add_co_u32 v24, vcc_lo, s6, v24
	s_wait_alu 0xfffd
	v_add_co_ci_u32_e64 v25, null, s7, v25, vcc_lo
	global_load_b32 v26, v[26:27], off
	global_load_b32 v24, v[24:25], off
	s_wait_loadcnt 0x0
	v_sub_f32_e32 v24, v26, v24
	s_delay_alu instid0(VALU_DEP_1) | instskip(SKIP_2) | instid1(VALU_DEP_2)
	v_sub_f32_e32 v28, v28, v24
	v_lshlrev_b64_e32 v[24:25], 2, v[2:3]
	v_add_nc_u32_e32 v2, s14, v2
	v_add_co_u32 v26, vcc_lo, s4, v24
	s_wait_alu 0xfffd
	s_delay_alu instid0(VALU_DEP_3)
	v_add_co_ci_u32_e64 v27, null, s5, v25, vcc_lo
	v_add_co_u32 v24, vcc_lo, s6, v24
	s_wait_alu 0xfffd
	v_add_co_ci_u32_e64 v25, null, s7, v25, vcc_lo
	global_load_b32 v26, v[26:27], off
	global_load_b32 v24, v[24:25], off
	s_wait_loadcnt 0x0
	v_sub_f32_e32 v24, v26, v24
	s_delay_alu instid0(VALU_DEP_1) | instskip(SKIP_2) | instid1(VALU_DEP_2)
	v_sub_f32_e32 v28, v28, v24
	;; [unrolled: 15-line block ×3, first 2 shown]
	v_lshlrev_b64_e32 v[24:25], 2, v[2:3]
	v_add_nc_u32_e32 v2, s16, v2
	v_add_co_u32 v26, vcc_lo, s4, v24
	s_wait_alu 0xfffd
	s_delay_alu instid0(VALU_DEP_3)
	v_add_co_ci_u32_e64 v27, null, s5, v25, vcc_lo
	v_add_co_u32 v24, vcc_lo, s6, v24
	s_wait_alu 0xfffd
	v_add_co_ci_u32_e64 v25, null, s7, v25, vcc_lo
	global_load_b32 v26, v[26:27], off
	global_load_b32 v24, v[24:25], off
	s_wait_loadcnt 0x0
	v_sub_f32_e32 v24, v26, v24
	global_load_b32 v25, v[32:33], off
	global_load_b32 v26, v[34:35], off
	s_wait_loadcnt 0x0
	v_dual_sub_f32 v24, v28, v24 :: v_dual_sub_f32 v25, v25, v26
	s_delay_alu instid0(VALU_DEP_1) | instskip(SKIP_2) | instid1(VALU_DEP_2)
	v_sub_f32_e32 v28, v24, v25
	v_lshlrev_b64_e32 v[24:25], 2, v[2:3]
	v_add_nc_u32_e32 v2, s0, v2
	v_add_co_u32 v26, vcc_lo, s4, v24
	s_wait_alu 0xfffd
	s_delay_alu instid0(VALU_DEP_3)
	v_add_co_ci_u32_e64 v27, null, s5, v25, vcc_lo
	v_add_co_u32 v24, vcc_lo, s6, v24
	s_wait_alu 0xfffd
	v_add_co_ci_u32_e64 v25, null, s7, v25, vcc_lo
	global_load_b32 v26, v[26:27], off
	global_load_b32 v24, v[24:25], off
	s_wait_loadcnt 0x0
	v_sub_f32_e32 v24, v26, v24
	s_delay_alu instid0(VALU_DEP_1) | instskip(SKIP_2) | instid1(VALU_DEP_2)
	v_sub_f32_e32 v28, v28, v24
	v_lshlrev_b64_e32 v[24:25], 2, v[2:3]
	v_add_nc_u32_e32 v2, s2, v2
	v_add_co_u32 v26, vcc_lo, s4, v24
	s_wait_alu 0xfffd
	s_delay_alu instid0(VALU_DEP_3)
	v_add_co_ci_u32_e64 v27, null, s5, v25, vcc_lo
	v_add_co_u32 v24, vcc_lo, s6, v24
	s_wait_alu 0xfffd
	v_add_co_ci_u32_e64 v25, null, s7, v25, vcc_lo
	global_load_b32 v26, v[26:27], off
	global_load_b32 v24, v[24:25], off
	s_wait_loadcnt 0x0
	v_sub_f32_e32 v24, v26, v24
	;; [unrolled: 15-line block ×6, first 2 shown]
	s_delay_alu instid0(VALU_DEP_1) | instskip(SKIP_2) | instid1(VALU_DEP_2)
	v_add_f32_e32 v28, v28, v24
	v_lshlrev_b64_e32 v[24:25], 2, v[2:3]
	v_add_nc_u32_e32 v2, s19, v2
	v_add_co_u32 v26, vcc_lo, s4, v24
	s_wait_alu 0xfffd
	s_delay_alu instid0(VALU_DEP_3)
	v_add_co_ci_u32_e64 v27, null, s5, v25, vcc_lo
	v_add_co_u32 v24, vcc_lo, s6, v24
	s_wait_alu 0xfffd
	v_add_co_ci_u32_e64 v25, null, s7, v25, vcc_lo
	global_load_b32 v26, v[26:27], off
	global_load_b32 v24, v[24:25], off
	s_wait_loadcnt 0x0
	v_sub_f32_e32 v24, v26, v24
	s_delay_alu instid0(VALU_DEP_1) | instskip(SKIP_1) | instid1(VALU_DEP_1)
	v_add_f32_e32 v28, v28, v24
	v_lshlrev_b64_e32 v[24:25], 2, v[2:3]
	v_add_co_u32 v26, vcc_lo, s4, v24
	s_wait_alu 0xfffd
	s_delay_alu instid0(VALU_DEP_2)
	v_add_co_ci_u32_e64 v27, null, s5, v25, vcc_lo
	v_add_co_u32 v24, vcc_lo, s6, v24
	s_wait_alu 0xfffd
	v_add_co_ci_u32_e64 v25, null, s7, v25, vcc_lo
	global_load_b32 v26, v[26:27], off
	v_add_co_u32 v14, vcc_lo, s8, v14
	global_load_b32 v24, v[24:25], off
	s_wait_alu 0xfffd
	v_add_co_ci_u32_e64 v15, null, s9, v15, vcc_lo
	s_wait_loadcnt 0x0
	v_sub_f32_e32 v24, v26, v24
	s_delay_alu instid0(VALU_DEP_1) | instskip(NEXT) | instid1(VALU_DEP_1)
	v_sub_f32_e32 v24, v28, v24
	v_mul_f32_e32 v24, s10, v24
	s_delay_alu instid0(VALU_DEP_1)
	v_mul_f32_e32 v24, s1, v24
	global_store_b32 v[14:15], v24, off
	global_load_b32 v4, v[4:5], off
	global_load_b32 v5, v[6:7], off
	s_wait_loadcnt 0x0
	v_sub_f32_e32 v4, v4, v5
	global_load_b32 v5, v[10:11], off
	global_load_b32 v6, v[12:13], off
	s_wait_loadcnt 0x0
	v_sub_f32_e32 v5, v5, v6
	s_delay_alu instid0(VALU_DEP_1) | instskip(SKIP_2) | instid1(VALU_DEP_1)
	v_add_f32_e32 v7, v4, v5
	v_mad_co_u64_u32 v[4:5], null, 0xffffff3e, s2, v[2:3]
	v_mov_b32_e32 v5, v3
	v_lshlrev_b64_e32 v[5:6], 2, v[4:5]
	s_delay_alu instid0(VALU_DEP_1) | instskip(SKIP_1) | instid1(VALU_DEP_2)
	v_add_co_u32 v10, vcc_lo, s4, v5
	s_wait_alu 0xfffd
	v_add_co_ci_u32_e64 v11, null, s5, v6, vcc_lo
	v_add_co_u32 v5, vcc_lo, s6, v5
	s_wait_alu 0xfffd
	v_add_co_ci_u32_e64 v6, null, s7, v6, vcc_lo
	global_load_b32 v2, v[10:11], off
	global_load_b32 v5, v[5:6], off
	s_wait_loadcnt 0x0
	v_sub_f32_e32 v2, v2, v5
	global_load_b32 v5, v[16:17], off
	global_load_b32 v6, v[18:19], off
	v_add_f32_e32 v2, v7, v2
	s_wait_loadcnt 0x0
	v_sub_f32_e32 v5, v5, v6
	s_delay_alu instid0(VALU_DEP_1) | instskip(SKIP_4) | instid1(VALU_DEP_1)
	v_add_f32_e32 v2, v2, v5
	global_load_b32 v5, v[8:9], off
	global_load_b32 v6, v[36:37], off
	s_wait_loadcnt 0x0
	v_sub_f32_e32 v5, v5, v6
	v_add_f32_e32 v8, v2, v5
	v_add_nc_u32_e32 v2, s19, v4
	s_delay_alu instid0(VALU_DEP_1) | instskip(SKIP_1) | instid1(VALU_DEP_2)
	v_lshlrev_b64_e32 v[4:5], 2, v[2:3]
	v_add_nc_u32_e32 v2, s20, v2
	v_add_co_u32 v6, vcc_lo, s4, v4
	s_wait_alu 0xfffd
	s_delay_alu instid0(VALU_DEP_3)
	v_add_co_ci_u32_e64 v7, null, s5, v5, vcc_lo
	v_add_co_u32 v4, vcc_lo, s6, v4
	s_wait_alu 0xfffd
	v_add_co_ci_u32_e64 v5, null, s7, v5, vcc_lo
	global_load_b32 v6, v[6:7], off
	global_load_b32 v4, v[4:5], off
	s_wait_loadcnt 0x0
	v_sub_f32_e32 v4, v6, v4
	s_delay_alu instid0(VALU_DEP_1) | instskip(NEXT) | instid1(VALU_DEP_1)
	v_add_f32_e32 v4, v8, v4
	v_add_f32_e32 v8, v38, v4
	v_lshlrev_b64_e32 v[4:5], 2, v[2:3]
	v_add_nc_u32_e32 v2, s18, v2
	s_delay_alu instid0(VALU_DEP_2) | instskip(SKIP_1) | instid1(VALU_DEP_3)
	v_add_co_u32 v6, vcc_lo, s4, v4
	s_wait_alu 0xfffd
	v_add_co_ci_u32_e64 v7, null, s5, v5, vcc_lo
	v_add_co_u32 v4, vcc_lo, s6, v4
	s_wait_alu 0xfffd
	v_add_co_ci_u32_e64 v5, null, s7, v5, vcc_lo
	global_load_b32 v6, v[6:7], off
	global_load_b32 v4, v[4:5], off
	s_wait_loadcnt 0x0
	v_sub_f32_e32 v4, v6, v4
	s_delay_alu instid0(VALU_DEP_1) | instskip(SKIP_2) | instid1(VALU_DEP_2)
	v_sub_f32_e32 v8, v8, v4
	v_lshlrev_b64_e32 v[4:5], 2, v[2:3]
	v_add_nc_u32_e32 v2, s15, v2
	v_add_co_u32 v6, vcc_lo, s4, v4
	s_wait_alu 0xfffd
	s_delay_alu instid0(VALU_DEP_3)
	v_add_co_ci_u32_e64 v7, null, s5, v5, vcc_lo
	v_add_co_u32 v4, vcc_lo, s6, v4
	s_wait_alu 0xfffd
	v_add_co_ci_u32_e64 v5, null, s7, v5, vcc_lo
	global_load_b32 v6, v[6:7], off
	global_load_b32 v4, v[4:5], off
	s_wait_loadcnt 0x0
	v_sub_f32_e32 v4, v6, v4
	s_delay_alu instid0(VALU_DEP_1) | instskip(SKIP_1) | instid1(VALU_DEP_1)
	v_add_f32_e32 v8, v8, v4
	v_lshlrev_b64_e32 v[4:5], 2, v[2:3]
	v_add_co_u32 v6, vcc_lo, s4, v4
	s_wait_alu 0xfffd
	s_delay_alu instid0(VALU_DEP_2)
	v_add_co_ci_u32_e64 v7, null, s5, v5, vcc_lo
	v_add_co_u32 v4, vcc_lo, s6, v4
	s_wait_alu 0xfffd
	v_add_co_ci_u32_e64 v5, null, s7, v5, vcc_lo
	global_load_b32 v6, v[6:7], off
	global_load_b32 v4, v[4:5], off
	s_wait_loadcnt 0x0
	v_sub_f32_e32 v4, v6, v4
	global_load_b32 v5, v[20:21], off
	global_load_b32 v6, v[22:23], off
	s_load_b32 s0, s[12:13], 0x14
	s_wait_loadcnt 0x0
	v_dual_add_f32 v4, v8, v4 :: v_dual_sub_f32 v5, v5, v6
	s_delay_alu instid0(VALU_DEP_1) | instskip(SKIP_2) | instid1(VALU_DEP_1)
	v_add_f32_e32 v9, v4, v5
	v_mad_co_u64_u32 v[4:5], null, s2, 20, v[2:3]
	v_mov_b32_e32 v5, v3
	v_lshlrev_b64_e32 v[5:6], 2, v[4:5]
	s_delay_alu instid0(VALU_DEP_1) | instskip(SKIP_1) | instid1(VALU_DEP_2)
	v_add_co_u32 v7, vcc_lo, s4, v5
	s_wait_alu 0xfffd
	v_add_co_ci_u32_e64 v8, null, s5, v6, vcc_lo
	v_add_co_u32 v5, vcc_lo, s6, v5
	s_wait_alu 0xfffd
	v_add_co_ci_u32_e64 v6, null, s7, v6, vcc_lo
	global_load_b32 v2, v[7:8], off
	global_load_b32 v5, v[5:6], off
	s_wait_loadcnt 0x0
	v_sub_f32_e32 v2, v2, v5
	s_delay_alu instid0(VALU_DEP_1) | instskip(SKIP_1) | instid1(VALU_DEP_1)
	v_add_f32_e32 v8, v9, v2
	v_add_nc_u32_e32 v2, s11, v4
	v_lshlrev_b64_e32 v[4:5], 2, v[2:3]
	v_add_nc_u32_e32 v2, s2, v2
	s_delay_alu instid0(VALU_DEP_2) | instskip(SKIP_1) | instid1(VALU_DEP_3)
	v_add_co_u32 v6, vcc_lo, s4, v4
	s_wait_alu 0xfffd
	v_add_co_ci_u32_e64 v7, null, s5, v5, vcc_lo
	v_add_co_u32 v4, vcc_lo, s6, v4
	s_wait_alu 0xfffd
	v_add_co_ci_u32_e64 v5, null, s7, v5, vcc_lo
	global_load_b32 v6, v[6:7], off
	global_load_b32 v4, v[4:5], off
	s_wait_loadcnt 0x0
	v_sub_f32_e32 v4, v6, v4
	s_delay_alu instid0(VALU_DEP_1) | instskip(SKIP_2) | instid1(VALU_DEP_2)
	v_add_f32_e32 v8, v8, v4
	v_lshlrev_b64_e32 v[4:5], 2, v[2:3]
	v_add_nc_u32_e32 v2, s21, v2
	v_add_co_u32 v6, vcc_lo, s4, v4
	s_wait_alu 0xfffd
	s_delay_alu instid0(VALU_DEP_3)
	v_add_co_ci_u32_e64 v7, null, s5, v5, vcc_lo
	v_add_co_u32 v4, vcc_lo, s6, v4
	s_wait_alu 0xfffd
	v_add_co_ci_u32_e64 v5, null, s7, v5, vcc_lo
	global_load_b32 v6, v[6:7], off
	global_load_b32 v4, v[4:5], off
	s_wait_loadcnt 0x0
	v_sub_f32_e32 v4, v6, v4
	s_delay_alu instid0(VALU_DEP_1) | instskip(SKIP_2) | instid1(VALU_DEP_2)
	v_add_f32_e32 v8, v8, v4
	v_lshlrev_b64_e32 v[4:5], 2, v[2:3]
	v_add_nc_u32_e32 v2, s16, v2
	v_add_co_u32 v6, vcc_lo, s4, v4
	s_wait_alu 0xfffd
	s_delay_alu instid0(VALU_DEP_3)
	;; [unrolled: 15-line block ×3, first 2 shown]
	v_add_co_ci_u32_e64 v7, null, s5, v5, vcc_lo
	v_add_co_u32 v4, vcc_lo, s6, v4
	s_wait_alu 0xfffd
	v_add_co_ci_u32_e64 v5, null, s7, v5, vcc_lo
	global_load_b32 v6, v[6:7], off
	global_load_b32 v4, v[4:5], off
	s_wait_loadcnt 0x0
	v_sub_f32_e32 v4, v6, v4
	s_delay_alu instid0(VALU_DEP_1) | instskip(SKIP_1) | instid1(VALU_DEP_1)
	v_add_f32_e32 v8, v8, v4
	v_lshlrev_b64_e32 v[4:5], 2, v[2:3]
	v_add_co_u32 v6, vcc_lo, s4, v4
	s_wait_alu 0xfffd
	s_delay_alu instid0(VALU_DEP_2)
	v_add_co_ci_u32_e64 v7, null, s5, v5, vcc_lo
	v_add_co_u32 v4, vcc_lo, s6, v4
	s_wait_alu 0xfffd
	v_add_co_ci_u32_e64 v5, null, s7, v5, vcc_lo
	global_load_b32 v6, v[6:7], off
	global_load_b32 v4, v[4:5], off
	s_wait_loadcnt 0x0
	v_sub_f32_e32 v4, v6, v4
	s_delay_alu instid0(VALU_DEP_1) | instskip(SKIP_2) | instid1(VALU_DEP_1)
	v_add_f32_e32 v9, v8, v4
	v_mad_co_u64_u32 v[4:5], null, s2, 27, v[2:3]
	v_mov_b32_e32 v5, v3
	v_lshlrev_b64_e32 v[5:6], 2, v[4:5]
	s_delay_alu instid0(VALU_DEP_1) | instskip(SKIP_1) | instid1(VALU_DEP_2)
	v_add_co_u32 v7, vcc_lo, s4, v5
	s_wait_alu 0xfffd
	v_add_co_ci_u32_e64 v8, null, s5, v6, vcc_lo
	v_add_co_u32 v5, vcc_lo, s6, v5
	s_wait_alu 0xfffd
	v_add_co_ci_u32_e64 v6, null, s7, v6, vcc_lo
	global_load_b32 v2, v[7:8], off
	global_load_b32 v5, v[5:6], off
	s_wait_loadcnt 0x0
	v_sub_f32_e32 v2, v2, v5
	s_delay_alu instid0(VALU_DEP_1) | instskip(SKIP_1) | instid1(VALU_DEP_1)
	v_add_f32_e32 v8, v9, v2
	v_add_nc_u32_e32 v2, s11, v4
	v_lshlrev_b64_e32 v[4:5], 2, v[2:3]
	v_add_nc_u32_e32 v2, s14, v2
	s_delay_alu instid0(VALU_DEP_2) | instskip(SKIP_1) | instid1(VALU_DEP_3)
	v_add_co_u32 v6, vcc_lo, s4, v4
	s_wait_alu 0xfffd
	v_add_co_ci_u32_e64 v7, null, s5, v5, vcc_lo
	v_add_co_u32 v4, vcc_lo, s6, v4
	s_wait_alu 0xfffd
	v_add_co_ci_u32_e64 v5, null, s7, v5, vcc_lo
	global_load_b32 v6, v[6:7], off
	global_load_b32 v4, v[4:5], off
	s_wait_loadcnt 0x0
	v_sub_f32_e32 v4, v6, v4
	s_delay_alu instid0(VALU_DEP_1) | instskip(SKIP_2) | instid1(VALU_DEP_2)
	v_add_f32_e32 v8, v8, v4
	v_lshlrev_b64_e32 v[4:5], 2, v[2:3]
	v_add_nc_u32_e32 v2, s15, v2
	v_add_co_u32 v6, vcc_lo, s4, v4
	s_wait_alu 0xfffd
	s_delay_alu instid0(VALU_DEP_3)
	v_add_co_ci_u32_e64 v7, null, s5, v5, vcc_lo
	v_add_co_u32 v4, vcc_lo, s6, v4
	s_wait_alu 0xfffd
	v_add_co_ci_u32_e64 v5, null, s7, v5, vcc_lo
	global_load_b32 v6, v[6:7], off
	global_load_b32 v4, v[4:5], off
	s_wait_loadcnt 0x0
	v_sub_f32_e32 v4, v6, v4
	s_delay_alu instid0(VALU_DEP_1) | instskip(SKIP_1) | instid1(VALU_DEP_1)
	v_add_f32_e32 v8, v8, v4
	v_lshlrev_b64_e32 v[4:5], 2, v[2:3]
	v_add_co_u32 v6, vcc_lo, s4, v4
	s_wait_alu 0xfffd
	s_delay_alu instid0(VALU_DEP_2)
	v_add_co_ci_u32_e64 v7, null, s5, v5, vcc_lo
	v_add_co_u32 v4, vcc_lo, s6, v4
	s_wait_alu 0xfffd
	v_add_co_ci_u32_e64 v5, null, s7, v5, vcc_lo
	global_load_b32 v6, v[6:7], off
	global_load_b32 v4, v[4:5], off
	s_wait_loadcnt 0x0
	v_sub_f32_e32 v4, v6, v4
	s_delay_alu instid0(VALU_DEP_1) | instskip(SKIP_2) | instid1(VALU_DEP_1)
	v_add_f32_e32 v9, v8, v4
	v_mad_co_u64_u32 v[4:5], null, s2, 21, v[2:3]
	v_mov_b32_e32 v5, v3
	v_lshlrev_b64_e32 v[5:6], 2, v[4:5]
	s_delay_alu instid0(VALU_DEP_1) | instskip(SKIP_1) | instid1(VALU_DEP_2)
	v_add_co_u32 v7, vcc_lo, s4, v5
	s_wait_alu 0xfffd
	v_add_co_ci_u32_e64 v8, null, s5, v6, vcc_lo
	v_add_co_u32 v5, vcc_lo, s6, v5
	s_wait_alu 0xfffd
	v_add_co_ci_u32_e64 v6, null, s7, v6, vcc_lo
	global_load_b32 v2, v[7:8], off
	global_load_b32 v5, v[5:6], off
	s_wait_loadcnt 0x0
	v_sub_f32_e32 v2, v2, v5
	s_delay_alu instid0(VALU_DEP_1) | instskip(SKIP_1) | instid1(VALU_DEP_1)
	v_add_f32_e32 v8, v9, v2
	v_add_nc_u32_e32 v2, s17, v4
	v_lshlrev_b64_e32 v[4:5], 2, v[2:3]
	v_add_nc_u32_e32 v2, s11, v2
	s_delay_alu instid0(VALU_DEP_2) | instskip(SKIP_1) | instid1(VALU_DEP_3)
	v_add_co_u32 v6, vcc_lo, s4, v4
	s_wait_alu 0xfffd
	v_add_co_ci_u32_e64 v7, null, s5, v5, vcc_lo
	v_add_co_u32 v4, vcc_lo, s6, v4
	s_wait_alu 0xfffd
	v_add_co_ci_u32_e64 v5, null, s7, v5, vcc_lo
	global_load_b32 v6, v[6:7], off
	v_lshlrev_b64_e32 v[2:3], 2, v[2:3]
	global_load_b32 v4, v[4:5], off
	s_wait_loadcnt 0x0
	v_sub_f32_e32 v4, v6, v4
	s_delay_alu instid0(VALU_DEP_1)
	v_add_f32_e32 v6, v8, v4
	v_add_co_u32 v4, vcc_lo, s4, v2
	s_wait_alu 0xfffd
	v_add_co_ci_u32_e64 v5, null, s5, v3, vcc_lo
	v_add_co_u32 v2, vcc_lo, s6, v2
	s_wait_alu 0xfffd
	v_add_co_ci_u32_e64 v3, null, s7, v3, vcc_lo
	global_load_b32 v4, v[4:5], off
	v_add_co_u32 v0, vcc_lo, s8, v0
	global_load_b32 v2, v[2:3], off
	s_wait_alu 0xfffd
	v_add_co_ci_u32_e64 v1, null, s9, v1, vcc_lo
	s_wait_loadcnt 0x0
	v_sub_f32_e32 v2, v4, v2
	s_delay_alu instid0(VALU_DEP_1) | instskip(NEXT) | instid1(VALU_DEP_1)
	v_add_f32_e32 v2, v6, v2
	v_mul_f32_e32 v2, s10, v2
	s_wait_kmcnt 0x0
	s_delay_alu instid0(VALU_DEP_1)
	v_mul_f32_e32 v2, s0, v2
	global_store_b32 v[0:1], v2, off
	s_endpgm
	.section	.rodata,"a",@progbits
	.p2align	6, 0x0
	.amdhsa_kernel _Z15rdwdot10_kernelIfEvPKT_S2_PS0_S0_S2_
		.amdhsa_group_segment_fixed_size 0
		.amdhsa_private_segment_fixed_size 0
		.amdhsa_kernarg_size 296
		.amdhsa_user_sgpr_count 2
		.amdhsa_user_sgpr_dispatch_ptr 0
		.amdhsa_user_sgpr_queue_ptr 0
		.amdhsa_user_sgpr_kernarg_segment_ptr 1
		.amdhsa_user_sgpr_dispatch_id 0
		.amdhsa_user_sgpr_private_segment_size 0
		.amdhsa_wavefront_size32 1
		.amdhsa_uses_dynamic_stack 0
		.amdhsa_enable_private_segment 0
		.amdhsa_system_sgpr_workgroup_id_x 1
		.amdhsa_system_sgpr_workgroup_id_y 0
		.amdhsa_system_sgpr_workgroup_id_z 0
		.amdhsa_system_sgpr_workgroup_info 0
		.amdhsa_system_vgpr_workitem_id 0
		.amdhsa_next_free_vgpr 48
		.amdhsa_next_free_sgpr 24
		.amdhsa_reserve_vcc 1
		.amdhsa_float_round_mode_32 0
		.amdhsa_float_round_mode_16_64 0
		.amdhsa_float_denorm_mode_32 3
		.amdhsa_float_denorm_mode_16_64 3
		.amdhsa_fp16_overflow 0
		.amdhsa_workgroup_processor_mode 1
		.amdhsa_memory_ordered 1
		.amdhsa_forward_progress 1
		.amdhsa_inst_pref_size 90
		.amdhsa_round_robin_scheduling 0
		.amdhsa_exception_fp_ieee_invalid_op 0
		.amdhsa_exception_fp_denorm_src 0
		.amdhsa_exception_fp_ieee_div_zero 0
		.amdhsa_exception_fp_ieee_overflow 0
		.amdhsa_exception_fp_ieee_underflow 0
		.amdhsa_exception_fp_ieee_inexact 0
		.amdhsa_exception_int_div_zero 0
	.end_amdhsa_kernel
	.section	.text._Z15rdwdot10_kernelIfEvPKT_S2_PS0_S0_S2_,"axG",@progbits,_Z15rdwdot10_kernelIfEvPKT_S2_PS0_S0_S2_,comdat
.Lfunc_end26:
	.size	_Z15rdwdot10_kernelIfEvPKT_S2_PS0_S0_S2_, .Lfunc_end26-_Z15rdwdot10_kernelIfEvPKT_S2_PS0_S0_S2_
                                        ; -- End function
	.set _Z15rdwdot10_kernelIfEvPKT_S2_PS0_S0_S2_.num_vgpr, 48
	.set _Z15rdwdot10_kernelIfEvPKT_S2_PS0_S0_S2_.num_agpr, 0
	.set _Z15rdwdot10_kernelIfEvPKT_S2_PS0_S0_S2_.numbered_sgpr, 24
	.set _Z15rdwdot10_kernelIfEvPKT_S2_PS0_S0_S2_.num_named_barrier, 0
	.set _Z15rdwdot10_kernelIfEvPKT_S2_PS0_S0_S2_.private_seg_size, 0
	.set _Z15rdwdot10_kernelIfEvPKT_S2_PS0_S0_S2_.uses_vcc, 1
	.set _Z15rdwdot10_kernelIfEvPKT_S2_PS0_S0_S2_.uses_flat_scratch, 0
	.set _Z15rdwdot10_kernelIfEvPKT_S2_PS0_S0_S2_.has_dyn_sized_stack, 0
	.set _Z15rdwdot10_kernelIfEvPKT_S2_PS0_S0_S2_.has_recursion, 0
	.set _Z15rdwdot10_kernelIfEvPKT_S2_PS0_S0_S2_.has_indirect_call, 0
	.section	.AMDGPU.csdata,"",@progbits
; Kernel info:
; codeLenInByte = 11452
; TotalNumSgprs: 26
; NumVgprs: 48
; ScratchSize: 0
; MemoryBound: 0
; FloatMode: 240
; IeeeMode: 1
; LDSByteSize: 0 bytes/workgroup (compile time only)
; SGPRBlocks: 0
; VGPRBlocks: 5
; NumSGPRsForWavesPerEU: 26
; NumVGPRsForWavesPerEU: 48
; Occupancy: 16
; WaveLimiterHint : 0
; COMPUTE_PGM_RSRC2:SCRATCH_EN: 0
; COMPUTE_PGM_RSRC2:USER_SGPR: 2
; COMPUTE_PGM_RSRC2:TRAP_HANDLER: 0
; COMPUTE_PGM_RSRC2:TGID_X_EN: 1
; COMPUTE_PGM_RSRC2:TGID_Y_EN: 0
; COMPUTE_PGM_RSRC2:TGID_Z_EN: 0
; COMPUTE_PGM_RSRC2:TIDIG_COMP_CNT: 0
	.section	.text._Z11ratt_kernelIdEvPKT_PS0_S0_,"axG",@progbits,_Z11ratt_kernelIdEvPKT_PS0_S0_,comdat
	.protected	_Z11ratt_kernelIdEvPKT_PS0_S0_ ; -- Begin function _Z11ratt_kernelIdEvPKT_PS0_S0_
	.globl	_Z11ratt_kernelIdEvPKT_PS0_S0_
	.p2align	8
	.type	_Z11ratt_kernelIdEvPKT_PS0_S0_,@function
_Z11ratt_kernelIdEvPKT_PS0_S0_:         ; @_Z11ratt_kernelIdEvPKT_PS0_S0_
; %bb.0:
	s_clause 0x1
	s_load_b32 s2, s[0:1], 0x24
	s_load_b128 s[8:11], s[0:1], 0x0
	s_mov_b32 s4, 0x6b47b09a
	s_mov_b32 s6, 0xbf559e2b
	;; [unrolled: 1-line block ×18, first 2 shown]
	s_wait_kmcnt 0x0
	s_and_b32 s3, s2, 0xffff
	s_load_b96 s[0:2], s[0:1], 0x10
	v_mad_co_u64_u32 v[0:1], null, ttmp9, s3, v[0:1]
	v_mov_b32_e32 v1, 0
	s_mov_b32 s20, 0x623fde64
	s_mov_b32 s21, 0x3ec71dee
	;; [unrolled: 1-line block ×5, first 2 shown]
	s_delay_alu instid0(VALU_DEP_2)
	v_lshlrev_b64_e32 v[8:9], 3, v[0:1]
	s_mov_b32 s27, 0x3f56c16c
	s_mov_b32 s28, 0x11122322
	;; [unrolled: 1-line block ×5, first 2 shown]
	v_add_co_u32 v2, vcc_lo, s8, v8
	s_delay_alu instid0(VALU_DEP_1)
	v_add_co_ci_u32_e64 v3, null, s9, v9, vcc_lo
	s_mov_b32 s9, 0x3c7abc9e
	s_mov_b32 s8, 0x3b39803f
	;; [unrolled: 1-line block ×3, first 2 shown]
	global_load_b64 v[2:3], v[2:3], off
	s_mov_b32 s37, 0x3fc55555
	s_mov_b32 s38, 11
	;; [unrolled: 1-line block ×7, first 2 shown]
	s_wait_kmcnt 0x0
	s_mul_i32 s33, s2, s3
	s_mov_b32 s2, 0xe24febd1
	s_mov_b32 s3, 0xc079ca33
	;; [unrolled: 1-line block ×37, first 2 shown]
	s_lshl_b32 s82, s33, 1
	s_mov_b32 s84, 0x8c1a5516
	s_mov_b32 s85, 0x402d6e6c
	s_wait_loadcnt 0x0
	v_mul_f64_e32 v[12:13], s[0:1], v[2:3]
	s_mov_b32 s1, 0x3fe55555
	s_mov_b32 s0, 0x55555555
	s_delay_alu instid0(VALU_DEP_1) | instskip(SKIP_1) | instid1(VALU_DEP_1)
	v_frexp_mant_f64_e32 v[2:3], v[12:13]
	s_wait_alu 0xfffe
	v_cmp_gt_f64_e32 vcc_lo, s[0:1], v[2:3]
	s_mov_b32 s0, 0x55555780
	s_wait_alu 0xfffd
	v_cndmask_b32_e64 v4, 0, 1, vcc_lo
	s_delay_alu instid0(VALU_DEP_1) | instskip(NEXT) | instid1(VALU_DEP_1)
	v_ldexp_f64 v[2:3], v[2:3], v4
	v_add_f64_e32 v[4:5], 1.0, v[2:3]
	v_add_f64_e32 v[14:15], -1.0, v[2:3]
	s_delay_alu instid0(VALU_DEP_2) | instskip(SKIP_1) | instid1(VALU_DEP_1)
	v_rcp_f64_e32 v[6:7], v[4:5]
	v_add_f64_e32 v[16:17], -1.0, v[4:5]
	v_add_f64_e64 v[2:3], v[2:3], -v[16:17]
	s_delay_alu instid0(TRANS32_DEP_1) | instskip(NEXT) | instid1(VALU_DEP_1)
	v_fma_f64 v[10:11], -v[4:5], v[6:7], 1.0
	v_fma_f64 v[6:7], v[10:11], v[6:7], v[6:7]
	s_delay_alu instid0(VALU_DEP_1) | instskip(NEXT) | instid1(VALU_DEP_1)
	v_fma_f64 v[10:11], -v[4:5], v[6:7], 1.0
	v_fma_f64 v[6:7], v[10:11], v[6:7], v[6:7]
	s_delay_alu instid0(VALU_DEP_1) | instskip(NEXT) | instid1(VALU_DEP_1)
	v_mul_f64_e32 v[10:11], v[14:15], v[6:7]
	v_mul_f64_e32 v[18:19], v[4:5], v[10:11]
	s_delay_alu instid0(VALU_DEP_1) | instskip(NEXT) | instid1(VALU_DEP_1)
	v_fma_f64 v[4:5], v[10:11], v[4:5], -v[18:19]
	v_fma_f64 v[2:3], v[10:11], v[2:3], v[4:5]
	s_delay_alu instid0(VALU_DEP_1) | instskip(NEXT) | instid1(VALU_DEP_1)
	v_add_f64_e32 v[4:5], v[18:19], v[2:3]
	v_add_f64_e64 v[16:17], v[14:15], -v[4:5]
	v_add_f64_e64 v[18:19], v[4:5], -v[18:19]
	s_delay_alu instid0(VALU_DEP_2) | instskip(NEXT) | instid1(VALU_DEP_2)
	v_add_f64_e64 v[14:15], v[14:15], -v[16:17]
	v_add_f64_e64 v[2:3], v[18:19], -v[2:3]
	v_frexp_exp_i32_f64_e32 v18, v[12:13]
	s_delay_alu instid0(VALU_DEP_3) | instskip(NEXT) | instid1(VALU_DEP_1)
	v_add_f64_e64 v[4:5], v[14:15], -v[4:5]
	v_add_f64_e32 v[2:3], v[2:3], v[4:5]
	s_delay_alu instid0(VALU_DEP_1) | instskip(NEXT) | instid1(VALU_DEP_1)
	v_add_f64_e32 v[2:3], v[16:17], v[2:3]
	v_mul_f64_e32 v[2:3], v[6:7], v[2:3]
	s_delay_alu instid0(VALU_DEP_1) | instskip(NEXT) | instid1(VALU_DEP_1)
	v_add_f64_e32 v[4:5], v[10:11], v[2:3]
	v_mul_f64_e32 v[6:7], v[4:5], v[4:5]
	s_delay_alu instid0(VALU_DEP_1)
	v_fma_f64 v[14:15], v[6:7], s[6:7], s[4:5]
	s_mov_b32 s4, 0xd7f4df2e
	s_mov_b32 s5, 0x3fc7474d
	v_mul_f64_e32 v[16:17], v[4:5], v[6:7]
	s_mov_b32 s6, 0x748a1598
	s_mov_b32 s7, 0x4024f73f
	s_wait_alu 0xfffe
	s_delay_alu instid0(VALU_DEP_2) | instskip(SKIP_3) | instid1(VALU_DEP_1)
	v_fma_f64 v[14:15], v[6:7], v[14:15], s[4:5]
	s_mov_b32 s4, 0x16291751
	s_mov_b32 s5, 0x3fcc71c0
	s_wait_alu 0xfffe
	v_fma_f64 v[14:15], v[6:7], v[14:15], s[4:5]
	s_mov_b32 s4, 0x9b27acf1
	s_mov_b32 s5, 0x3fd24924
	s_wait_alu 0xfffe
	s_delay_alu instid0(VALU_DEP_1) | instskip(SKIP_3) | instid1(VALU_DEP_1)
	v_fma_f64 v[14:15], v[6:7], v[14:15], s[4:5]
	s_mov_b32 s4, 0x998ef7b6
	s_mov_b32 s5, 0x3fd99999
	s_wait_alu 0xfffe
	v_fma_f64 v[14:15], v[6:7], v[14:15], s[4:5]
	s_mov_b32 s4, 0xa0e410b6
	s_mov_b32 s5, 0xc0bc54dc
	s_delay_alu instid0(VALU_DEP_1) | instskip(SKIP_4) | instid1(VALU_DEP_3)
	v_fma_f64 v[6:7], v[6:7], v[14:15], s[0:1]
	v_ldexp_f64 v[14:15], v[4:5], 1
	v_add_f64_e64 v[4:5], v[4:5], -v[10:11]
	s_mov_b32 s0, 0xde416957
	s_mov_b32 s1, 0x40400661
	v_mul_f64_e32 v[6:7], v[16:17], v[6:7]
	v_subrev_co_ci_u32_e64 v16, null, 0, v18, vcc_lo
	s_delay_alu instid0(VALU_DEP_3) | instskip(NEXT) | instid1(VALU_DEP_2)
	v_add_f64_e64 v[2:3], v[2:3], -v[4:5]
	v_cvt_f64_i32_e32 v[16:17], v16
	s_delay_alu instid0(VALU_DEP_4) | instskip(NEXT) | instid1(VALU_DEP_3)
	v_add_f64_e32 v[10:11], v[14:15], v[6:7]
	v_ldexp_f64 v[2:3], v[2:3], 1
	s_delay_alu instid0(VALU_DEP_3) | instskip(NEXT) | instid1(VALU_DEP_3)
	v_mul_f64_e32 v[18:19], s[12:13], v[16:17]
	v_add_f64_e64 v[4:5], v[10:11], -v[14:15]
	s_delay_alu instid0(VALU_DEP_2) | instskip(SKIP_1) | instid1(VALU_DEP_2)
	v_fma_f64 v[14:15], v[16:17], s[12:13], -v[18:19]
	s_mov_b32 s13, 0xbfe62e42
	v_add_f64_e64 v[4:5], v[6:7], -v[4:5]
	s_delay_alu instid0(VALU_DEP_2) | instskip(SKIP_1) | instid1(VALU_DEP_2)
	v_fma_f64 v[6:7], v[16:17], s[8:9], v[14:15]
	s_mov_b32 s9, 0xbc7abc9e
	v_add_f64_e32 v[2:3], v[2:3], v[4:5]
	v_div_scale_f64 v[4:5], null, v[12:13], v[12:13], 1.0
	s_delay_alu instid0(VALU_DEP_3) | instskip(NEXT) | instid1(VALU_DEP_3)
	v_add_f64_e32 v[14:15], v[18:19], v[6:7]
	v_add_f64_e32 v[16:17], v[10:11], v[2:3]
	s_delay_alu instid0(VALU_DEP_3) | instskip(NEXT) | instid1(VALU_DEP_2)
	v_rcp_f64_e32 v[20:21], v[4:5]
	v_add_f64_e64 v[18:19], v[14:15], -v[18:19]
	s_delay_alu instid0(VALU_DEP_2) | instskip(SKIP_1) | instid1(TRANS32_DEP_1)
	v_add_f64_e32 v[22:23], v[14:15], v[16:17]
	v_add_f64_e64 v[10:11], v[16:17], -v[10:11]
	v_fma_f64 v[24:25], -v[4:5], v[20:21], 1.0
	s_delay_alu instid0(VALU_DEP_4) | instskip(NEXT) | instid1(VALU_DEP_4)
	v_add_f64_e64 v[6:7], v[6:7], -v[18:19]
	v_add_f64_e64 v[26:27], v[22:23], -v[14:15]
	s_delay_alu instid0(VALU_DEP_4) | instskip(NEXT) | instid1(VALU_DEP_4)
	v_add_f64_e64 v[2:3], v[2:3], -v[10:11]
	v_fma_f64 v[20:21], v[20:21], v[24:25], v[20:21]
	s_delay_alu instid0(VALU_DEP_3) | instskip(SKIP_2) | instid1(VALU_DEP_4)
	v_add_f64_e64 v[24:25], v[22:23], -v[26:27]
	v_add_f64_e64 v[10:11], v[16:17], -v[26:27]
	v_div_scale_f64 v[16:17], vcc_lo, 1.0, v[12:13], 1.0
	v_fma_f64 v[28:29], -v[4:5], v[20:21], 1.0
	s_delay_alu instid0(VALU_DEP_4) | instskip(NEXT) | instid1(VALU_DEP_2)
	v_add_f64_e64 v[14:15], v[14:15], -v[24:25]
	v_fma_f64 v[18:19], v[20:21], v[28:29], v[20:21]
	v_add_f64_e32 v[20:21], v[6:7], v[2:3]
	s_delay_alu instid0(VALU_DEP_3) | instskip(NEXT) | instid1(VALU_DEP_3)
	v_add_f64_e32 v[10:11], v[10:11], v[14:15]
	v_mul_f64_e32 v[14:15], v[16:17], v[18:19]
	s_delay_alu instid0(VALU_DEP_3) | instskip(NEXT) | instid1(VALU_DEP_3)
	v_add_f64_e64 v[24:25], v[20:21], -v[6:7]
	v_add_f64_e32 v[10:11], v[20:21], v[10:11]
	s_delay_alu instid0(VALU_DEP_3) | instskip(NEXT) | instid1(VALU_DEP_3)
	v_fma_f64 v[4:5], -v[4:5], v[14:15], v[16:17]
	v_add_f64_e64 v[16:17], v[20:21], -v[24:25]
	s_delay_alu instid0(VALU_DEP_3) | instskip(SKIP_1) | instid1(VALU_DEP_3)
	v_add_f64_e32 v[20:21], v[22:23], v[10:11]
	s_wait_alu 0xfffd
	v_div_fmas_f64 v[4:5], v[4:5], v[18:19], v[14:15]
	v_add_f64_e64 v[14:15], v[2:3], -v[24:25]
	s_delay_alu instid0(VALU_DEP_4) | instskip(SKIP_3) | instid1(VALU_DEP_4)
	v_add_f64_e64 v[6:7], v[6:7], -v[16:17]
	v_cmp_class_f64_e64 vcc_lo, v[12:13], 0x204
	v_add_f64_e64 v[16:17], v[20:21], -v[22:23]
	v_div_fixup_f64 v[2:3], v[4:5], v[12:13], 1.0
	v_add_f64_e32 v[4:5], v[14:15], v[6:7]
	s_delay_alu instid0(VALU_DEP_3) | instskip(SKIP_1) | instid1(VALU_DEP_3)
	v_add_f64_e64 v[6:7], v[10:11], -v[16:17]
	s_wait_alu 0xfffe
	v_fma_f64 v[10:11], v[2:3], s[4:5], s[0:1]
	s_mov_b32 s0, 0xfb38f0e2
	s_mov_b32 s1, 0x4025a3b9
	;; [unrolled: 1-line block ×4, first 2 shown]
	s_delay_alu instid0(VALU_DEP_2) | instskip(NEXT) | instid1(VALU_DEP_2)
	v_add_f64_e32 v[4:5], v[4:5], v[6:7]
	v_mul_f64_e32 v[6:7], s[14:15], v[10:11]
	s_delay_alu instid0(VALU_DEP_2) | instskip(NEXT) | instid1(VALU_DEP_2)
	v_add_f64_e32 v[4:5], v[20:21], v[4:5]
	v_rndne_f64_e32 v[6:7], v[6:7]
	s_wait_alu 0xfffd
	s_delay_alu instid0(VALU_DEP_2) | instskip(SKIP_1) | instid1(VALU_DEP_3)
	v_dual_cndmask_b32 v4, v4, v12 :: v_dual_cndmask_b32 v5, v5, v13
	v_cmp_ngt_f64_e32 vcc_lo, 0, v[12:13]
	v_cvt_i32_f64_e32 v72, v[6:7]
	s_wait_alu 0xfffd
	s_delay_alu instid0(VALU_DEP_3)
	v_cndmask_b32_e32 v5, 0x7ff80000, v5, vcc_lo
	v_cmp_nge_f64_e32 vcc_lo, 0, v[12:13]
	s_wait_alu 0xfffd
	v_cndmask_b32_e32 v4, 0, v4, vcc_lo
	v_cmp_neq_f64_e32 vcc_lo, 0, v[12:13]
	v_fma_f64 v[12:13], v[6:7], s[12:13], v[10:11]
	s_wait_alu 0xfffd
	v_cndmask_b32_e32 v5, 0xfff00000, v5, vcc_lo
	s_delay_alu instid0(VALU_DEP_2) | instskip(SKIP_2) | instid1(VALU_DEP_3)
	v_fma_f64 v[20:21], v[6:7], s[8:9], v[12:13]
	v_cmp_nlt_f64_e32 vcc_lo, 0x40900000, v[10:11]
	s_wait_alu 0xfffe
	v_fma_f64 v[14:15], v[4:5], s[34:35], s[0:1]
	s_mov_b32 s0, 0x36cdf267
	s_mov_b32 s1, 0xc0a8ba77
	v_fma_f64 v[12:13], v[4:5], s[46:47], s[4:5]
	s_mov_b32 s4, 0xfe47992
	s_mov_b32 s5, 0x40909726
	;; [unrolled: 1-line block ×4, first 2 shown]
	s_delay_alu instid0(VALU_DEP_4) | instskip(SKIP_1) | instid1(VALU_DEP_3)
	v_fma_f64 v[16:17], v[20:21], s[18:19], s[16:17]
	s_wait_alu 0xfffe
	v_fma_f64 v[24:25], v[2:3], s[0:1], v[14:15]
	s_mov_b32 s0, 0xf75104d5
	s_mov_b32 s1, 0xc09af821
	v_fma_f64 v[14:15], v[4:5], s[22:23], s[6:7]
	s_wait_alu 0xfffe
	s_delay_alu instid0(VALU_DEP_4)
	v_fma_f64 v[30:31], v[2:3], s[0:1], v[12:13]
	s_mov_b32 s0, 0x63aaca44
	s_mov_b32 s1, 0x404384f0
	;; [unrolled: 1-line block ×5, first 2 shown]
	s_delay_alu instid0(VALU_DEP_3) | instskip(NEXT) | instid1(VALU_DEP_3)
	v_mul_f64_e32 v[12:13], s[14:15], v[24:25]
	v_fma_f64 v[36:37], v[2:3], s[4:5], v[14:15]
	v_fma_f64 v[14:15], v[20:21], v[16:17], s[20:21]
	s_delay_alu instid0(VALU_DEP_4) | instskip(SKIP_2) | instid1(VALU_DEP_4)
	v_mul_f64_e32 v[16:17], s[14:15], v[30:31]
	s_mov_b32 s5, 0xbfeb851e
	s_mov_b32 s4, 0xb851eb85
	v_rndne_f64_e32 v[26:27], v[12:13]
	s_wait_alu 0xfffe
	v_fma_f64 v[12:13], v[4:5], s[22:23], s[0:1]
	s_mov_b32 s22, 0x7c89e6b0
	s_mov_b32 s23, 0x3efa0199
	v_mul_f64_e32 v[18:19], s[14:15], v[36:37]
	s_wait_alu 0xfffe
	v_fma_f64 v[14:15], v[20:21], v[14:15], s[22:23]
	v_rndne_f64_e32 v[58:59], v[16:17]
	s_mov_b32 s0, 0x6e6b17a6
	s_mov_b32 s1, 0x4046c53b
	s_wait_alu 0xfffe
	v_fma_f64 v[28:29], 0xbff40000, v[4:5], s[0:1]
	s_mov_b32 s0, 0x84ed3a2b
	s_mov_b32 s1, 0x40453cf2
	v_fma_f64 v[16:17], v[26:27], s[12:13], v[24:25]
	v_rndne_f64_e32 v[32:33], v[18:19]
	v_mul_f64_e32 v[18:19], s[14:15], v[12:13]
	v_fma_f64 v[14:15], v[20:21], v[14:15], s[24:25]
	v_fma_f64 v[22:23], v[58:59], s[12:13], v[30:31]
	;; [unrolled: 1-line block ×4, first 2 shown]
	v_rndne_f64_e32 v[34:35], v[18:19]
	v_mul_f64_e32 v[18:19], s[14:15], v[28:29]
	v_fma_f64 v[14:15], v[20:21], v[14:15], s[26:27]
	v_fma_f64 v[62:63], v[58:59], s[8:9], v[22:23]
	v_cvt_i32_f64_e32 v98, v[32:33]
	v_fma_f64 v[22:23], v[50:51], s[18:19], s[16:17]
	v_fma_f64 v[60:61], v[32:33], s[8:9], v[16:17]
	;; [unrolled: 1-line block ×3, first 2 shown]
	v_rndne_f64_e32 v[48:49], v[18:19]
	v_fma_f64 v[14:15], v[20:21], v[14:15], s[28:29]
	v_fma_f64 v[18:19], v[62:63], s[18:19], s[16:17]
	v_cvt_i32_f64_e32 v99, v[34:35]
	v_fma_f64 v[22:23], v[50:51], v[22:23], s[20:21]
	v_fma_f64 v[38:39], v[60:61], s[18:19], s[16:17]
	;; [unrolled: 1-line block ×6, first 2 shown]
	s_wait_alu 0xfffe
	v_fma_f64 v[16:17], v[4:5], s[4:5], s[0:1]
	s_mov_b32 s0, 0x7e0fd058
	s_mov_b32 s1, 0x4047933d
	;; [unrolled: 1-line block ×3, first 2 shown]
	v_fma_f64 v[22:23], v[50:51], v[22:23], s[22:23]
	v_fma_f64 v[38:39], v[60:61], v[38:39], s[20:21]
	;; [unrolled: 1-line block ×6, first 2 shown]
	s_wait_alu 0xfffe
	v_fma_f64 v[14:15], v[4:5], s[4:5], s[0:1]
	v_mul_f64_e32 v[46:47], s[14:15], v[16:17]
	s_mov_b32 s0, 0x27fd750b
	s_mov_b32 s4, 0x851eb852
	s_mov_b32 s1, 0x40462024
	s_mov_b32 s5, 0xbfe851eb
	v_fma_f64 v[22:23], v[50:51], v[22:23], s[24:25]
	v_fma_f64 v[38:39], v[60:61], v[38:39], s[22:23]
	;; [unrolled: 1-line block ×6, first 2 shown]
	s_wait_alu 0xfffe
	v_fma_f64 v[18:19], v[4:5], s[4:5], s[0:1]
	v_mul_f64_e32 v[64:65], s[14:15], v[14:15]
	v_rndne_f64_e32 v[46:47], v[46:47]
	s_mov_b32 s0, 0x41c16b70
	s_mov_b32 s1, 0x40465a31
	;; [unrolled: 1-line block ×4, first 2 shown]
	v_fma_f64 v[22:23], v[50:51], v[22:23], s[26:27]
	v_fma_f64 v[38:39], v[60:61], v[38:39], s[24:25]
	;; [unrolled: 1-line block ×4, first 2 shown]
	v_fma_f64 v[42:43], v[20:21], v[42:43], 1.0
	v_fma_f64 v[56:57], v[62:63], v[56:57], s[26:27]
	v_mul_f64_e32 v[68:69], s[14:15], v[18:19]
	v_rndne_f64_e32 v[44:45], v[64:65]
	v_fma_f64 v[64:65], v[46:47], s[12:13], v[16:17]
	v_fma_f64 v[22:23], v[50:51], v[22:23], s[28:29]
	;; [unrolled: 1-line block ×5, first 2 shown]
	v_fma_f64 v[6:7], v[20:21], v[42:43], 1.0
	v_fma_f64 v[42:43], v[62:63], v[56:57], s[28:29]
	s_wait_alu 0xfffe
	v_fma_f64 v[20:21], v[4:5], s[40:41], s[0:1]
	v_rndne_f64_e32 v[54:55], v[68:69]
	v_fma_f64 v[68:69], v[44:45], s[12:13], v[14:15]
	v_fma_f64 v[56:57], v[46:47], s[8:9], v[64:65]
	s_mov_b32 s0, 0xcf27f0e0
	s_mov_b32 s1, 0x403fef61
	;; [unrolled: 1-line block ×3, first 2 shown]
	v_fma_f64 v[22:23], v[50:51], v[22:23], s[30:31]
	v_fma_f64 v[38:39], v[60:61], v[38:39], s[28:29]
	;; [unrolled: 1-line block ×4, first 2 shown]
	v_ldexp_f64 v[70:71], v[6:7], v72
	v_fma_f64 v[42:43], v[62:63], v[42:43], s[30:31]
	v_mul_f64_e32 v[74:75], s[14:15], v[20:21]
	v_fma_f64 v[76:77], v[54:55], s[12:13], v[18:19]
	v_fma_f64 v[68:69], v[44:45], s[8:9], v[68:69]
	;; [unrolled: 1-line block ×4, first 2 shown]
	s_wait_alu 0xfffe
	v_fma_f64 v[22:23], v[4:5], s[42:43], s[0:1]
	s_mov_b32 s0, 0x69f7eb5f
	s_mov_b32 s1, 0x403d0281
	v_fma_f64 v[38:39], v[60:61], v[38:39], s[30:31]
	s_wait_alu 0xfffe
	v_fma_f64 v[6:7], v[2:3], s[4:5], s[0:1]
	v_cmp_ngt_f64_e64 s0, 0xc090cc00, v[10:11]
	s_wait_alu 0xfffd
	v_cndmask_b32_e32 v90, 0x7ff00000, v71, vcc_lo
	v_fma_f64 v[80:81], v[52:53], v[66:67], s[26:27]
	v_fma_f64 v[10:11], v[62:63], v[42:43], s[36:37]
	v_rndne_f64_e32 v[42:43], v[74:75]
	v_fma_f64 v[66:67], v[54:55], s[8:9], v[76:77]
	v_fma_f64 v[75:76], v[56:57], v[78:79], s[20:21]
	;; [unrolled: 1-line block ×3, first 2 shown]
	v_add_co_u32 v77, s1, s10, v8
	s_wait_alu 0xf1ff
	v_add_co_ci_u32_e64 v78, null, s11, v9, s1
	v_cmp_ngt_f64_e64 s4, 0xc090cc00, v[36:37]
	s_mov_b32 s43, 0xbfefae14
	v_fma_f64 v[71:72], v[50:51], v[72:73], s[38:39]
	v_fma_f64 v[73:74], v[68:69], s[18:19], s[16:17]
	v_mul_f64_e32 v[82:83], s[14:15], v[22:23]
	v_fma_f64 v[84:85], v[60:61], v[38:39], s[36:37]
	v_mul_f64_e32 v[8:9], s[14:15], v[6:7]
	s_and_b32 vcc_lo, s0, vcc_lo
	v_cndmask_b32_e64 v91, 0, v90, s0
	s_wait_alu 0xfffe
	v_cndmask_b32_e32 v90, 0, v70, vcc_lo
	v_fma_f64 v[79:80], v[52:53], v[80:81], s[28:29]
	v_fma_f64 v[10:11], v[62:63], v[10:11], s[38:39]
	;; [unrolled: 1-line block ×3, first 2 shown]
	v_cmp_nlt_f64_e32 vcc_lo, 0x40900000, v[24:25]
	v_fma_f64 v[64:65], v[40:41], v[64:65], s[30:31]
	global_store_b64 v[77:78], v[90:91], off
	v_fma_f64 v[70:71], v[50:51], v[71:72], 1.0
	v_fma_f64 v[72:73], v[68:69], v[73:74], s[20:21]
	v_fma_f64 v[74:75], v[56:57], v[75:76], s[22:23]
	v_cvt_i32_f64_e32 v76, v[26:27]
	v_rndne_f64_e32 v[8:9], v[8:9]
	v_fma_f64 v[79:80], v[52:53], v[79:80], s[30:31]
	v_fma_f64 v[10:11], v[62:63], v[10:11], 1.0
	v_fma_f64 v[64:65], v[40:41], v[64:65], s[36:37]
	v_fma_f64 v[70:71], v[50:51], v[70:71], 1.0
	v_fma_f64 v[72:73], v[68:69], v[72:73], s[22:23]
	v_fma_f64 v[74:75], v[56:57], v[74:75], s[24:25]
	;; [unrolled: 1-line block ×3, first 2 shown]
	v_fma_f64 v[62:63], v[62:63], v[10:11], 1.0
	v_fma_f64 v[64:65], v[40:41], v[64:65], s[38:39]
	v_ldexp_f64 v[70:71], v[70:71], v76
	v_add_nc_u32_e32 v0, s33, v0
	v_fma_f64 v[32:33], v[68:69], v[72:73], s[24:25]
	v_fma_f64 v[72:73], v[56:57], v[74:75], s[26:27]
	s_delay_alu instid0(VALU_DEP_3) | instskip(SKIP_2) | instid1(VALU_DEP_3)
	v_lshlrev_b64_e32 v[38:39], 3, v[0:1]
	v_add_nc_u32_e32 v0, s33, v0
	v_fma_f64 v[74:75], v[52:53], v[79:80], s[38:39]
	v_add_co_u32 v88, s1, s10, v38
	s_wait_alu 0xf1ff
	s_delay_alu instid0(VALU_DEP_4)
	v_add_co_ci_u32_e64 v89, null, s11, v39, s1
	v_rndne_f64_e32 v[38:39], v[82:83]
	v_fma_f64 v[81:82], v[60:61], v[84:85], s[38:39]
	v_fma_f64 v[83:84], v[42:43], s[12:13], v[20:21]
	v_lshlrev_b64_e32 v[86:87], 3, v[0:1]
	v_cvt_i32_f64_e32 v85, v[58:59]
	v_fma_f64 v[64:65], v[40:41], v[64:65], 1.0
	v_add_nc_u32_e32 v0, s33, v0
	s_delay_alu instid0(VALU_DEP_4)
	v_add_co_u32 v86, s1, s10, v86
	s_wait_alu 0xf1ff
	v_add_co_ci_u32_e64 v87, null, s11, v87, s1
	s_mov_b32 s0, 0x9d39614b
	s_mov_b32 s1, 0x403e70bf
	s_wait_alu 0xfffe
	v_fma_f64 v[26:27], v[2:3], s[2:3], s[0:1]
	s_mov_b32 s0, 0xb7de283f
	s_mov_b32 s1, 0x403fe410
	s_mov_b32 s2, 0xdbdd0b08
	s_wait_alu 0xfffe
	v_fma_f64 v[10:11], v[2:3], s[6:7], s[0:1]
	s_mov_b32 s3, 0x403f77e3
	v_cmp_ngt_f64_e64 s0, 0xc090cc00, v[24:25]
	v_cmp_nlt_f64_e64 s1, 0x40900000, v[30:31]
	s_mov_b32 s7, 0x40067ae1
	v_fma_f64 v[72:73], v[56:57], v[72:73], s[28:29]
	v_fma_f64 v[74:75], v[52:53], v[74:75], 1.0
	v_fma_f64 v[94:95], v[38:39], s[12:13], v[22:23]
	v_fma_f64 v[81:82], v[60:61], v[81:82], 1.0
	v_fma_f64 v[50:51], v[42:43], s[8:9], v[83:84]
	v_fma_f64 v[83:84], v[66:67], v[92:93], s[20:21]
	;; [unrolled: 1-line block ×3, first 2 shown]
	v_ldexp_f64 v[96:97], v[62:63], v85
	v_fma_f64 v[64:65], v[40:41], v[64:65], 1.0
	s_wait_alu 0xfffd
	v_cndmask_b32_e32 v85, 0x7ff00000, v71, vcc_lo
	v_mul_f64_e32 v[76:77], s[14:15], v[26:27]
	s_and_b32 vcc_lo, s0, vcc_lo
	v_fma_f64 v[71:72], v[56:57], v[72:73], s[30:31]
	v_fma_f64 v[52:53], v[52:53], v[74:75], 1.0
	v_fma_f64 v[58:59], v[38:39], s[8:9], v[94:95]
	v_fma_f64 v[81:82], v[60:61], v[81:82], 1.0
	v_fma_f64 v[94:95], v[50:51], s[18:19], s[16:17]
	v_fma_f64 v[83:84], v[66:67], v[83:84], s[22:23]
	;; [unrolled: 1-line block ×4, first 2 shown]
	s_wait_alu 0xfffe
	v_fma_f64 v[32:33], v[2:3], s[60:61], s[2:3]
	v_cmp_ngt_f64_e64 s2, 0xc090cc00, v[30:31]
	v_cmp_nlt_f64_e64 s3, 0x40900000, v[36:37]
	v_ldexp_f64 v[64:65], v[64:65], v99
	s_mov_b32 s61, 0x407f7377
	v_rndne_f64_e32 v[40:41], v[76:77]
	v_fma_f64 v[71:72], v[56:57], v[71:72], s[36:37]
	v_fma_f64 v[78:79], v[58:59], s[18:19], s[16:17]
	v_ldexp_f64 v[80:81], v[81:82], v98
	v_fma_f64 v[90:91], v[50:51], v[94:95], s[20:21]
	v_mul_f64_e32 v[94:95], s[14:15], v[10:11]
	v_fma_f64 v[83:84], v[66:67], v[83:84], s[24:25]
	v_fma_f64 v[62:63], v[60:61], s[18:19], s[16:17]
	v_mul_f64_e32 v[30:31], s[14:15], v[32:33]
	v_fma_f64 v[73:74], v[40:41], s[12:13], v[26:27]
	v_fma_f64 v[24:25], v[58:59], v[78:79], s[20:21]
	;; [unrolled: 1-line block ×3, first 2 shown]
	v_rndne_f64_e32 v[34:35], v[94:95]
	v_fma_f64 v[78:79], v[66:67], v[83:84], s[26:27]
	v_fma_f64 v[82:83], v[68:69], v[92:93], s[28:29]
	;; [unrolled: 1-line block ×3, first 2 shown]
	s_wait_alu 0xf1ff
	v_cndmask_b32_e64 v95, 0x7ff00000, v81, s3
	v_rndne_f64_e32 v[36:37], v[30:31]
	v_cndmask_b32_e64 v94, 0x7ff00000, v97, s1
	v_cndmask_b32_e64 v84, 0, v85, s0
	v_cmp_ngt_f64_e64 s0, 0xc090cc00, v[12:13]
	s_and_b32 s1, s2, s1
	v_fma_f64 v[24:25], v[58:59], v[24:25], s[22:23]
	v_fma_f64 v[75:76], v[50:51], v[76:77], s[24:25]
	v_fma_f64 v[90:91], v[34:35], s[12:13], v[10:11]
	v_fma_f64 v[77:78], v[66:67], v[78:79], s[28:29]
	v_cvt_i32_f64_e32 v79, v[48:49]
	v_fma_f64 v[81:82], v[68:69], v[82:83], s[30:31]
	v_fma_f64 v[92:93], v[60:61], v[62:63], s[22:23]
	;; [unrolled: 1-line block ×3, first 2 shown]
	v_cndmask_b32_e32 v83, 0, v70, vcc_lo
	v_cmp_nlt_f64_e32 vcc_lo, 0x40900000, v[12:13]
	v_lshlrev_b64_e32 v[12:13], 3, v[0:1]
	v_add_nc_u32_e32 v0, s33, v0
	v_fma_f64 v[70:71], v[56:57], v[71:72], s[38:39]
	global_store_b64 v[88:89], v[83:84], off
	v_fma_f64 v[30:31], v[58:59], v[24:25], s[24:25]
	v_fma_f64 v[24:25], v[2:3], s[54:55], s[52:53]
	;; [unrolled: 1-line block ×5, first 2 shown]
	v_ldexp_f64 v[88:89], v[52:53], v79
	v_cndmask_b32_e64 v53, 0, v94, s2
	s_wait_alu 0xfffe
	v_cndmask_b32_e64 v52, 0, v96, s1
	v_add_co_u32 v12, s1, s10, v12
	s_wait_alu 0xf1ff
	v_add_co_ci_u32_e64 v13, null, s11, v13, s1
	s_and_b32 s1, s4, s3
	v_mul_f64_e32 v[77:78], s[48:49], v[2:3]
	v_fma_f64 v[81:82], v[68:69], v[81:82], s[36:37]
	v_fma_f64 v[83:84], v[60:61], v[92:93], s[24:25]
	global_store_b64 v[86:87], v[52:53], off
	v_fma_f64 v[90:91], v[36:37], s[12:13], v[32:33]
	v_fma_f64 v[52:53], v[48:49], s[18:19], s[16:17]
	v_fma_f64 v[70:71], v[56:57], v[70:71], 1.0
	v_cmp_ngt_f64_e64 s2, 0xc090cc00, v[28:29]
	s_wait_alu 0xfffd
	v_cndmask_b32_e32 v65, 0x7ff00000, v65, vcc_lo
	s_and_b32 vcc_lo, s0, vcc_lo
	s_mov_b32 s49, 0x439bc16d
	v_cvt_i32_f64_e32 v96, v[54:55]
	s_wait_alu 0xfffe
	v_mul_f64_e32 v[54:55], s[48:49], v[2:3]
	s_mov_b32 s48, 0x4ddb5526
	s_mov_b32 s49, 0xc06420f0
	;; [unrolled: 1-line block ×6, first 2 shown]
	s_wait_alu 0xfffe
	s_mov_b32 s66, s54
	v_fma_f64 v[85:86], v[58:59], v[30:31], s[26:27]
	v_cndmask_b32_e64 v30, 0, v80, s1
	v_lshlrev_b64_e32 v[79:80], 3, v[0:1]
	v_cndmask_b32_e64 v31, 0, v95, s4
	v_fma_f64 v[72:73], v[50:51], v[73:74], s[28:29]
	v_fma_f64 v[92:93], v[62:63], s[18:19], s[16:17]
	;; [unrolled: 1-line block ×3, first 2 shown]
	v_add_nc_u32_e32 v0, s33, v0
	global_store_b64 v[12:13], v[30:31], off
	v_add_co_u32 v30, s1, s10, v79
	s_wait_alu 0xf1ff
	v_add_co_ci_u32_e64 v31, null, s11, v80, s1
	v_cmp_nlt_f64_e64 s1, 0x40900000, v[28:29]
	v_mul_f64_e32 v[79:80], s[14:15], v[24:25]
	v_fma_f64 v[81:82], v[68:69], v[81:82], s[38:39]
	global_store_b64 v[30:31], v[77:78], off
	v_mul_f64_e32 v[76:77], v[2:3], v[2:3]
	v_fma_f64 v[83:84], v[60:61], v[83:84], s[26:27]
	s_mov_b32 s4, 0x9a415f46
	s_mov_b32 s5, 0xc0b79699
	v_cndmask_b32_e64 v29, 0, v65, s0
	v_cndmask_b32_e32 v28, 0, v64, vcc_lo
	s_wait_alu 0xfffe
	v_fma_f64 v[30:31], v[2:3], s[4:5], s[44:45]
	v_fma_f64 v[64:65], v[36:37], s[8:9], v[90:91]
	v_lshlrev_b64_e32 v[12:13], 3, v[0:1]
	v_add_nc_u32_e32 v0, s33, v0
	v_fma_f64 v[56:57], v[56:57], v[70:71], 1.0
	s_mov_b32 s4, 0xd0e057c4
	s_mov_b32 s5, 0x403def00
	s_mov_b32 s45, 0xc09c4e51
	v_add_co_u32 v12, s3, s10, v12
	s_wait_alu 0xf1ff
	v_add_co_ci_u32_e64 v13, null, s11, v13, s3
	s_mov_b32 s44, 0xeb851eb8
	v_cvt_i32_f64_e32 v91, v[46:47]
	v_fma_f64 v[85:86], v[58:59], v[85:86], s[28:29]
	global_store_b64 v[12:13], v[28:29], off
	v_lshlrev_b64_e32 v[12:13], 3, v[0:1]
	v_add_nc_u32_e32 v0, s33, v0
	v_fma_f64 v[72:73], v[50:51], v[72:73], s[30:31]
	v_fma_f64 v[74:75], v[66:67], v[74:75], s[38:39]
	s_delay_alu instid0(VALU_DEP_3)
	v_lshlrev_b64_e32 v[94:95], 3, v[0:1]
	v_add_co_u32 v28, vcc_lo, s10, v12
	s_wait_alu 0xfffd
	v_add_co_ci_u32_e64 v29, null, s11, v13, vcc_lo
	v_cndmask_b32_e64 v87, 0x7ff00000, v89, s1
	v_fma_f64 v[89:90], v[48:49], v[52:53], s[20:21]
	v_rndne_f64_e32 v[52:53], v[79:80]
	v_fma_f64 v[78:79], v[62:63], v[92:93], s[20:21]
	v_add_co_u32 v70, vcc_lo, s10, v94
	s_wait_alu 0xfffd
	v_add_co_ci_u32_e64 v71, null, s11, v95, vcc_lo
	s_and_b32 vcc_lo, s2, s1
	s_wait_alu 0xfffe
	v_fma_f64 v[12:13], v[2:3], s[44:45], s[4:5]
	v_fma_f64 v[46:47], v[68:69], v[81:82], 1.0
	v_fma_f64 v[80:81], v[60:61], v[83:84], s[28:29]
	v_cndmask_b32_e64 v83, 0, v87, s2
	v_cndmask_b32_e32 v82, 0, v88, vcc_lo
	v_mul_f64_e32 v[87:88], s[50:51], v[76:77]
	v_cvt_i32_f64_e32 v95, v[44:45]
	s_mov_b32 s0, 0x53bc0487
	s_mov_b32 s2, 0x303c07f
	global_store_b64 v[28:29], v[82:83], off
	v_mul_f64_e32 v[28:29], s[14:15], v[30:31]
	v_fma_f64 v[82:83], v[64:65], s[18:19], s[16:17]
	s_mov_b32 s1, 0x4492a27d
	s_mov_b32 s3, 0x40304f08
	s_wait_alu 0xfffe
	v_mul_f64_e32 v[76:77], s[0:1], v[76:77]
	v_add_nc_u32_e32 v0, s33, v0
	v_fma_f64 v[84:85], v[58:59], v[85:86], s[30:31]
	v_ldexp_f64 v[91:92], v[56:57], v91
	s_mov_b32 s0, 0xd3d0c000
	s_mov_b32 s1, 0x437aa535
	v_fma_f64 v[72:73], v[50:51], v[72:73], s[36:37]
	s_wait_alu 0xfffe
	v_mul_f64_e32 v[93:94], s[0:1], v[2:3]
	v_fma_f64 v[74:75], v[66:67], v[74:75], 1.0
	v_cmp_ngt_f64_e64 s0, 0xc090cc00, v[16:17]
	s_mov_b32 s4, 0xb025cd19
	s_mov_b32 s5, 0x40301494
	;; [unrolled: 1-line block ×5, first 2 shown]
	v_fma_f64 v[89:90], v[48:49], v[89:90], s[22:23]
	v_fma_f64 v[44:45], v[52:53], s[12:13], v[24:25]
	;; [unrolled: 1-line block ×3, first 2 shown]
	v_fma_f64 v[46:47], v[68:69], v[46:47], 1.0
	v_mul_f64_e32 v[68:69], s[14:15], v[12:13]
	v_fma_f64 v[80:81], v[60:61], v[80:81], s[30:31]
	global_store_b64 v[70:71], v[87:88], off
	v_fma_f64 v[70:71], v[4:5], 2.0, s[2:3]
	v_lshlrev_b64_e32 v[86:87], 3, v[0:1]
	v_add_nc_u32_e32 v0, s33, v0
	s_mov_b32 s2, 0xe1719f8
	v_rndne_f64_e32 v[56:57], v[28:29]
	v_fma_f64 v[82:83], v[64:65], v[82:83], s[20:21]
	s_mov_b32 s3, 0xc0a47174
	v_add_co_u32 v28, vcc_lo, s10, v86
	s_wait_alu 0xfffd
	v_add_co_ci_u32_e64 v29, null, s11, v87, vcc_lo
	v_fma_f64 v[84:85], v[58:59], v[84:85], s[36:37]
	v_cmp_nlt_f64_e32 vcc_lo, 0x40900000, v[16:17]
	v_lshlrev_b64_e32 v[86:87], 3, v[0:1]
	v_fma_f64 v[72:73], v[50:51], v[72:73], s[38:39]
	global_store_b64 v[28:29], v[76:77], off
	v_fma_f64 v[74:75], v[66:67], v[74:75], 1.0
	v_add_nc_u32_e32 v0, s33, v0
	s_delay_alu instid0(VALU_DEP_1)
	v_lshlrev_b64_e32 v[76:77], 3, v[0:1]
	v_add_nc_u32_e32 v0, s33, v0
	v_fma_f64 v[88:89], v[48:49], v[89:90], s[24:25]
	v_fma_f64 v[44:45], v[52:53], s[8:9], v[44:45]
	;; [unrolled: 1-line block ×3, first 2 shown]
	v_add_co_u32 v78, s1, s10, v86
	s_wait_alu 0xf1ff
	v_add_co_ci_u32_e64 v79, null, s11, v87, s1
	v_add_co_u32 v76, s1, s10, v76
	s_wait_alu 0xf1ff
	v_add_co_ci_u32_e64 v77, null, s11, v77, s1
	v_rndne_f64_e32 v[66:67], v[68:69]
	v_fma_f64 v[68:69], v[60:61], v[80:81], s[36:37]
	global_store_b64 v[78:79], v[54:55], off
	s_wait_alu 0xfffe
	v_fma_f64 v[28:29], v[2:3], s[2:3], v[70:71]
	v_lshlrev_b64_e32 v[70:71], 3, v[0:1]
	v_ldexp_f64 v[46:47], v[46:47], v95
	v_add_nc_u32_e32 v0, s33, v0
	v_fma_f64 v[54:55], v[56:57], s[12:13], v[30:31]
	v_fma_f64 v[78:79], v[64:65], v[82:83], s[22:23]
	v_cmp_ngt_f64_e64 s2, 0xc090cc00, v[14:15]
	v_add_co_u32 v70, s1, s10, v70
	s_wait_alu 0xf1ff
	v_add_co_ci_u32_e64 v71, null, s11, v71, s1
	v_fma_f64 v[82:83], v[58:59], v[84:85], s[38:39]
	s_wait_alu 0xfffd
	v_cndmask_b32_e32 v90, 0x7ff00000, v92, vcc_lo
	v_cmp_nlt_f64_e64 s1, 0x40900000, v[14:15]
	v_fma_f64 v[72:73], v[50:51], v[72:73], 1.0
	s_and_b32 vcc_lo, s0, vcc_lo
	v_lshlrev_b64_e32 v[84:85], 3, v[0:1]
	v_add_nc_u32_e32 v0, s33, v0
	v_cndmask_b32_e64 v15, 0, v90, s0
	s_wait_alu 0xfffe
	v_cndmask_b32_e32 v14, 0, v91, vcc_lo
	global_store_b64 v[76:77], v[93:94], off
	v_ldexp_f64 v[74:75], v[74:75], v96
	v_lshlrev_b64_e32 v[86:87], 3, v[0:1]
	v_add_nc_u32_e32 v0, s33, v0
	v_fma_f64 v[80:81], v[48:49], v[88:89], s[26:27]
	v_fma_f64 v[88:89], v[44:45], s[18:19], s[16:17]
	;; [unrolled: 1-line block ×3, first 2 shown]
	global_store_b64 v[70:71], v[14:15], off
	v_lshlrev_b64_e32 v[14:15], 3, v[0:1]
	v_add_co_u32 v84, vcc_lo, s10, v84
	s_wait_alu 0xfffd
	v_add_co_ci_u32_e64 v85, null, s11, v85, vcc_lo
	v_cmp_nlt_f64_e32 vcc_lo, 0x40900000, v[18:19]
	v_cmp_ngt_f64_e64 s0, 0xc090cc00, v[18:19]
	v_fma_f64 v[90:91], v[66:67], s[12:13], v[12:13]
	v_fma_f64 v[68:69], v[60:61], v[68:69], s[38:39]
	v_add_co_u32 v18, s3, s10, v86
	v_mul_f64_e32 v[70:71], s[14:15], v[28:29]
	v_cvt_i32_f64_e32 v94, v[42:43]
	s_wait_alu 0xf1ff
	v_add_co_ci_u32_e64 v19, null, s11, v87, s3
	v_fma_f64 v[76:77], v[56:57], s[8:9], v[54:55]
	v_fma_f64 v[54:55], v[64:65], v[78:79], s[24:25]
	v_add_nc_u32_e32 v0, s33, v0
	v_cvt_i32_f64_e32 v95, v[38:39]
	v_cvt_i32_f64_e32 v96, v[36:37]
	v_fma_f64 v[42:43], v[58:59], v[82:83], 1.0
	v_add_co_u32 v82, s3, s10, v14
	v_fma_f64 v[50:51], v[50:51], v[72:73], 1.0
	s_wait_alu 0xf1ff
	v_add_co_ci_u32_e64 v83, null, s11, v15, s3
	v_fma_f64 v[14:15], v[2:3], s[48:49], s[58:59]
	v_cndmask_b32_e64 v47, 0x7ff00000, v47, s1
	s_and_b32 s1, s2, s1
	s_mov_b32 s48, 0x57d1782d
	s_wait_alu 0xfffe
	v_cndmask_b32_e64 v46, 0, v46, s1
	s_mov_b32 s49, 0xc0b2cac0
	v_cndmask_b32_e64 v47, 0, v47, s2
	v_fma_f64 v[78:79], v[48:49], v[80:81], s[28:29]
	v_fma_f64 v[80:81], v[4:5], 2.0, s[4:5]
	v_fma_f64 v[86:87], v[44:45], v[88:89], s[20:21]
	v_fma_f64 v[92:93], v[62:63], v[16:17], s[28:29]
	v_lshlrev_b64_e32 v[88:89], 3, v[0:1]
	v_add_nc_u32_e32 v0, s33, v0
	global_store_b64 v[84:85], v[46:47], off
	v_cmp_ngt_f64_e64 s2, 0xc090cc00, v[22:23]
	s_mov_b32 s4, 0x1124eb7
	s_wait_alu 0xfffd
	v_cndmask_b32_e32 v75, 0x7ff00000, v75, vcc_lo
	v_lshlrev_b64_e32 v[46:47], 3, v[0:1]
	v_fma_f64 v[72:73], v[66:67], s[8:9], v[90:91]
	v_fma_f64 v[84:85], v[60:61], v[68:69], 1.0
	s_and_b32 vcc_lo, s0, vcc_lo
	v_add_nc_u32_e32 v0, s33, v0
	v_rndne_f64_e32 v[68:69], v[70:71]
	v_add_co_u32 v88, s1, s10, v88
	s_wait_alu 0xf1ff
	v_add_co_ci_u32_e64 v89, null, s11, v89, s1
	v_fma_f64 v[70:71], v[76:77], s[18:19], s[16:17]
	v_fma_f64 v[54:55], v[64:65], v[54:55], s[26:27]
	v_cmp_nlt_f64_e64 s1, 0x40900000, v[22:23]
	s_mov_b32 s5, 0x4040ff3d
	v_fma_f64 v[42:43], v[58:59], v[42:43], 1.0
	v_lshlrev_b64_e32 v[58:59], 3, v[0:1]
	v_add_nc_u32_e32 v0, s33, v0
	v_ldexp_f64 v[38:39], v[50:51], v94
	s_wait_alu 0xfffe
	v_cndmask_b32_e32 v50, 0, v74, vcc_lo
	v_cndmask_b32_e64 v51, 0, v75, s0
	v_cmp_ngt_f64_e64 s0, 0xc090cc00, v[20:21]
	v_cvt_i32_f64_e32 v94, v[34:35]
	global_store_b64 v[18:19], v[50:51], off
	v_lshlrev_b64_e32 v[18:19], 3, v[0:1]
	v_add_nc_u32_e32 v0, s33, v0
	v_fma_f64 v[78:79], v[48:49], v[78:79], s[30:31]
	v_fma_f64 v[16:17], v[2:3], s[54:55], v[80:81]
	v_add_co_u32 v80, vcc_lo, s10, v46
	s_wait_alu 0xfffd
	v_add_co_ci_u32_e64 v81, null, s11, v47, vcc_lo
	v_mul_f64_e32 v[46:47], s[14:15], v[14:15]
	v_fma_f64 v[74:75], v[44:45], v[86:87], s[22:23]
	v_fma_f64 v[90:91], v[62:63], v[92:93], s[30:31]
	v_add_co_u32 v86, vcc_lo, s10, v58
	s_wait_alu 0xfffd
	v_add_co_ci_u32_e64 v87, null, s11, v59, vcc_lo
	v_fma_f64 v[84:85], v[60:61], v[84:85], 1.0
	v_add_co_u32 v58, vcc_lo, s10, v18
	v_fma_f64 v[60:61], v[68:69], s[12:13], v[28:29]
	s_wait_alu 0xfffd
	v_add_co_ci_u32_e64 v59, null, s11, v19, vcc_lo
	v_fma_f64 v[18:19], v[72:73], s[18:19], s[16:17]
	v_fma_f64 v[70:71], v[76:77], v[70:71], s[20:21]
	;; [unrolled: 1-line block ×3, first 2 shown]
	v_cmp_nlt_f64_e32 vcc_lo, 0x40900000, v[20:21]
	v_ldexp_f64 v[42:43], v[42:43], v95
	v_fma_f64 v[78:79], v[48:49], v[78:79], s[36:37]
	v_mul_f64_e32 v[20:21], s[14:15], v[16:17]
	v_rndne_f64_e32 v[50:51], v[46:47]
	v_fma_f64 v[92:93], v[44:45], v[74:75], s[24:25]
	v_fma_f64 v[90:91], v[62:63], v[90:91], s[36:37]
	;; [unrolled: 1-line block ×6, first 2 shown]
	s_wait_alu 0xfffd
	v_cndmask_b32_e32 v39, 0x7ff00000, v39, vcc_lo
	s_and_b32 vcc_lo, s0, vcc_lo
	v_cndmask_b32_e64 v43, 0x7ff00000, v43, s1
	s_delay_alu instid0(VALU_DEP_1)
	v_cndmask_b32_e64 v43, 0, v43, s2
	v_fma_f64 v[70:71], v[48:49], v[78:79], s[38:39]
	v_rndne_f64_e32 v[46:47], v[20:21]
	v_fma_f64 v[20:21], v[50:51], s[12:13], v[14:15]
	v_fma_f64 v[22:23], v[44:45], v[92:93], s[26:27]
	;; [unrolled: 1-line block ×3, first 2 shown]
	v_cvt_i32_f64_e32 v92, v[8:9]
	v_cndmask_b32_e64 v9, 0, v39, s0
	s_wait_alu 0xfffe
	v_cndmask_b32_e32 v8, 0, v38, vcc_lo
	s_and_b32 vcc_lo, s2, s1
	s_mov_b32 s0, 0x4ffbc0d6
	s_wait_alu 0xfffe
	v_cndmask_b32_e32 v42, 0, v42, vcc_lo
	s_mov_b32 s1, 0x403193a3
	v_fma_f64 v[38:39], v[74:75], s[18:19], s[16:17]
	global_store_b64 v[82:83], v[8:9], off
	v_fma_f64 v[8:9], v[2:3], s[48:49], s[4:5]
	v_fma_f64 v[18:19], v[72:73], v[18:19], s[22:23]
	;; [unrolled: 1-line block ×4, first 2 shown]
	s_mov_b32 s4, 0xe810f5f2
	s_mov_b32 s48, 0x53f7ced9
	;; [unrolled: 1-line block ×4, first 2 shown]
	global_store_b64 v[88:89], v[42:43], off
	s_wait_alu 0xfffe
	v_fma_f64 v[88:89], v[4:5], s[48:49], s[4:5]
	s_mov_b32 s2, 0xefea0847
	s_mov_b32 s3, 0x40410400
	;; [unrolled: 1-line block ×6, first 2 shown]
	v_fma_f64 v[70:71], v[48:49], v[70:71], 1.0
	v_fma_f64 v[82:83], v[46:47], s[12:13], v[16:17]
	v_fma_f64 v[60:61], v[50:51], s[8:9], v[20:21]
	v_fma_f64 v[20:21], v[44:45], v[22:23], s[28:29]
	v_fma_f64 v[22:23], v[62:63], v[78:79], 1.0
	v_ldexp_f64 v[84:85], v[84:85], v92
	v_cvt_i32_f64_e32 v92, v[40:41]
	v_fma_f64 v[38:39], v[74:75], v[38:39], s[20:21]
	v_fma_f64 v[18:19], v[72:73], v[18:19], s[24:25]
	;; [unrolled: 1-line block ×4, first 2 shown]
	v_lshlrev_b64_e32 v[90:91], 3, v[0:1]
	v_add_nc_u32_e32 v0, s33, v0
	v_fma_f64 v[40:41], v[48:49], v[70:71], 1.0
	v_fma_f64 v[70:71], v[46:47], s[8:9], v[82:83]
	v_mul_f64_e32 v[48:49], s[14:15], v[8:9]
	v_add_co_u32 v82, vcc_lo, s10, v90
	s_wait_alu 0xfffd
	v_add_co_ci_u32_e64 v83, null, s11, v91, vcc_lo
	v_fma_f64 v[20:21], v[44:45], v[20:21], s[30:31]
	v_fma_f64 v[62:63], v[62:63], v[22:23], 1.0
	v_fma_f64 v[22:23], 0x3ff80000, v[4:5], s[0:1]
	v_cmp_nlt_f64_e32 vcc_lo, 0x40900000, v[6:7]
	v_cmp_ngt_f64_e64 s0, 0xc090cc00, v[6:7]
	v_fma_f64 v[42:43], v[60:61], s[18:19], s[16:17]
	v_cmp_nlt_f64_e64 s1, 0x40900000, v[32:33]
	v_fma_f64 v[38:39], v[74:75], v[38:39], s[22:23]
	v_fma_f64 v[90:91], v[72:73], v[18:19], s[26:27]
	v_fma_f64 v[78:79], v[76:77], v[78:79], s[28:29]
	v_fma_f64 v[54:55], v[64:65], v[54:55], 1.0
	s_wait_alu 0xfffe
	v_fma_f64 v[18:19], v[2:3], s[70:71], s[2:3]
	s_mov_b32 s2, 0x432e52fa
	s_mov_b32 s3, 0xc0419cd2
	v_ldexp_f64 v[34:35], v[40:41], v92
	v_fma_f64 v[40:41], v[70:71], s[18:19], s[16:17]
	v_rndne_f64_e32 v[6:7], v[48:49]
	v_fma_f64 v[48:49], v[44:45], v[20:21], s[36:37]
	s_wait_alu 0xfffe
	v_fma_f64 v[20:21], v[2:3], s[2:3], v[88:89]
	s_mov_b32 s2, 0x7e90ff97
	s_mov_b32 s3, 0xc0e38f01
	s_wait_alu 0xfffd
	v_cndmask_b32_e32 v85, 0x7ff00000, v85, vcc_lo
	s_wait_alu 0xfffe
	v_fma_f64 v[22:23], v[2:3], s[2:3], v[22:23]
	s_and_b32 vcc_lo, s0, vcc_lo
	v_fma_f64 v[42:43], v[60:61], v[42:43], s[20:21]
	s_wait_alu 0xfffe
	v_cndmask_b32_e32 v36, 0, v84, vcc_lo
	v_fma_f64 v[38:39], v[74:75], v[38:39], s[24:25]
	v_cndmask_b32_e64 v37, 0, v85, s0
	v_cmp_nlt_f64_e32 vcc_lo, 0x40900000, v[26:27]
	v_fma_f64 v[88:89], v[72:73], v[90:91], s[28:29]
	v_fma_f64 v[78:79], v[76:77], v[78:79], s[30:31]
	v_fma_f64 v[54:55], v[64:65], v[54:55], 1.0
	v_mul_f64_e32 v[64:65], s[14:15], v[18:19]
	global_store_b64 v[80:81], v[36:37], off
	v_cmp_ngt_f64_e64 s0, 0xc090cc00, v[26:27]
	s_mov_b32 s2, 0xa049b703
	s_mov_b32 s3, 0x403c8c1c
	s_wait_alu 0xfffe
	v_fma_f64 v[26:27], v[2:3], s[4:5], s[2:3]
	v_cmp_ngt_f64_e64 s2, 0xc090cc00, v[32:33]
	s_mov_b32 s4, 0xcc02a272
	s_mov_b32 s5, 0x40405221
	v_fma_f64 v[40:41], v[70:71], v[40:41], s[20:21]
	v_fma_f64 v[84:85], v[6:7], s[12:13], v[8:9]
	;; [unrolled: 1-line block ×3, first 2 shown]
	v_mul_f64_e32 v[80:81], s[14:15], v[20:21]
	v_mul_f64_e32 v[90:91], s[14:15], v[22:23]
	v_fma_f64 v[42:43], v[60:61], v[42:43], s[22:23]
	v_fma_f64 v[92:93], v[74:75], v[38:39], s[26:27]
	s_wait_alu 0xfffd
	v_cndmask_b32_e32 v35, 0x7ff00000, v35, vcc_lo
	v_fma_f64 v[88:89], v[72:73], v[88:89], s[30:31]
	v_fma_f64 v[78:79], v[76:77], v[78:79], s[36:37]
	v_rndne_f64_e32 v[36:37], v[64:65]
	v_ldexp_f64 v[64:65], v[62:63], v94
	s_and_b32 vcc_lo, s0, vcc_lo
	v_cndmask_b32_e64 v35, 0, v35, s0
	s_wait_alu 0xfffe
	v_cndmask_b32_e32 v34, 0, v34, vcc_lo
	v_cmp_nlt_f64_e32 vcc_lo, 0x40900000, v[10:11]
	v_cmp_ngt_f64_e64 s0, 0xc090cc00, v[10:11]
	global_store_b64 v[86:87], v[34:35], off
	v_mul_f64_e32 v[34:35], s[14:15], v[26:27]
	v_fma_f64 v[94:95], v[70:71], v[40:41], s[22:23]
	v_fma_f64 v[62:63], v[6:7], s[8:9], v[84:85]
	v_fma_f64 v[48:49], v[44:45], v[48:49], 1.0
	v_rndne_f64_e32 v[38:39], v[80:81]
	v_ldexp_f64 v[80:81], v[54:55], v96
	v_cvt_i32_f64_e32 v96, v[52:53]
	v_rndne_f64_e32 v[40:41], v[90:91]
	v_fma_f64 v[42:43], v[60:61], v[42:43], s[24:25]
	v_fma_f64 v[84:85], v[74:75], v[92:93], s[28:29]
	;; [unrolled: 1-line block ×5, first 2 shown]
	s_wait_alu 0xfffd
	v_cndmask_b32_e32 v65, 0x7ff00000, v65, vcc_lo
	s_and_b32 vcc_lo, s0, vcc_lo
	v_fma_f64 v[10:11], v[70:71], v[94:95], s[24:25]
	v_fma_f64 v[86:87], v[62:63], s[18:19], s[16:17]
	v_fma_f64 v[48:49], v[44:45], v[48:49], 1.0
	v_fma_f64 v[92:93], v[38:39], s[12:13], v[20:21]
	v_cndmask_b32_e64 v81, 0x7ff00000, v81, s1
	v_fma_f64 v[32:33], v[40:41], s[12:13], v[22:23]
	v_cvt_i32_f64_e32 v97, v[40:41]
	v_fma_f64 v[90:91], v[60:61], v[42:43], s[26:27]
	v_rndne_f64_e32 v[42:43], v[34:35]
	v_fma_f64 v[84:85], v[74:75], v[84:85], s[30:31]
	v_fma_f64 v[94:95], v[72:73], v[54:55], s[38:39]
	v_fma_f64 v[78:79], v[76:77], v[78:79], 1.0
	v_fma_f64 v[44:45], v[36:37], s[8:9], v[88:89]
	v_fma_f64 v[34:35], v[70:71], v[10:11], s[26:27]
	v_fma_f64 v[86:87], v[62:63], v[86:87], s[20:21]
	v_cndmask_b32_e64 v11, 0, v65, s0
	s_wait_alu 0xfffe
	v_cndmask_b32_e32 v10, 0, v64, vcc_lo
	v_lshlrev_b64_e32 v[64:65], 3, v[0:1]
	v_add_nc_u32_e32 v0, s33, v0
	v_ldexp_f64 v[48:49], v[48:49], v96
	v_fma_f64 v[52:53], v[38:39], s[8:9], v[92:93]
	global_store_b64 v[58:59], v[10:11], off
	v_cvt_i32_f64_e32 v92, v[56:57]
	v_lshlrev_b64_e32 v[10:11], 3, v[0:1]
	v_fma_f64 v[54:55], v[40:41], s[8:9], v[32:33]
	v_add_co_u32 v32, vcc_lo, s10, v64
	s_wait_alu 0xfffd
	v_add_co_ci_u32_e64 v33, null, s11, v65, vcc_lo
	v_fma_f64 v[64:65], v[74:75], v[84:85], s[36:37]
	v_add_co_u32 v84, vcc_lo, s10, v10
	s_wait_alu 0xfffd
	v_add_co_ci_u32_e64 v85, null, s11, v11, vcc_lo
	v_dual_mov_b32 v10, s52 :: v_dual_mov_b32 v11, s53
	s_and_b32 vcc_lo, s2, s1
	v_fma_f64 v[88:89], v[60:61], v[90:91], s[28:29]
	v_fma_f64 v[58:59], v[72:73], v[94:95], 1.0
	v_fma_f64 v[78:79], v[76:77], v[78:79], 1.0
	v_fma_f64 v[90:91], v[44:45], s[18:19], s[16:17]
	v_cndmask_b32_e64 v57, 0, v81, s2
	s_wait_alu 0xfffe
	v_cndmask_b32_e32 v56, 0, v80, vcc_lo
	global_store_b64 v[82:83], v[10:11], off
	v_fma_f64 v[80:81], v[42:43], s[12:13], v[26:27]
	v_cvt_i32_f64_e32 v94, v[66:67]
	s_mov_b32 s0, 0xb50d9366
	global_store_b64 v[32:33], v[56:57], off
	s_mov_b32 s1, 0x403285b7
	v_add_nc_u32_e32 v0, s33, v0
	s_mov_b32 s2, 0x84a0e411
	v_fma_f64 v[82:83], v[70:71], v[34:35], s[28:29]
	v_fma_f64 v[86:87], v[62:63], v[86:87], s[22:23]
	;; [unrolled: 1-line block ×3, first 2 shown]
	v_lshlrev_b64_e32 v[76:77], 3, v[0:1]
	s_mov_b32 s3, 0xc08a42f9
	s_mov_b32 s4, 0xa9c70e47
	;; [unrolled: 1-line block ×3, first 2 shown]
	v_fma_f64 v[56:57], v[52:53], s[18:19], s[16:17]
	s_mov_b32 s5, 0x403d5f8c
	v_add_co_u32 v76, vcc_lo, s10, v76
	v_fma_f64 v[66:67], v[54:55], s[18:19], s[16:17]
	s_wait_alu 0xfffd
	v_add_co_ci_u32_e64 v77, null, s11, v77, vcc_lo
	v_cmp_nlt_f64_e32 vcc_lo, 0x40900000, v[24:25]
	s_mov_b32 s49, 0x4077bedb
	v_fma_f64 v[64:65], v[74:75], v[64:65], s[38:39]
	v_add_nc_u32_e32 v0, s33, v0
	v_cvt_i32_f64_e32 v95, v[6:7]
	v_cvt_i32_f64_e32 v96, v[38:39]
	v_fma_f64 v[32:33], v[60:61], v[88:89], s[30:31]
	v_fma_f64 v[72:73], v[72:73], v[58:59], 1.0
	s_wait_alu 0xfffe
	v_fma_f64 v[88:89], v[4:5], s[56:57], s[0:1]
	v_fma_f64 v[90:91], v[44:45], v[90:91], s[20:21]
	v_ldexp_f64 v[78:79], v[78:79], v92
	v_cmp_nlt_f64_e64 s1, 0x40900000, v[30:31]
	v_cmp_ngt_f64_e64 s0, 0xc090cc00, v[24:25]
	v_fma_f64 v[58:59], v[42:43], s[8:9], v[80:81]
	s_mov_b32 s57, 0xbfe0a3d7
	v_fma_f64 v[80:81], v[70:71], v[82:83], s[30:31]
	v_fma_f64 v[82:83], v[62:63], v[86:87], s[24:25]
	v_mul_f64_e32 v[86:87], s[14:15], v[34:35]
	v_fma_f64 v[92:93], v[52:53], v[56:57], s[20:21]
	v_fma_f64 v[66:67], v[54:55], v[66:67], s[20:21]
	s_wait_alu 0xfffd
	v_cndmask_b32_e32 v49, 0x7ff00000, v49, vcc_lo
	v_fma_f64 v[64:65], v[74:75], v[64:65], 1.0
	v_fma_f64 v[32:33], v[60:61], v[32:33], s[36:37]
	v_ldexp_f64 v[72:73], v[72:73], v94
	v_fma_f64 v[24:25], v[2:3], s[2:3], v[88:89]
	v_fma_f64 v[88:89], v[44:45], v[90:91], s[22:23]
	v_cmp_ngt_f64_e64 s2, 0xc090cc00, v[30:31]
	s_wait_alu 0xf1ff
	v_cndmask_b32_e64 v94, 0x7ff00000, v79, s1
	s_and_b32 vcc_lo, s0, vcc_lo
	v_fma_f64 v[30:31], v[58:59], s[18:19], s[16:17]
	v_fma_f64 v[79:80], v[70:71], v[80:81], s[36:37]
	;; [unrolled: 1-line block ×3, first 2 shown]
	v_rndne_f64_e32 v[56:57], v[86:87]
	v_cvt_i32_f64_e32 v83, v[68:69]
	v_cndmask_b32_e64 v69, 0, v49, s0
	s_wait_alu 0xfffe
	v_cndmask_b32_e32 v68, 0, v48, vcc_lo
	v_cmp_nlt_f64_e32 vcc_lo, 0x40900000, v[12:13]
	v_fma_f64 v[86:87], v[52:53], v[92:93], s[22:23]
	v_cmp_ngt_f64_e64 s0, 0xc090cc00, v[12:13]
	global_store_b64 v[84:85], v[68:69], off
	v_fma_f64 v[66:67], v[54:55], v[66:67], s[22:23]
	v_fma_f64 v[64:65], v[74:75], v[64:65], 1.0
	v_fma_f64 v[32:33], v[60:61], v[32:33], s[38:39]
	v_mul_f64_e32 v[74:75], s[14:15], v[24:25]
	v_fma_f64 v[88:89], v[44:45], v[88:89], s[24:25]
	s_and_b32 s1, s2, s1
	v_fma_f64 v[30:31], v[58:59], v[30:31], s[20:21]
	v_fma_f64 v[79:80], v[70:71], v[79:80], s[38:39]
	;; [unrolled: 1-line block ×6, first 2 shown]
	v_ldexp_f64 v[83:84], v[64:65], v83
	v_fma_f64 v[92:93], v[60:61], v[32:33], 1.0
	v_fma_f64 v[32:33], v[2:3], s[48:49], s[4:5]
	v_rndne_f64_e32 v[48:49], v[74:75]
	v_fma_f64 v[74:75], v[44:45], v[88:89], s[26:27]
	s_mov_b32 s4, 0x572ebafe
	s_mov_b32 s5, 0x403bb79a
	;; [unrolled: 1-line block ×3, first 2 shown]
	v_fma_f64 v[68:69], v[58:59], v[30:31], s[22:23]
	v_fma_f64 v[30:31], v[2:3], s[62:63], s[50:51]
	s_wait_alu 0xfffe
	v_fma_f64 v[88:89], v[4:5], s[44:45], s[4:5]
	s_mov_b32 s4, 0x3f85510d
	s_mov_b32 s5, 0x40605ac3
	;; [unrolled: 1-line block ×4, first 2 shown]
	v_fma_f64 v[79:80], v[70:71], v[79:80], 1.0
	v_fma_f64 v[81:82], v[62:63], v[81:82], s[30:31]
	v_fma_f64 v[64:65], v[56:57], s[8:9], v[90:91]
	v_cndmask_b32_e64 v90, 0, v78, s1
	v_cmp_nlt_f64_e64 s1, 0x40900000, v[28:29]
	v_cndmask_b32_e64 v91, 0, v94, s2
	v_cmp_ngt_f64_e64 s2, 0xc090cc00, v[28:29]
	v_fma_f64 v[85:86], v[52:53], v[86:87], s[26:27]
	s_mov_b32 s51, 0xc072dee1
	s_mov_b32 s63, 0x42a33562
	global_store_b64 v[76:77], v[90:91], off
	v_fma_f64 v[66:67], v[54:55], v[66:67], s[26:27]
	s_mov_b32 s62, 0x19000000
	s_mov_b32 s45, 0xc0cc4e51
	v_fma_f64 v[60:61], v[60:61], v[92:93], 1.0
	s_wait_alu 0xfffd
	v_cndmask_b32_e32 v92, 0x7ff00000, v73, vcc_lo
	v_fma_f64 v[12:13], v[48:49], s[12:13], v[24:25]
	v_fma_f64 v[73:74], v[44:45], v[74:75], s[28:29]
	v_cvt_i32_f64_e32 v75, v[50:51]
	v_mul_f64_e32 v[50:51], s[14:15], v[32:33]
	s_and_b32 vcc_lo, s0, vcc_lo
	v_fma_f64 v[68:69], v[58:59], v[68:69], s[24:25]
	s_wait_alu 0xfffe
	v_fma_f64 v[28:29], v[2:3], s[4:5], v[88:89]
	s_mov_b32 s4, 0x53678621
	s_mov_b32 s5, 0x403da8bf
	v_fma_f64 v[70:71], v[70:71], v[79:80], 1.0
	v_fma_f64 v[80:81], v[62:63], v[81:82], s[36:37]
	v_mul_f64_e32 v[78:79], s[14:15], v[30:31]
	v_cvt_i32_f64_e32 v82, v[46:47]
	v_fma_f64 v[46:47], v[64:65], s[18:19], s[16:17]
	v_cndmask_b32_e64 v93, 0x7ff00000, v84, s1
	s_and_b32 s1, s2, s1
	v_fma_f64 v[84:85], v[52:53], v[85:86], s[28:29]
	v_fma_f64 v[86:87], v[54:55], v[66:67], s[28:29]
	;; [unrolled: 1-line block ×4, first 2 shown]
	v_ldexp_f64 v[88:89], v[60:61], v75
	v_rndne_f64_e32 v[12:13], v[50:51]
	v_fma_f64 v[60:61], v[58:59], v[68:69], s[26:27]
	v_mul_f64_e32 v[75:76], s[14:15], v[28:29]
	v_fma_f64 v[68:69], v[62:63], v[80:81], s[38:39]
	v_lshlrev_b64_e32 v[80:81], 3, v[0:1]
	v_add_nc_u32_e32 v0, s33, v0
	v_rndne_f64_e32 v[50:51], v[78:79]
	v_fma_f64 v[78:79], v[64:65], v[46:47], s[20:21]
	v_ldexp_f64 v[70:71], v[70:71], v82
	v_fma_f64 v[84:85], v[52:53], v[84:85], s[30:31]
	v_add_co_u32 v46, s3, s10, v80
	s_wait_alu 0xf1ff
	v_add_co_ci_u32_e64 v47, null, s11, v81, s3
	v_fma_f64 v[80:81], v[54:55], v[86:87], s[30:31]
	s_wait_alu 0xfffe
	v_cndmask_b32_e64 v86, 0, v83, s1
	v_lshlrev_b64_e32 v[82:83], 3, v[0:1]
	v_cndmask_b32_e64 v87, 0, v93, s2
	s_mov_b32 s2, 0x6045baf5
	s_mov_b32 s3, 0xc069292c
	v_add_nc_u32_e32 v0, s33, v0
	s_delay_alu instid0(VALU_DEP_3)
	v_add_co_u32 v82, s1, s10, v82
	s_wait_alu 0xf1ff
	v_add_co_ci_u32_e64 v83, null, s11, v83, s1
	v_cmp_nlt_f64_e64 s1, 0x40900000, v[14:15]
	global_store_b64 v[46:47], v[86:87], off
	v_fma_f64 v[86:87], v[66:67], s[18:19], s[16:17]
	s_wait_alu 0xfffe
	v_fma_f64 v[46:47], v[2:3], s[2:3], s[4:5]
	v_fma_f64 v[73:74], v[44:45], v[73:74], s[36:37]
	v_cmp_ngt_f64_e64 s2, 0xc090cc00, v[14:15]
	v_cndmask_b32_e64 v15, 0, v92, s0
	v_fma_f64 v[91:92], v[58:59], v[60:61], s[28:29]
	v_cndmask_b32_e32 v14, 0, v72, vcc_lo
	v_cmp_nlt_f64_e32 vcc_lo, 0x40900000, v[16:17]
	v_rndne_f64_e32 v[60:61], v[75:76]
	v_cmp_ngt_f64_e64 s0, 0xc090cc00, v[16:17]
	s_mov_b32 s4, 0x9a1fd157
	global_store_b64 v[82:83], v[14:15], off
	s_mov_b32 s5, 0xc0879699
	v_fma_f64 v[68:69], v[62:63], v[68:69], 1.0
	v_fma_f64 v[16:17], v[50:51], s[12:13], v[30:31]
	v_fma_f64 v[77:78], v[64:65], v[78:79], s[22:23]
	;; [unrolled: 1-line block ×4, first 2 shown]
	s_wait_alu 0xf1ff
	v_cndmask_b32_e64 v93, 0x7ff00000, v89, s1
	v_fma_f64 v[89:90], v[12:13], s[12:13], v[32:33]
	v_fma_f64 v[84:85], v[66:67], v[86:87], s[20:21]
	v_mul_f64_e32 v[14:15], s[14:15], v[46:47]
	v_fma_f64 v[81:82], v[44:45], v[73:74], s[38:39]
	v_fma_f64 v[86:87], v[58:59], v[91:92], s[30:31]
	s_wait_alu 0xfffd
	v_cndmask_b32_e32 v94, 0x7ff00000, v71, vcc_lo
	v_lshlrev_b64_e32 v[71:72], 3, v[0:1]
	v_add_nc_u32_e32 v0, s33, v0
	s_and_b32 vcc_lo, s0, vcc_lo
	v_fma_f64 v[68:69], v[62:63], v[68:69], 1.0
	s_delay_alu instid0(VALU_DEP_3)
	v_add_co_u32 v6, s3, s10, v71
	s_wait_alu 0xf1ff
	v_add_co_ci_u32_e64 v7, null, s11, v72, s3
	v_fma_f64 v[72:73], v[50:51], s[8:9], v[16:17]
	v_fma_f64 v[74:75], v[52:53], v[75:76], s[38:39]
	;; [unrolled: 1-line block ×4, first 2 shown]
	s_wait_alu 0xfffe
	v_cndmask_b32_e32 v62, 0, v70, vcc_lo
	v_lshlrev_b64_e32 v[70:71], 3, v[0:1]
	v_cndmask_b32_e64 v63, 0, v94, s0
	v_fma_f64 v[79:80], v[54:55], v[79:80], s[38:39]
	v_add_nc_u32_e32 v0, s33, v0
	v_cmp_ngt_f64_e64 s0, 0xc090cc00, v[8:9]
	global_store_b64 v[6:7], v[62:63], off
	v_add_co_u32 v6, vcc_lo, s10, v70
	s_wait_alu 0xfffd
	v_add_co_ci_u32_e64 v7, null, s11, v71, vcc_lo
	s_and_b32 vcc_lo, s2, s1
	v_cndmask_b32_e64 v71, 0, v93, s2
	s_wait_alu 0xfffe
	v_cndmask_b32_e32 v70, 0, v88, vcc_lo
	v_fma_f64 v[89:90], v[12:13], s[8:9], v[89:90]
	v_fma_f64 v[83:84], v[66:67], v[84:85], s[22:23]
	v_rndne_f64_e32 v[62:63], v[14:15]
	v_fma_f64 v[14:15], v[44:45], v[81:82], 1.0
	global_store_b64 v[6:7], v[70:71], off
	v_mul_f64_e32 v[6:7], s[4:5], v[2:3]
	v_fma_f64 v[81:82], v[58:59], v[86:87], s[36:37]
	v_lshlrev_b64_e32 v[91:92], 3, v[0:1]
	v_add_nc_u32_e32 v0, s33, v0
	s_mov_b32 s2, 0x9778572a
	s_mov_b32 s3, 0x4043e28b
	;; [unrolled: 1-line block ×4, first 2 shown]
	v_add_co_u32 v85, vcc_lo, s10, v91
	s_wait_alu 0xfffd
	v_add_co_ci_u32_e64 v86, null, s11, v92, vcc_lo
	v_lshlrev_b64_e32 v[93:94], 3, v[0:1]
	v_ldexp_f64 v[68:69], v[68:69], v95
	v_fma_f64 v[91:92], v[72:73], s[18:19], s[16:17]
	v_fma_f64 v[74:75], v[52:53], v[74:75], 1.0
	v_fma_f64 v[16:17], v[64:65], v[16:17], s[26:27]
	v_fma_f64 v[76:77], v[60:61], s[8:9], v[77:78]
	v_add_co_u32 v87, vcc_lo, s10, v93
	v_cvt_i32_f64_e32 v93, v[36:37]
	v_fma_f64 v[78:79], v[54:55], v[79:80], 1.0
	s_wait_alu 0xfffd
	v_add_co_ci_u32_e64 v88, null, s11, v94, vcc_lo
	v_cmp_nlt_f64_e32 vcc_lo, 0x40900000, v[8:9]
	v_add_nc_u32_e32 v0, s33, v0
	s_delay_alu instid0(VALU_DEP_1)
	v_lshlrev_b64_e32 v[8:9], 3, v[0:1]
	v_add_nc_u32_e32 v0, s33, v0
	v_fma_f64 v[70:71], v[89:90], s[18:19], s[16:17]
	v_fma_f64 v[83:84], v[66:67], v[83:84], s[24:25]
	v_fma_f64 v[36:37], v[62:63], s[12:13], v[46:47]
	v_fma_f64 v[14:15], v[44:45], v[14:15], 1.0
	v_cvt_i32_f64_e32 v99, v[62:63]
	v_fma_f64 v[40:41], v[72:73], v[91:92], s[20:21]
	v_fma_f64 v[52:53], v[52:53], v[74:75], 1.0
	v_fma_f64 v[16:17], v[64:65], v[16:17], s[28:29]
	v_fma_f64 v[74:75], v[76:77], s[18:19], s[16:17]
	s_wait_alu 0xfffe
	v_add_f64_e64 v[91:92], -v[4:5], s[2:3]
	s_mov_b32 s2, 0x780346dc
	s_mov_b32 s3, 0xc0c0b557
	v_fma_f64 v[54:55], v[54:55], v[78:79], 1.0
	v_add_co_u32 v78, s1, s10, v8
	s_wait_alu 0xf1ff
	v_add_co_ci_u32_e64 v79, null, s11, v9, s1
	s_wait_alu 0xfffd
	v_cndmask_b32_e32 v95, 0x7ff00000, v69, vcc_lo
	s_and_b32 vcc_lo, s0, vcc_lo
	v_cmp_nlt_f64_e64 s1, 0x40900000, v[20:21]
	v_fma_f64 v[44:45], v[89:90], v[70:71], s[20:21]
	v_fma_f64 v[70:71], v[58:59], v[81:82], s[38:39]
	v_mul_f64_e32 v[80:81], s[14:15], v[6:7]
	v_fma_f64 v[82:83], v[66:67], v[83:84], s[26:27]
	v_fma_f64 v[8:9], v[62:63], s[8:9], v[36:37]
	v_ldexp_f64 v[93:94], v[14:15], v93
	v_fma_f64 v[14:15], v[4:5], s[48:49], s[4:5]
	v_cmp_ngt_f64_e64 s4, 0xc090cc00, v[22:23]
	s_mov_b32 s48, 0x60708320
	s_mov_b32 s49, 0x403e56cd
	v_fma_f64 v[40:41], v[72:73], v[40:41], s[22:23]
	v_ldexp_f64 v[52:53], v[52:53], v96
	v_fma_f64 v[16:17], v[64:65], v[16:17], s[30:31]
	v_fma_f64 v[74:75], v[76:77], v[74:75], s[20:21]
	s_wait_alu 0xfffe
	v_fma_f64 v[36:37], v[2:3], s[2:3], v[91:92]
	v_cmp_ngt_f64_e64 s2, 0xc090cc00, v[20:21]
	v_cmp_nlt_f64_e64 s3, 0x40900000, v[22:23]
	v_ldexp_f64 v[54:55], v[54:55], v97
	v_cvt_i32_f64_e32 v97, v[60:61]
	v_fma_f64 v[44:45], v[89:90], v[44:45], s[22:23]
	v_fma_f64 v[69:70], v[58:59], v[70:71], 1.0
	v_rndne_f64_e32 v[38:39], v[80:81]
	v_cndmask_b32_e64 v81, 0, v95, s0
	v_cndmask_b32_e32 v80, 0, v68, vcc_lo
	v_lshlrev_b64_e32 v[95:96], 3, v[0:1]
	v_add_nc_u32_e32 v0, s33, v0
	v_fma_f64 v[82:83], v[66:67], v[82:83], s[28:29]
	v_fma_f64 v[91:92], v[8:9], s[18:19], s[16:17]
	global_store_b64 v[85:86], v[80:81], off
	v_cmp_ngt_f64_e64 s0, 0xc090cc00, v[18:19]
	v_lshlrev_b64_e32 v[80:81], 3, v[0:1]
	v_add_co_u32 v84, vcc_lo, s10, v95
	s_wait_alu 0xfffd
	v_add_co_ci_u32_e64 v85, null, s11, v96, vcc_lo
	v_mul_f64_e32 v[20:21], s[14:15], v[14:15]
	s_delay_alu instid0(VALU_DEP_4)
	v_add_co_u32 v80, vcc_lo, s10, v80
	s_wait_alu 0xfffd
	v_add_co_ci_u32_e64 v81, null, s11, v81, vcc_lo
	v_cmp_nlt_f64_e32 vcc_lo, 0x40900000, v[18:19]
	v_fma_f64 v[40:41], v[72:73], v[40:41], s[24:25]
	v_fma_f64 v[16:17], v[64:65], v[16:17], s[36:37]
	v_add_nc_u32_e32 v0, s33, v0
	s_wait_alu 0xf1ff
	v_cndmask_b32_e64 v53, 0x7ff00000, v53, s1
	v_cndmask_b32_e64 v55, 0x7ff00000, v55, s3
	v_cvt_i32_f64_e32 v95, v[50:51]
	s_delay_alu instid0(VALU_DEP_3)
	v_cndmask_b32_e64 v53, 0, v53, s2
	v_fma_f64 v[44:45], v[89:90], v[44:45], s[24:25]
	v_fma_f64 v[58:59], v[58:59], v[69:70], 1.0
	v_fma_f64 v[18:19], v[38:39], s[12:13], v[6:7]
	v_fma_f64 v[68:69], v[76:77], v[74:75], s[22:23]
	v_fma_f64 v[74:75], v[66:67], v[82:83], s[30:31]
	v_fma_f64 v[82:83], v[8:9], v[91:92], s[20:21]
	v_rndne_f64_e32 v[22:23], v[20:21]
	s_wait_alu 0xfffd
	v_cndmask_b32_e32 v86, 0x7ff00000, v94, vcc_lo
	v_cvt_i32_f64_e32 v94, v[42:43]
	v_mul_f64_e32 v[42:43], s[14:15], v[36:37]
	v_fma_f64 v[16:17], v[64:65], v[16:17], s[38:39]
	s_and_b32 vcc_lo, s0, vcc_lo
	v_fma_f64 v[44:45], v[89:90], v[44:45], s[26:27]
	v_fma_f64 v[70:71], v[38:39], s[8:9], v[18:19]
	;; [unrolled: 1-line block ×5, first 2 shown]
	v_lshlrev_b64_e32 v[74:75], 3, v[0:1]
	v_add_nc_u32_e32 v0, s33, v0
	v_fma_f64 v[82:83], v[8:9], v[82:83], s[22:23]
	v_rndne_f64_e32 v[68:69], v[42:43]
	v_ldexp_f64 v[42:43], v[58:59], v94
	v_cndmask_b32_e64 v59, 0, v86, s0
	s_wait_alu 0xfffe
	v_cndmask_b32_e32 v58, 0, v93, vcc_lo
	v_add_co_u32 v74, vcc_lo, s10, v74
	s_wait_alu 0xfffd
	v_add_co_ci_u32_e64 v75, null, s11, v75, vcc_lo
	global_store_b64 v[87:88], v[58:59], off
	v_lshlrev_b64_e32 v[86:87], 3, v[0:1]
	s_and_b32 vcc_lo, s2, s1
	v_fma_f64 v[16:17], v[64:65], v[16:17], 1.0
	s_wait_alu 0xfffe
	v_cndmask_b32_e32 v52, 0, v52, vcc_lo
	v_cmp_ngt_f64_e64 s0, 0xc090cc00, v[26:27]
	v_add_nc_u32_e32 v0, s33, v0
	v_add_co_u32 v91, vcc_lo, s10, v86
	v_fma_f64 v[44:45], v[89:90], v[44:45], s[28:29]
	s_wait_alu 0xfffd
	v_add_co_ci_u32_e64 v92, null, s11, v87, vcc_lo
	v_cmp_nlt_f64_e32 vcc_lo, 0x40900000, v[26:27]
	v_fma_f64 v[58:59], v[70:71], s[18:19], s[16:17]
	v_fma_f64 v[18:19], v[72:73], v[18:19], s[28:29]
	;; [unrolled: 1-line block ×3, first 2 shown]
	global_store_b64 v[78:79], v[52:53], off
	v_fma_f64 v[52:53], v[22:23], s[12:13], v[14:15]
	v_fma_f64 v[20:21], v[66:67], v[20:21], s[38:39]
	;; [unrolled: 1-line block ×3, first 2 shown]
	s_and_b32 s1, s4, s3
	v_cndmask_b32_e64 v27, 0, v55, s4
	s_wait_alu 0xfffe
	v_cndmask_b32_e64 v26, 0, v54, s1
	v_lshlrev_b64_e32 v[54:55], 3, v[0:1]
	v_add_nc_u32_e32 v0, s33, v0
	v_cvt_i32_f64_e32 v93, v[56:57]
	s_mov_b32 s2, 0x6a627469
	global_store_b64 v[84:85], v[26:27], off
	s_mov_b32 s3, 0x402a3ea6
	v_lshlrev_b64_e32 v[26:27], 3, v[0:1]
	v_fma_f64 v[78:79], v[68:69], s[12:13], v[36:37]
	v_add_nc_u32_e32 v0, s33, v0
	v_add_co_u32 v54, s1, s10, v54
	s_wait_alu 0xf1ff
	v_add_co_ci_u32_e64 v55, null, s11, v55, s1
	s_delay_alu instid0(VALU_DEP_3)
	v_lshlrev_b64_e32 v[84:85], 3, v[0:1]
	v_add_nc_u32_e32 v0, s33, v0
	v_add_co_u32 v26, s1, s10, v26
	s_wait_alu 0xf1ff
	v_add_co_ci_u32_e64 v27, null, s11, v27, s1
	v_fma_f64 v[16:17], v[64:65], v[16:17], 1.0
	v_lshlrev_b64_e32 v[56:57], 3, v[0:1]
	v_add_nc_u32_e32 v0, s33, v0
	v_add_co_u32 v64, s1, s10, v84
	s_wait_alu 0xf1ff
	v_add_co_ci_u32_e64 v65, null, s11, v85, s1
	s_delay_alu instid0(VALU_DEP_3)
	v_lshlrev_b64_e32 v[84:85], 3, v[0:1]
	s_wait_alu 0xfffd
	v_cndmask_b32_e32 v88, 0x7ff00000, v43, vcc_lo
	v_fma_f64 v[43:44], v[89:90], v[44:45], s[30:31]
	v_fma_f64 v[58:59], v[70:71], v[58:59], s[20:21]
	;; [unrolled: 1-line block ×5, first 2 shown]
	v_fma_f64 v[20:21], v[66:67], v[20:21], 1.0
	v_add_nc_u32_e32 v0, s33, v0
	s_and_b32 vcc_lo, s0, vcc_lo
	v_cndmask_b32_e64 v53, 0, v88, s0
	s_wait_alu 0xfffe
	v_cndmask_b32_e32 v52, 0, v42, vcc_lo
	v_fma_f64 v[82:83], v[8:9], v[82:83], s[26:27]
	v_add_co_u32 v56, s1, s10, v56
	s_wait_alu 0xf1ff
	v_add_co_ci_u32_e64 v57, null, s11, v57, s1
	global_store_b64 v[80:81], v[52:53], off
	v_add_co_u32 v80, vcc_lo, s10, v84
	v_fma_f64 v[78:79], v[68:69], s[8:9], v[78:79]
	s_wait_alu 0xfffd
	v_add_co_ci_u32_e64 v81, null, s11, v85, vcc_lo
	s_mov_b32 s0, 0x55475a32
	s_mov_b32 s1, 0xc0ac6c83
	v_cvt_i32_f64_e32 v88, v[48:49]
	s_mov_b32 s4, 0xabc94706
	s_mov_b32 s5, 0xc0a1bb03
	v_ldexp_f64 v[84:85], v[16:17], v93
	v_fma_f64 v[42:43], v[89:90], v[43:44], s[36:37]
	v_lshlrev_b64_e32 v[44:45], 3, v[0:1]
	v_fma_f64 v[52:53], v[70:71], v[58:59], s[22:23]
	v_fma_f64 v[40:41], v[76:77], v[40:41], s[30:31]
	;; [unrolled: 1-line block ×4, first 2 shown]
	v_fma_f64 v[20:21], v[66:67], v[20:21], 1.0
	v_add_co_u32 v58, vcc_lo, s10, v44
	s_wait_alu 0xfffd
	v_add_co_ci_u32_e64 v59, null, s11, v45, vcc_lo
	v_fma_f64 v[44:45], v[4:5], 2.0, s[2:3]
	v_fma_f64 v[82:83], v[8:9], v[82:83], s[28:29]
	v_cmp_nlt_f64_e32 vcc_lo, 0x40900000, v[34:35]
	v_add_nc_u32_e32 v0, s33, v0
	s_mov_b32 s2, 0x2c244b39
	s_mov_b32 s3, 0x40303d85
	v_fma_f64 v[66:67], v[78:79], s[18:19], s[16:17]
	v_fma_f64 v[42:43], v[89:90], v[42:43], s[38:39]
	;; [unrolled: 1-line block ×5, first 2 shown]
	v_ldexp_f64 v[20:21], v[20:21], v88
	s_wait_alu 0xfffe
	v_fma_f64 v[16:17], v[2:3], s[0:1], v[44:45]
	v_fma_f64 v[44:45], v[86:87], v[93:94], s[20:21]
	;; [unrolled: 1-line block ×3, first 2 shown]
	v_cmp_ngt_f64_e64 s0, 0xc090cc00, v[34:35]
	s_wait_alu 0xfffd
	v_cndmask_b32_e32 v85, 0x7ff00000, v85, vcc_lo
	v_fma_f64 v[66:67], v[78:79], v[66:67], s[20:21]
	v_fma_f64 v[42:43], v[89:90], v[42:43], 1.0
	v_fma_f64 v[48:49], v[70:71], v[52:53], s[26:27]
	v_fma_f64 v[40:41], v[76:77], v[40:41], s[38:39]
	v_fma_f64 v[18:19], v[72:73], v[18:19], 1.0
	v_mul_f64_e32 v[34:35], s[14:15], v[16:17]
	v_fma_f64 v[44:45], v[86:87], v[44:45], s[22:23]
	v_fma_f64 v[82:83], v[8:9], v[82:83], s[36:37]
	s_and_b32 vcc_lo, s0, vcc_lo
	v_fma_f64 v[52:53], v[78:79], v[66:67], s[22:23]
	v_lshlrev_b64_e32 v[66:67], 3, v[0:1]
	v_add_nc_u32_e32 v0, s33, v0
	s_delay_alu instid0(VALU_DEP_2) | instskip(SKIP_2) | instid1(VALU_DEP_4)
	v_add_co_u32 v88, s1, s10, v66
	v_fma_f64 v[42:43], v[89:90], v[42:43], 1.0
	s_wait_alu 0xf1ff
	v_add_co_ci_u32_e64 v89, null, s11, v67, s1
	v_cvt_i32_f64_e32 v90, v[12:13]
	v_fma_f64 v[12:13], v[70:71], v[48:49], s[28:29]
	v_mov_b32_e32 v48, 0x60480000
	v_mov_b32_e32 v49, 0x42c9ebac
	v_rndne_f64_e32 v[66:67], v[34:35]
	v_fma_f64 v[34:35], v[76:77], v[40:41], 1.0
	v_fma_f64 v[40:41], v[72:73], v[18:19], 1.0
	v_fma_f64 v[18:19], v[4:5], 2.0, s[2:3]
	v_fma_f64 v[44:45], v[86:87], v[44:45], s[24:25]
	v_lshlrev_b64_e32 v[72:73], 3, v[0:1]
	v_fma_f64 v[82:83], v[8:9], v[82:83], s[38:39]
	v_fma_f64 v[50:51], v[78:79], v[52:53], s[24:25]
	s_wait_alu 0xfffe
	v_cndmask_b32_e32 v52, 0, v84, vcc_lo
	v_cndmask_b32_e64 v53, 0, v85, s0
	v_add_nc_u32_e32 v0, s33, v0
	v_add_co_u32 v84, vcc_lo, s10, v72
	s_wait_alu 0xfffd
	v_add_co_ci_u32_e64 v85, null, s11, v73, vcc_lo
	v_cmp_nlt_f64_e32 vcc_lo, 0x40900000, v[24:25]
	v_cmp_ngt_f64_e64 s0, 0xc090cc00, v[24:25]
	global_store_b64 v[74:75], v[52:53], off
	v_lshlrev_b64_e32 v[52:53], 3, v[0:1]
	v_add_nc_u32_e32 v0, s33, v0
	s_mov_b32 s2, 0xc990016a
	s_mov_b32 s3, 0x403b6b98
	global_store_b64 v[91:92], v[48:49], off
	v_add_co_u32 v24, s1, s10, v52
	s_wait_alu 0xf1ff
	v_add_co_ci_u32_e64 v25, null, s11, v53, s1
	v_ldexp_f64 v[72:73], v[42:43], v90
	v_lshlrev_b64_e32 v[42:43], 3, v[0:1]
	v_add_nc_u32_e32 v0, s33, v0
	v_fma_f64 v[93:94], v[70:71], v[12:13], s[30:31]
	s_delay_alu instid0(VALU_DEP_2)
	v_lshlrev_b64_e32 v[12:13], 3, v[0:1]
	v_fma_f64 v[60:61], v[66:67], s[12:13], v[16:17]
	v_fma_f64 v[34:35], v[76:77], v[34:35], 1.0
	v_ldexp_f64 v[40:41], v[40:41], v95
	v_fma_f64 v[18:19], v[2:3], s[70:71], v[18:19]
	v_fma_f64 v[52:53], v[86:87], v[44:45], s[26:27]
	v_add_co_u32 v44, s1, s10, v42
	s_wait_alu 0xf1ff
	v_add_co_ci_u32_e64 v45, null, s11, v43, s1
	s_wait_alu 0xfffe
	v_fma_f64 v[42:43], v[4:5], 0.5, s[2:3]
	v_fma_f64 v[50:51], v[78:79], v[50:51], s[26:27]
	v_add_co_u32 v74, s1, s10, v12
	s_wait_alu 0xf1ff
	v_add_co_ci_u32_e64 v75, null, s11, v13, s1
	v_cmp_nlt_f64_e64 s1, 0x40900000, v[32:33]
	v_cmp_ngt_f64_e64 s2, 0xc090cc00, v[32:33]
	v_fma_f64 v[82:83], v[8:9], v[82:83], 1.0
	s_wait_alu 0xfffd
	v_cndmask_b32_e32 v21, 0x7ff00000, v21, vcc_lo
	s_and_b32 vcc_lo, s0, vcc_lo
	v_mov_b32_e32 v12, s64
	v_dual_mov_b32 v13, s65 :: v_dual_add_nc_u32 v0, s33, v0
	s_delay_alu instid0(VALU_DEP_3)
	v_cndmask_b32_e64 v33, 0, v21, s0
	s_wait_alu 0xfffe
	v_cndmask_b32_e32 v32, 0, v20, vcc_lo
	v_fma_f64 v[20:21], v[2:3], s[50:51], s[48:49]
	v_lshlrev_b64_e32 v[48:49], 3, v[0:1]
	global_store_b64 v[54:55], v[12:13], off
	v_add_nc_u32_e32 v0, s33, v0
	global_store_b64 v[26:27], v[32:33], off
	v_cmp_ngt_f64_e64 s0, 0xc090cc00, v[30:31]
	s_mov_b32 s51, 0x3ff0cccc
	v_add_co_u32 v76, vcc_lo, s10, v48
	v_fma_f64 v[54:55], v[70:71], v[93:94], s[36:37]
	s_wait_alu 0xfffd
	v_add_co_ci_u32_e64 v77, null, s11, v49, vcc_lo
	v_lshlrev_b64_e32 v[90:91], 3, v[0:1]
	v_fma_f64 v[95:96], v[66:67], s[8:9], v[60:61]
	v_ldexp_f64 v[92:93], v[34:35], v97
	v_add_nc_u32_e32 v0, s33, v0
	v_mul_f64_e32 v[26:27], s[14:15], v[18:19]
	v_fma_f64 v[60:61], v[86:87], v[52:53], s[28:29]
	s_mov_b32 s50, 0xcccccccd
	s_mov_b32 s48, 0x49ba5e35
	;; [unrolled: 1-line block ×4, first 2 shown]
	v_fma_f64 v[33:34], v[2:3], s[4:5], v[42:43]
	v_fma_f64 v[48:49], v[78:79], v[50:51], s[28:29]
	v_lshlrev_b64_e32 v[50:51], 3, v[0:1]
	v_add_co_u32 v42, vcc_lo, s10, v90
	s_wait_alu 0xfffd
	v_add_co_ci_u32_e64 v43, null, s11, v91, vcc_lo
	v_cndmask_b32_e64 v73, 0x7ff00000, v73, s1
	s_delay_alu instid0(VALU_DEP_4)
	v_add_co_u32 v52, s3, s10, v50
	s_and_b32 s1, s2, s1
	v_add_co_ci_u32_e64 v53, null, s11, v51, s3
	v_fma_f64 v[50:51], v[8:9], v[82:83], 1.0
	v_cndmask_b32_e64 v9, 0, v73, s2
	s_wait_alu 0xfffe
	v_cndmask_b32_e64 v8, 0, v72, s1
	v_cmp_nlt_f64_e64 s1, 0x40900000, v[28:29]
	v_cmp_ngt_f64_e64 s2, 0xc090cc00, v[28:29]
	v_mul_f64_e32 v[28:29], s[14:15], v[20:21]
	v_cmp_nlt_f64_e32 vcc_lo, 0x40900000, v[30:31]
	global_store_b64 v[64:65], v[8:9], off
	v_mov_b32_e32 v30, 0x47100000
	v_dual_mov_b32 v31, 0x42be0369 :: v_dual_add_nc_u32 v0, s33, v0
	s_mov_b32 s4, 0xb3b09c15
	v_fma_f64 v[90:91], v[70:71], v[54:55], s[38:39]
	s_mov_b32 s5, 0x4037dbd7
	global_store_b64 v[56:57], v[30:31], off
	v_lshlrev_b64_e32 v[82:83], 3, v[0:1]
	v_fma_f64 v[64:65], v[95:96], s[18:19], s[16:17]
	v_add_nc_u32_e32 v0, s33, v0
	s_mov_b32 s71, 0x3ff99999
	v_rndne_f64_e32 v[72:73], v[26:27]
	s_delay_alu instid0(VALU_DEP_2) | instskip(SKIP_3) | instid1(VALU_DEP_3)
	v_lshlrev_b64_e32 v[8:9], 3, v[0:1]
	v_add_nc_u32_e32 v0, s33, v0
	v_mul_f64_e32 v[26:27], s[14:15], v[33:34]
	v_fma_f64 v[30:31], v[78:79], v[48:49], s[30:31]
	v_lshlrev_b64_e32 v[54:55], 3, v[0:1]
	v_add_nc_u32_e32 v0, s33, v0
	s_wait_alu 0xf1ff
	v_cndmask_b32_e64 v35, 0x7ff00000, v93, s1
	v_fma_f64 v[93:94], v[86:87], v[60:61], s[30:31]
	v_add_co_u32 v60, s3, s10, v82
	s_wait_alu 0xf1ff
	v_add_co_ci_u32_e64 v61, null, s11, v83, s3
	v_rndne_f64_e32 v[62:63], v[28:29]
	v_ldexp_f64 v[82:83], v[50:51], v99
	s_wait_alu 0xfffd
	v_cndmask_b32_e32 v32, 0x7ff00000, v41, vcc_lo
	v_add_co_u32 v48, s3, s10, v8
	s_and_b32 vcc_lo, s0, vcc_lo
	v_add_co_ci_u32_e64 v49, null, s11, v9, s3
	v_fma_f64 v[97:98], v[95:96], v[64:65], s[20:21]
	v_mov_b32_e32 v8, s72
	v_fma_f64 v[99:100], v[72:73], s[12:13], v[18:19]
	v_mov_b32_e32 v9, s73
	v_cndmask_b32_e64 v41, 0, v32, s0
	s_wait_alu 0xfffe
	v_cndmask_b32_e32 v40, 0, v40, vcc_lo
	v_cndmask_b32_e64 v29, 0, v35, s2
	v_fma_f64 v[90:91], v[70:71], v[90:91], 1.0
	v_rndne_f64_e32 v[64:65], v[26:27]
	v_fma_f64 v[30:31], v[78:79], v[30:31], s[36:37]
	s_clause 0x1
	global_store_b64 v[80:81], v[8:9], off
	global_store_b64 v[58:59], v[40:41], off
	v_lshlrev_b64_e32 v[40:41], 3, v[0:1]
	v_add_nc_u32_e32 v0, s33, v0
	v_add_co_u32 v58, vcc_lo, s10, v54
	s_wait_alu 0xfffd
	v_add_co_ci_u32_e64 v59, null, s11, v55, vcc_lo
	s_delay_alu instid0(VALU_DEP_4)
	v_add_co_u32 v54, vcc_lo, s10, v40
	s_wait_alu 0xfffd
	v_add_co_ci_u32_e64 v55, null, s11, v41, vcc_lo
	v_lshlrev_b64_e32 v[40:41], 3, v[0:1]
	v_add_nc_u32_e32 v0, s33, v0
	s_and_b32 vcc_lo, s2, s1
	v_mov_b32_e32 v80, 0x3b4c0000
	s_wait_alu 0xfffe
	v_dual_cndmask_b32 v28, 0, v92 :: v_dual_mov_b32 v81, 0x42d0b071
	v_lshlrev_b64_e32 v[26:27], 3, v[0:1]
	v_add_nc_u32_e32 v0, s33, v0
	v_add_co_u32 v56, vcc_lo, s10, v40
	global_store_b64 v[88:89], v[28:29], off
	s_wait_alu 0xfffd
	v_add_co_ci_u32_e64 v57, null, s11, v41, vcc_lo
	v_add_co_u32 v50, vcc_lo, s10, v26
	s_wait_alu 0xfffd
	v_add_co_ci_u32_e64 v51, null, s11, v27, vcc_lo
	v_fma_f64 v[88:89], v[95:96], v[97:98], s[22:23]
	v_lshlrev_b64_e32 v[26:27], 3, v[0:1]
	v_add_nc_u32_e32 v0, s33, v0
	global_store_b64 v[84:85], v[80:81], off
	v_fma_f64 v[97:98], v[62:63], s[12:13], v[20:21]
	v_fma_f64 v[80:81], v[72:73], s[8:9], v[99:100]
	v_fma_f64 v[84:85], v[70:71], v[90:91], 1.0
	v_lshlrev_b64_e32 v[28:29], 3, v[0:1]
	v_add_co_u32 v40, vcc_lo, s10, v26
	s_wait_alu 0xfffd
	v_add_co_ci_u32_e64 v41, null, s11, v27, vcc_lo
	v_cvt_i32_f64_e32 v26, v[68:69]
	s_delay_alu instid0(VALU_DEP_4)
	v_add_co_u32 v27, vcc_lo, s10, v28
	s_wait_alu 0xfffd
	v_add_co_ci_u32_e64 v28, null, s11, v29, vcc_lo
	v_fma_f64 v[29:30], v[78:79], v[30:31], s[38:39]
	v_fma_f64 v[31:32], v[64:65], s[12:13], v[33:34]
	v_cmp_nlt_f64_e32 vcc_lo, 0x40900000, v[46:47]
	v_cmp_ngt_f64_e64 s0, 0xc090cc00, v[46:47]
	v_fma_f64 v[93:94], v[86:87], v[93:94], s[36:37]
	s_mov_b32 s2, 0x39ffd60f
	s_mov_b32 s3, 0x403b03cc
	v_cmp_nlt_f64_e64 s1, 0x40900000, v[36:37]
	s_clause 0x2
	global_store_b64 v[24:25], v[12:13], off
	global_store_b64 v[44:45], v[12:13], off
	;; [unrolled: 1-line block ×3, first 2 shown]
	v_add_nc_u32_e32 v0, s33, v0
	v_cvt_i32_f64_e32 v102, v[64:65]
	v_fma_f64 v[88:89], v[95:96], v[88:89], s[24:25]
	v_fma_f64 v[70:71], v[62:63], s[8:9], v[97:98]
	;; [unrolled: 1-line block ×3, first 2 shown]
	v_fma_f64 v[29:30], v[78:79], v[29:30], 1.0
	v_fma_f64 v[46:47], v[64:65], s[8:9], v[31:32]
	s_wait_alu 0xfffd
	v_cndmask_b32_e32 v35, 0x7ff00000, v83, vcc_lo
	v_cvt_i32_f64_e32 v83, v[22:23]
	v_fma_f64 v[92:93], v[86:87], v[93:94], s[38:39]
	v_cvt_i32_f64_e32 v94, v[38:39]
	s_wait_alu 0xfffe
	v_fma_f64 v[38:39], v[4:5], s[68:69], s[2:3]
	s_mov_b32 s2, 0xf66a551
	s_mov_b32 s3, 0xc0947174
	s_and_b32 vcc_lo, s0, vcc_lo
	s_wait_alu 0xfffe
	v_cndmask_b32_e32 v82, 0, v82, vcc_lo
	v_cmp_nlt_f64_e32 vcc_lo, 0x40900000, v[14:15]
	v_fma_f64 v[31:32], v[95:96], v[88:89], s[26:27]
	v_fma_f64 v[88:89], v[70:71], s[18:19], s[16:17]
	;; [unrolled: 1-line block ×3, first 2 shown]
	v_fma_f64 v[29:30], v[78:79], v[29:30], 1.0
	v_fma_f64 v[78:79], v[46:47], s[18:19], s[16:17]
	v_fma_f64 v[90:91], v[86:87], v[92:93], 1.0
	v_ldexp_f64 v[84:85], v[84:85], v94
	v_fma_f64 v[31:32], v[95:96], v[31:32], s[28:29]
	v_fma_f64 v[88:89], v[70:71], v[88:89], s[20:21]
	;; [unrolled: 1-line block ×3, first 2 shown]
	v_ldexp_f64 v[29:30], v[29:30], v26
	v_fma_f64 v[78:79], v[46:47], v[78:79], s[20:21]
	v_fma_f64 v[86:87], v[86:87], v[90:91], 1.0
	v_fma_f64 v[31:32], v[95:96], v[31:32], s[30:31]
	v_fma_f64 v[88:89], v[70:71], v[88:89], s[22:23]
	v_fma_f64 v[68:69], v[80:81], v[68:69], s[24:25]
	v_cndmask_b32_e64 v26, 0x7ff00000, v30, s1
	v_fma_f64 v[78:79], v[46:47], v[78:79], s[22:23]
	v_ldexp_f64 v[86:87], v[86:87], v83
	v_cndmask_b32_e64 v83, 0, v35, s0
	v_cmp_ngt_f64_e64 s0, 0xc090cc00, v[14:15]
	v_lshlrev_b64_e32 v[14:15], 3, v[0:1]
	v_add_nc_u32_e32 v0, s33, v0
	v_fma_f64 v[90:91], v[95:96], v[31:32], s[36:37]
	v_fma_f64 v[31:32], v[2:3], s[2:3], v[38:39]
	v_cmp_ngt_f64_e64 s2, 0xc090cc00, v[36:37]
	v_fma_f64 v[38:39], v[70:71], v[88:89], s[24:25]
	v_fma_f64 v[68:69], v[80:81], v[68:69], s[26:27]
	;; [unrolled: 1-line block ×4, first 2 shown]
	v_mul_f64_e32 v[36:37], s[14:15], v[31:32]
	s_and_b32 s1, s2, s1
	v_fma_f64 v[38:39], v[70:71], v[38:39], s[26:27]
	v_fma_f64 v[88:89], v[80:81], v[68:69], s[28:29]
	;; [unrolled: 1-line block ×3, first 2 shown]
	v_fma_f64 v[22:23], v[95:96], v[22:23], 1.0
	v_rndne_f64_e32 v[68:69], v[36:37]
	v_fma_f64 v[36:37], v[70:71], v[38:39], s[28:29]
	v_fma_f64 v[38:39], v[80:81], v[88:89], s[30:31]
	;; [unrolled: 1-line block ×3, first 2 shown]
	v_fma_f64 v[88:89], v[95:96], v[22:23], 1.0
	v_fma_f64 v[22:23], v[68:69], s[12:13], v[31:32]
	v_cvt_i32_f64_e32 v95, v[66:67]
	s_wait_alu 0xfffe
	v_cndmask_b32_e64 v66, 0, v29, s1
	v_fma_f64 v[36:37], v[70:71], v[36:37], s[30:31]
	v_fma_f64 v[38:39], v[80:81], v[38:39], s[36:37]
	;; [unrolled: 1-line block ×3, first 2 shown]
	s_mov_b32 s4, 0xc743f6d0
	s_mov_b32 s5, 0x403f4b69
	v_cndmask_b32_e64 v67, 0, v26, s2
	s_wait_alu 0xfffe
	v_fma_f64 v[25:26], v[2:3], s[48:49], s[4:5]
	s_mov_b32 s2, 0x6b8f9b13
	s_mov_b32 s3, 0xc099c023
	;; [unrolled: 1-line block ×6, first 2 shown]
	global_store_b64 v[76:77], v[66:67], off
	v_fma_f64 v[90:91], v[46:47], v[78:79], s[30:31]
	global_store_b64 v[42:43], v[82:83], off
	v_cmp_nlt_f64_e64 s1, 0x40900000, v[6:7]
	s_mov_b32 s51, 0x4004cccc
	v_fma_f64 v[78:79], v[68:69], s[8:9], v[22:23]
	v_ldexp_f64 v[88:89], v[88:89], v95
	v_cvt_i32_f64_e32 v22, v[72:73]
	v_fma_f64 v[36:37], v[70:71], v[36:37], s[36:37]
	v_fma_f64 v[38:39], v[80:81], v[38:39], s[38:39]
	s_wait_alu 0xfffe
	v_fma_f64 v[23:24], v[2:3], s[2:3], v[29:30]
	s_mov_b32 s2, 0x843a8cc4
	s_mov_b32 s3, 0x40401e3b
	s_wait_alu 0xfffe
	v_fma_f64 v[29:30], v[2:3], s[4:5], s[2:3]
	s_mov_b32 s2, 0x4f029c9
	s_mov_b32 s3, 0x4035f4b1
	v_mul_f64_e32 v[66:67], s[14:15], v[25:26]
	s_wait_alu 0xfffe
	v_fma_f64 v[92:93], v[4:5], s[48:49], s[2:3]
	s_mov_b32 s2, 0xde00d1b7
	s_mov_b32 s3, 0x406c1e02
	v_cmp_ngt_f64_e64 s4, 0xc090cc00, v[16:17]
	v_fma_f64 v[90:91], v[46:47], v[90:91], s[36:37]
	s_mov_b32 s49, 0x3ff6e147
	s_wait_alu 0xf1ff
	v_cndmask_b32_e64 v42, 0x7ff00000, v85, s1
	v_fma_f64 v[44:45], v[78:79], s[18:19], s[16:17]
	v_fma_f64 v[74:75], v[70:71], v[36:37], s[38:39]
	v_fma_f64 v[37:38], v[80:81], v[38:39], 1.0
	v_mul_f64_e32 v[76:77], s[14:15], v[23:24]
	v_mul_f64_e32 v[35:36], s[66:67], v[2:3]
	s_wait_alu 0xfffd
	v_cndmask_b32_e32 v39, 0x7ff00000, v87, vcc_lo
	s_and_b32 vcc_lo, s0, vcc_lo
	v_rndne_f64_e32 v[96:97], v[66:67]
	v_fma_f64 v[90:91], v[46:47], v[90:91], s[38:39]
	v_fma_f64 v[94:95], v[78:79], v[44:45], s[20:21]
	s_wait_alu 0xfffe
	v_fma_f64 v[43:44], v[2:3], s[2:3], v[92:93]
	v_cmp_ngt_f64_e64 s2, 0xc090cc00, v[6:7]
	v_add_co_u32 v6, s3, s10, v14
	s_wait_alu 0xf1ff
	v_add_co_ci_u32_e64 v7, null, s11, v15, s3
	v_cmp_nlt_f64_e64 s3, 0x40900000, v[16:17]
	v_fma_f64 v[37:38], v[80:81], v[37:38], 1.0
	v_mul_f64_e32 v[80:81], s[14:15], v[29:30]
	v_rndne_f64_e32 v[66:67], v[76:77]
	v_fma_f64 v[74:75], v[70:71], v[74:75], 1.0
	v_lshlrev_b64_e32 v[76:77], 3, v[0:1]
	v_mul_f64_e32 v[14:15], s[14:15], v[35:36]
	v_add_nc_u32_e32 v0, s33, v0
	v_fma_f64 v[64:65], v[96:97], s[12:13], v[25:26]
	v_fma_f64 v[72:73], v[46:47], v[90:91], 1.0
	v_add_co_u32 v82, s5, s10, v76
	s_wait_alu 0xf1ff
	v_add_co_ci_u32_e64 v83, null, s11, v77, s5
	v_lshlrev_b64_e32 v[16:17], 3, v[0:1]
	v_add_nc_u32_e32 v0, s33, v0
	v_cndmask_b32_e64 v87, 0x7ff00000, v89, s3
	v_fma_f64 v[89:90], v[78:79], v[94:95], s[22:23]
	v_rndne_f64_e32 v[76:77], v[80:81]
	v_ldexp_f64 v[80:81], v[37:38], v22
	v_cndmask_b32_e32 v37, 0, v86, vcc_lo
	v_add_co_u32 v85, vcc_lo, s10, v16
	s_wait_alu 0xfffd
	v_add_co_ci_u32_e64 v86, null, s11, v17, vcc_lo
	v_mul_f64_e32 v[16:17], s[14:15], v[43:44]
	v_fma_f64 v[45:46], v[46:47], v[72:73], 1.0
	v_fma_f64 v[72:73], v[66:67], s[12:13], v[23:24]
	v_fma_f64 v[74:75], v[70:71], v[74:75], 1.0
	v_lshlrev_b64_e32 v[70:71], 3, v[0:1]
	v_cndmask_b32_e64 v38, 0, v39, s0
	s_and_b32 vcc_lo, s2, s1
	v_add_nc_u32_e32 v0, s33, v0
	v_cvt_i32_f64_e32 v95, v[62:63]
	v_rndne_f64_e32 v[62:63], v[14:15]
	global_store_b64 v[52:53], v[37:38], off
	v_cndmask_b32_e64 v38, 0, v42, s2
	s_wait_alu 0xfffe
	v_cndmask_b32_e32 v37, 0, v84, vcc_lo
	v_add_co_u32 v91, vcc_lo, s10, v70
	s_wait_alu 0xfffd
	v_add_co_ci_u32_e64 v92, null, s11, v71, vcc_lo
	s_and_b32 vcc_lo, s4, s3
	v_lshlrev_b64_e32 v[52:53], 3, v[0:1]
	v_mul_f64_e32 v[93:94], s[62:63], v[37:38]
	v_cndmask_b32_e64 v15, 0, v87, s4
	s_wait_alu 0xfffe
	v_cndmask_b32_e32 v14, 0, v88, vcc_lo
	s_mov_b32 s63, 0x42833562
	v_fma_f64 v[70:71], v[96:97], s[8:9], v[64:65]
	s_wait_alu 0xfffe
	v_mul_f64_e32 v[98:99], s[62:63], v[37:38]
	v_fma_f64 v[37:38], v[2:3], s[76:77], s[74:75]
	global_store_b64 v[60:61], v[14:15], off
	v_add_co_u32 v14, vcc_lo, s10, v52
	s_wait_alu 0xfffd
	v_add_co_ci_u32_e64 v15, null, s11, v53, vcc_lo
	v_fma_f64 v[89:90], v[78:79], v[89:90], s[24:25]
	v_fma_f64 v[52:53], v[76:77], s[12:13], v[29:30]
	v_add_nc_u32_e32 v0, s33, v0
	v_cmp_nlt_f64_e32 vcc_lo, 0x40900000, v[18:19]
	v_cmp_ngt_f64_e64 s0, 0xc090cc00, v[18:19]
	v_cmp_ngt_f64_e64 s2, 0xc090cc00, v[33:34]
	v_cmp_nlt_f64_e64 s3, 0x40900000, v[20:21]
	v_rndne_f64_e32 v[64:65], v[16:17]
	v_lshlrev_b64_e32 v[87:88], 3, v[0:1]
	v_fma_f64 v[60:61], v[66:67], s[8:9], v[72:73]
	v_mov_b32_e32 v16, 0xe5400000
	v_dual_mov_b32 v17, 0x42d2309c :: v_dual_add_nc_u32 v0, s33, v0
	v_ldexp_f64 v[102:103], v[45:46], v102
	v_add_co_u32 v87, s1, s10, v87
	global_store_b64 v[48:49], v[16:17], off
	v_lshlrev_b64_e32 v[17:18], 3, v[0:1]
	v_add_nc_u32_e32 v0, s33, v0
	s_wait_alu 0xf1ff
	v_add_co_ci_u32_e64 v88, null, s11, v88, s1
	v_fma_f64 v[45:46], v[62:63], s[12:13], v[35:36]
	v_cmp_ngt_f64_e64 s4, 0xc090cc00, v[20:21]
	v_add_co_u32 v47, s1, s10, v17
	s_wait_alu 0xf1ff
	v_add_co_ci_u32_e64 v48, null, s11, v18, s1
	v_lshlrev_b64_e32 v[17:18], 3, v[0:1]
	global_store_b64 v[58:59], v[93:94], off
	v_add_nc_u32_e32 v0, s33, v0
	v_ldexp_f64 v[100:101], v[74:75], v95
	global_store_b64 v[54:55], v[98:99], off
	v_mul_f64_e32 v[54:55], s[14:15], v[37:38]
	global_store_b64 v[56:57], v[10:11], off
	s_mov_b32 s62, s52
	s_mov_b32 s63, 0x42c2309c
	;; [unrolled: 1-line block ×4, first 2 shown]
	v_fma_f64 v[58:59], v[78:79], v[89:90], s[26:27]
	v_add_co_u32 v89, s1, s10, v17
	s_wait_alu 0xf1ff
	v_add_co_ci_u32_e64 v90, null, s11, v18, s1
	v_cmp_nlt_f64_e64 s1, 0x40900000, v[33:34]
	v_fma_f64 v[72:73], v[76:77], s[8:9], v[52:53]
	v_fma_f64 v[17:18], v[70:71], s[18:19], s[16:17]
	;; [unrolled: 1-line block ×4, first 2 shown]
	s_wait_alu 0xfffd
	v_cndmask_b32_e32 v22, 0x7ff00000, v81, vcc_lo
	s_and_b32 vcc_lo, s0, vcc_lo
	v_lshlrev_b64_e32 v[52:53], 3, v[0:1]
	s_wait_alu 0xfffe
	v_cndmask_b32_e32 v21, 0, v80, vcc_lo
	v_add_nc_u32_e32 v0, s33, v0
	v_cndmask_b32_e64 v22, 0, v22, s0
	v_cvt_i32_f64_e32 v95, v[62:63]
	s_mov_b32 s75, 0x42a2309c
	v_add_co_u32 v93, vcc_lo, s10, v52
	global_store_b64 v[50:51], v[21:22], off
	v_fma_f64 v[74:75], v[62:63], s[8:9], v[45:46]
	global_store_b64 v[40:41], v[10:11], off
	v_lshlrev_b64_e32 v[21:22], 3, v[0:1]
	v_add_nc_u32_e32 v0, s33, v0
	s_wait_alu 0xfffd
	v_add_co_ci_u32_e64 v94, null, s11, v53, vcc_lo
	s_mov_b32 s74, s52
	v_add_co_u32 v21, vcc_lo, s10, v21
	s_wait_alu 0xfffd
	v_add_co_ci_u32_e64 v22, null, s11, v22, vcc_lo
	v_rndne_f64_e32 v[45:46], v[54:55]
	v_lshlrev_b64_e32 v[53:54], 3, v[0:1]
	v_add_nc_u32_e32 v0, s33, v0
	v_cndmask_b32_e64 v81, 0x7ff00000, v101, s3
	v_fma_f64 v[49:50], v[78:79], v[58:59], s[28:29]
	v_cvt_i32_f64_e32 v59, v[68:69]
	v_cndmask_b32_e64 v39, 0x7ff00000, v103, s1
	s_and_b32 vcc_lo, s2, s1
	v_fma_f64 v[51:52], v[70:71], v[17:18], s[20:21]
	v_fma_f64 v[55:56], v[64:65], s[8:9], v[33:34]
	;; [unrolled: 1-line block ×3, first 2 shown]
	v_cndmask_b32_e64 v18, 0, v39, s2
	v_fma_f64 v[39:40], v[72:73], s[18:19], s[16:17]
	s_wait_alu 0xfffe
	v_cndmask_b32_e32 v17, 0, v102, vcc_lo
	v_dual_mov_b32 v19, s62 :: v_dual_mov_b32 v20, s63
	s_mov_b32 s0, 0xd6e3a704
	s_mov_b32 s1, 0x40428a49
	global_store_b64 v[27:28], v[17:18], off
	v_lshlrev_b64_e32 v[17:18], 3, v[0:1]
	v_add_co_u32 v27, vcc_lo, s10, v53
	s_wait_alu 0xfffd
	v_add_co_ci_u32_e64 v28, null, s11, v54, vcc_lo
	v_cndmask_b32_e64 v54, 0, v81, s4
	s_delay_alu instid0(VALU_DEP_4)
	v_add_co_u32 v33, vcc_lo, s10, v17
	s_wait_alu 0xfffd
	v_add_co_ci_u32_e64 v34, null, s11, v18, vcc_lo
	s_and_b32 vcc_lo, s4, s3
	v_mov_b32_e32 v17, s78
	s_wait_alu 0xfffe
	v_dual_cndmask_b32 v53, 0, v100 :: v_dual_mov_b32 v18, s79
	v_fma_f64 v[57:58], v[74:75], s[18:19], s[16:17]
	global_store_b64 v[6:7], v[19:20], off
	v_add_nc_u32_e32 v0, s33, v0
	s_mov_b32 s2, 0xcb6848bf
	s_clause 0x1
	global_store_b64 v[82:83], v[17:18], off
	global_store_b64 v[85:86], v[53:54], off
	v_fma_f64 v[6:7], v[78:79], v[49:50], s[30:31]
	v_fma_f64 v[49:50], v[45:46], s[12:13], v[37:38]
	;; [unrolled: 1-line block ×3, first 2 shown]
	v_dual_mov_b32 v85, s65 :: v_dual_mov_b32 v84, s64
	s_mov_b32 s0, 0x69b5a640
	s_mov_b32 s1, 0xc068176c
	v_fma_f64 v[80:81], v[70:71], v[51:52], s[22:23]
	v_fma_f64 v[82:83], v[55:56], s[18:19], s[16:17]
	;; [unrolled: 1-line block ×3, first 2 shown]
	global_store_b64 v[91:92], v[12:13], off
	v_fma_f64 v[39:40], v[72:73], v[39:40], s[20:21]
	s_clause 0x1
	global_store_b64 v[14:15], v[84:85], off
	global_store_b64 v[87:88], v[84:85], off
	v_lshlrev_b64_e32 v[14:15], 3, v[0:1]
	v_add_nc_u32_e32 v0, s33, v0
	global_store_b64 v[47:48], v[12:13], off
	s_mov_b32 s3, 0xc0b192c1
	s_mov_b32 s4, 0x7f23cc9
	;; [unrolled: 1-line block ×3, first 2 shown]
	v_add_co_u32 v14, vcc_lo, s10, v14
	s_wait_alu 0xfffd
	v_add_co_ci_u32_e64 v15, null, s11, v15, vcc_lo
	s_mov_b32 s62, 0x22eae693
	s_mov_b32 s63, 0x4042cbe0
	;; [unrolled: 1-line block ×5, first 2 shown]
	v_fma_f64 v[57:58], v[74:75], v[57:58], s[20:21]
	v_fma_f64 v[6:7], v[78:79], v[6:7], s[36:37]
	;; [unrolled: 1-line block ×3, first 2 shown]
	v_lshlrev_b64_e32 v[49:50], 3, v[0:1]
	v_add_nc_u32_e32 v0, s33, v0
	v_fma_f64 v[84:85], v[70:71], v[80:81], s[24:25]
	s_delay_alu instid0(VALU_DEP_3)
	v_add_co_u32 v91, vcc_lo, s10, v49
	v_fma_f64 v[41:42], v[60:61], v[41:42], s[24:25]
	v_fma_f64 v[86:87], v[72:73], v[39:40], s[22:23]
	s_wait_alu 0xfffe
	v_fma_f64 v[39:40], v[2:3], s[0:1], v[53:54]
	v_fma_f64 v[53:54], v[55:56], v[82:83], s[20:21]
	s_wait_alu 0xfffd
	v_add_co_ci_u32_e64 v92, null, s11, v50, vcc_lo
	v_mov_b32_e32 v49, 0x91300000
	v_mov_b32_e32 v50, 0x42cfd512
	v_lshlrev_b64_e32 v[47:48], 3, v[0:1]
	v_add_nc_u32_e32 v0, s33, v0
	s_mov_b32 s0, 0xbec1714f
	s_mov_b32 s1, 0x4031d742
	global_store_b64 v[89:90], v[49:50], off
	v_cvt_i32_f64_e32 v82, v[96:97]
	v_lshlrev_b64_e32 v[49:50], 3, v[0:1]
	v_add_co_u32 v80, vcc_lo, s10, v47
	s_wait_alu 0xfffd
	v_add_co_ci_u32_e64 v81, null, s11, v48, vcc_lo
	v_add_nc_u32_e32 v0, s33, v0
	v_fma_f64 v[88:89], v[74:75], v[57:58], s[22:23]
	v_add_co_u32 v57, vcc_lo, s10, v49
	s_wait_alu 0xfffd
	v_add_co_ci_u32_e64 v58, null, s11, v50, vcc_lo
	v_cmp_nlt_f64_e32 vcc_lo, 0x40900000, v[31:32]
	v_fma_f64 v[6:7], v[78:79], v[6:7], s[38:39]
	v_fma_f64 v[47:48], v[51:52], s[18:19], s[16:17]
	;; [unrolled: 1-line block ×5, first 2 shown]
	v_mul_f64_e32 v[68:69], s[14:15], v[39:40]
	v_fma_f64 v[53:54], v[55:56], v[53:54], s[22:23]
	v_fma_f64 v[85:86], v[74:75], v[88:89], s[24:25]
	v_fma_f64 v[6:7], v[78:79], v[6:7], 1.0
	v_fma_f64 v[87:88], v[51:52], v[47:48], s[20:21]
	v_fma_f64 v[49:50], v[70:71], v[49:50], s[28:29]
	;; [unrolled: 1-line block ×4, first 2 shown]
	v_rndne_f64_e32 v[47:48], v[68:69]
	v_fma_f64 v[53:54], v[55:56], v[53:54], s[24:25]
	v_fma_f64 v[68:69], v[74:75], v[85:86], s[26:27]
	v_mov_b32_e32 v85, 0xdc00000
	v_mov_b32_e32 v86, 0x42b97742
	v_fma_f64 v[78:79], v[78:79], v[6:7], 1.0
	v_fma_f64 v[87:88], v[51:52], v[87:88], s[22:23]
	v_mov_b32_e32 v6, 0x79800000
	v_mov_b32_e32 v7, 0x42a5d3ef
	global_store_b64 v[93:94], v[85:86], off
	v_fma_f64 v[49:50], v[70:71], v[49:50], s[30:31]
	s_clause 0x1
	global_store_b64 v[21:22], v[6:7], off
	global_store_b64 v[27:28], v[12:13], off
	v_fma_f64 v[41:42], v[60:61], v[41:42], s[30:31]
	v_fma_f64 v[83:84], v[72:73], v[83:84], s[28:29]
	;; [unrolled: 1-line block ×4, first 2 shown]
	v_mov_b32_e32 v21, 0x9b200000
	v_mov_b32_e32 v22, 0x42a05ef3
	v_cvt_i32_f64_e32 v7, v[76:77]
	global_store_b64 v[33:34], v[21:22], off
	s_wait_alu 0xfffe
	v_fma_f64 v[33:34], v[4:5], s[70:71], s[0:1]
	s_mov_b32 s0, 0x20ecdf9
	s_mov_b32 s1, 0x403f0f3c
	v_cvt_i32_f64_e32 v22, v[66:67]
	v_fma_f64 v[68:69], v[74:75], v[68:69], s[28:29]
	v_ldexp_f64 v[78:79], v[78:79], v59
	v_fma_f64 v[86:87], v[51:52], v[87:88], s[24:25]
	v_fma_f64 v[27:28], v[70:71], v[49:50], s[36:37]
	;; [unrolled: 1-line block ×7, first 2 shown]
	s_wait_alu 0xfffd
	v_cndmask_b32_e32 v66, 0x7ff00000, v79, vcc_lo
	v_fma_f64 v[87:88], v[51:52], v[86:87], s[26:27]
	v_mov_b32_e32 v86, 0x42997742
	v_fma_f64 v[27:28], v[70:71], v[27:28], s[38:39]
	global_store_b64 v[14:15], v[85:86], off
	v_mov_b32_e32 v86, 0x42a97742
	v_fma_f64 v[89:90], v[60:61], v[41:42], s[38:39]
	v_fma_f64 v[83:84], v[72:73], v[83:84], s[36:37]
	;; [unrolled: 1-line block ×5, first 2 shown]
	global_store_b64 v[91:92], v[85:86], off
	s_wait_alu 0xfffe
	v_fma_f64 v[14:15], v[2:3], s[44:45], s[0:1]
	s_mov_b32 s0, 0x72dae8ef
	s_mov_b32 s1, 0x40384e89
	;; [unrolled: 1-line block ×4, first 2 shown]
	v_fma_f64 v[53:54], v[74:75], v[68:69], s[36:37]
	v_fma_f64 v[68:69], v[51:52], v[87:88], s[28:29]
	v_fma_f64 v[87:88], v[70:71], v[27:28], 1.0
	s_wait_alu 0xfffe
	v_fma_f64 v[27:28], v[2:3], s[2:3], s[0:1]
	s_mov_b32 s0, 0xc882bb31
	v_fma_f64 v[89:90], v[60:61], v[89:90], 1.0
	v_fma_f64 v[83:84], v[72:73], v[83:84], s[38:39]
	v_fma_f64 v[85:86], v[49:50], v[93:94], s[20:21]
	v_mul_f64_e32 v[91:92], s[14:15], v[41:42]
	v_fma_f64 v[33:34], v[55:56], v[33:34], s[36:37]
	s_mov_b32 s1, 0x4024367d
	s_mov_b32 s2, 0x1e3a7daa
	s_wait_alu 0xfffe
	v_fma_f64 v[76:77], v[4:5], s[76:77], s[0:1]
	v_cmp_ngt_f64_e64 s0, 0xc090cc00, v[31:32]
	s_mov_b32 s3, 0xc0a45d53
	v_cmp_nlt_f64_e64 s1, 0x40900000, v[23:24]
	s_mov_b32 s77, 0x3ff9c28f
	v_fma_f64 v[93:94], v[74:75], v[53:54], s[38:39]
	v_fma_f64 v[68:69], v[51:52], v[68:69], s[30:31]
	v_fma_f64 v[70:71], v[70:71], v[87:88], 1.0
	v_mul_f64_e32 v[31:32], s[14:15], v[27:28]
	v_fma_f64 v[87:88], v[60:61], v[89:90], 1.0
	v_mul_f64_e32 v[59:60], s[14:15], v[14:15]
	v_fma_f64 v[85:86], v[49:50], v[85:86], s[22:23]
	v_fma_f64 v[83:84], v[72:73], v[83:84], 1.0
	v_rndne_f64_e32 v[53:54], v[91:92]
	v_fma_f64 v[89:90], v[55:56], v[33:34], s[38:39]
	s_wait_alu 0xfffe
	v_fma_f64 v[33:34], v[2:3], s[2:3], v[76:77]
	s_and_b32 vcc_lo, s0, vcc_lo
	v_cndmask_b32_e64 v79, 0, v66, s0
	s_wait_alu 0xfffe
	v_cndmask_b32_e32 v78, 0, v78, vcc_lo
	s_mov_b32 s2, 0x156da575
	s_mov_b32 s3, 0x40203727
	v_cmp_ngt_f64_e64 s0, 0xc090cc00, v[25:26]
	global_store_b64 v[80:81], v[78:79], off
	v_fma_f64 v[91:92], v[74:75], v[93:94], 1.0
	v_fma_f64 v[93:94], v[51:52], v[68:69], s[36:37]
	v_ldexp_f64 v[61:62], v[70:71], v82
	v_rndne_f64_e32 v[67:68], v[31:32]
	v_ldexp_f64 v[87:88], v[87:88], v22
	v_rndne_f64_e32 v[59:60], v[59:60]
	v_fma_f64 v[76:77], v[49:50], v[85:86], s[24:25]
	v_fma_f64 v[72:73], v[72:73], v[83:84], 1.0
	v_fma_f64 v[83:84], v[53:54], s[12:13], v[41:42]
	v_fma_f64 v[85:86], v[55:56], v[89:90], 1.0
	v_lshlrev_b64_e32 v[89:90], 3, v[0:1]
	v_mul_f64_e32 v[78:79], s[14:15], v[33:34]
	v_add_nc_u32_e32 v0, s33, v0
	s_delay_alu instid0(VALU_DEP_3) | instskip(NEXT) | instid1(VALU_DEP_2)
	v_add_co_u32 v89, vcc_lo, s10, v89
	v_lshlrev_b64_e32 v[69:70], 3, v[0:1]
	v_add_nc_u32_e32 v0, s33, v0
	s_wait_alu 0xfffd
	v_add_co_ci_u32_e64 v90, null, s11, v90, vcc_lo
	s_delay_alu instid0(VALU_DEP_3)
	v_add_co_u32 v69, vcc_lo, s10, v69
	v_fma_f64 v[74:75], v[74:75], v[91:92], 1.0
	v_lshlrev_b64_e32 v[91:92], 3, v[0:1]
	s_wait_alu 0xfffd
	v_add_co_ci_u32_e64 v70, null, s11, v70, vcc_lo
	v_add_nc_u32_e32 v0, s33, v0
	v_fma_f64 v[31:32], v[51:52], v[93:94], s[38:39]
	v_cvt_i32_f64_e32 v93, v[64:65]
	v_add_co_u32 v82, vcc_lo, s10, v91
	v_fma_f64 v[80:81], v[59:60], s[12:13], v[14:15]
	v_fma_f64 v[76:77], v[49:50], v[76:77], s[26:27]
	v_ldexp_f64 v[71:72], v[72:73], v7
	v_fma_f64 v[63:64], v[53:54], s[8:9], v[83:84]
	v_fma_f64 v[65:66], v[55:56], v[85:86], 1.0
	s_wait_alu 0xfffe
	v_fma_f64 v[84:85], v[4:5], s[6:7], s[2:3]
	s_mov_b32 s2, 0x52502ef
	s_mov_b32 s3, 0x4071ed56
	s_wait_alu 0xfffd
	v_add_co_ci_u32_e64 v83, null, s11, v92, vcc_lo
	v_cmp_nlt_f64_e32 vcc_lo, 0x40900000, v[25:26]
	s_wait_alu 0xfffe
	v_mul_f64_e32 v[25:26], s[2:3], v[2:3]
	v_cmp_ngt_f64_e64 s2, 0xc090cc00, v[23:24]
	v_fma_f64 v[22:23], v[67:68], s[12:13], v[27:28]
	v_rndne_f64_e32 v[55:56], v[78:79]
	v_cmp_ngt_f64_e64 s6, 0xc090cc00, v[35:36]
	v_cmp_nlt_f64_e64 s3, 0x40900000, v[29:30]
	v_cndmask_b32_e64 v7, 0x7ff00000, v88, s1
	v_ldexp_f64 v[73:74], v[74:75], v95
	v_fma_f64 v[91:92], v[51:52], v[31:32], 1.0
	v_fma_f64 v[77:78], v[49:50], v[76:77], s[28:29]
	v_fma_f64 v[75:76], v[59:60], s[8:9], v[80:81]
	v_ldexp_f64 v[93:94], v[65:66], v93
	v_fma_f64 v[65:66], v[63:64], s[18:19], s[16:17]
	v_fma_f64 v[31:32], v[2:3], s[4:5], v[84:85]
	v_cmp_nlt_f64_e64 s5, 0x40900000, v[35:36]
	v_cmp_ngt_f64_e64 s4, 0xc090cc00, v[29:30]
	s_wait_alu 0xfffd
	v_cndmask_b32_e32 v62, 0x7ff00000, v62, vcc_lo
	v_mul_f64_e32 v[29:30], s[14:15], v[25:26]
	s_and_b32 vcc_lo, s0, vcc_lo
	v_fma_f64 v[79:80], v[67:68], s[8:9], v[22:23]
	v_fma_f64 v[22:23], v[55:56], s[12:13], v[33:34]
	s_wait_alu 0xfffe
	v_cndmask_b32_e32 v35, 0, v61, vcc_lo
	s_and_b32 vcc_lo, s2, s1
	v_cndmask_b32_e64 v36, 0, v62, s0
	s_wait_alu 0xfffe
	v_cndmask_b32_e32 v61, 0, v87, vcc_lo
	v_cndmask_b32_e64 v62, 0, v7, s2
	s_mov_b32 s0, 0x70a3d70a
	s_mov_b32 s1, 0xbfef0a3d
	v_cmp_nlt_f64_e32 vcc_lo, 0x40900000, v[43:44]
	v_cndmask_b32_e64 v81, 0x7ff00000, v72, s3
	global_store_b64 v[57:58], v[61:62], off
	s_wait_alu 0xfffe
	v_fma_f64 v[57:58], v[4:5], s[0:1], s[62:63]
	v_cmp_ngt_f64_e64 s0, 0xc090cc00, v[43:44]
	global_store_b64 v[89:90], v[35:36], off
	v_fma_f64 v[51:52], v[51:52], v[91:92], 1.0
	s_mov_b32 s63, 0x401e6666
	s_mov_b32 s62, 0x66666666
	v_fma_f64 v[84:85], v[49:50], v[77:78], s[30:31]
	v_fma_f64 v[86:87], v[75:76], s[18:19], s[16:17]
	;; [unrolled: 1-line block ×3, first 2 shown]
	v_mul_f64_e32 v[43:44], s[14:15], v[31:32]
	s_and_b32 s1, s6, s5
	v_cndmask_b32_e64 v24, 0x7ff00000, v74, s5
	s_wait_alu 0xfffe
	v_cndmask_b32_e64 v91, 0, v73, s1
	s_mov_b32 s1, 0x3fb99999
	v_rndne_f64_e32 v[61:62], v[29:30]
	v_fma_f64 v[29:30], v[79:80], s[18:19], s[16:17]
	v_fma_f64 v[77:78], v[55:56], s[8:9], v[22:23]
	v_cndmask_b32_e64 v92, 0, v24, s6
	s_mov_b32 s6, 0xcac4b4d0
	s_mov_b32 s7, 0xc0737fe8
	v_cvt_i32_f64_e32 v22, v[45:46]
	s_delay_alu instid0(VALU_DEP_2)
	v_mul_f64_e32 v[45:46], s[78:79], v[91:92]
	s_mov_b32 s79, 0x42ad1a94
	s_wait_alu 0xfffd
	v_cndmask_b32_e32 v7, 0x7ff00000, v94, vcc_lo
	s_wait_alu 0xfffe
	v_fma_f64 v[23:24], v[2:3], s[6:7], v[57:58]
	s_and_b32 vcc_lo, s0, vcc_lo
	s_mov_b32 s6, 0x84988095
	s_mov_b32 s7, 0x403d3d0b
	v_cndmask_b32_e64 v58, 0, v81, s4
	v_fma_f64 v[72:73], v[49:50], v[84:85], s[36:37]
	v_fma_f64 v[84:85], v[75:76], v[86:87], s[20:21]
	;; [unrolled: 1-line block ×3, first 2 shown]
	v_rndne_f64_e32 v[65:66], v[43:44]
	v_cndmask_b32_e64 v44, 0, v7, s0
	s_wait_alu 0xfffe
	v_cndmask_b32_e32 v43, 0, v93, vcc_lo
	s_mov_b32 s0, s70
	s_and_b32 vcc_lo, s4, s3
	v_fma_f64 v[35:36], v[61:62], s[12:13], v[25:26]
	s_wait_alu 0xfffe
	v_cndmask_b32_e32 v57, 0, v71, vcc_lo
	v_fma_f64 v[29:30], v[79:80], v[29:30], s[20:21]
	global_store_b64 v[69:70], v[43:44], off
	v_fma_f64 v[43:44], v[4:5], s[0:1], s[6:7]
	v_fma_f64 v[69:70], v[77:78], s[18:19], s[16:17]
	global_store_b64 v[82:83], v[57:58], off
	v_ldexp_f64 v[88:89], v[51:52], v22
	v_mad_co_u64_u32 v[81:82], null, s33, 51, v[0:1]
	s_mov_b32 s0, 0xc0053e2d
	s_mov_b32 s1, 0xc0b4d618
	v_mov_b32_e32 v82, v1
	v_cvt_i32_f64_e32 v22, v[47:48]
	v_mul_f64_e32 v[51:52], s[14:15], v[23:24]
	s_mov_b32 s2, 0x8d576bf8
	s_mov_b32 s3, 0xc03c7aca
	;; [unrolled: 1-line block ×6, first 2 shown]
	v_fma_f64 v[73:74], v[49:50], v[72:73], s[38:39]
	v_fma_f64 v[84:85], v[75:76], v[84:85], s[22:23]
	v_lshlrev_b64_e32 v[71:72], 3, v[0:1]
	v_add_nc_u32_e32 v0, s82, v81
	v_fma_f64 v[86:87], v[63:64], v[86:87], s[24:25]
	v_fma_f64 v[57:58], v[65:66], s[12:13], v[31:32]
	v_lshlrev_b64_e32 v[81:82], 3, v[81:82]
	v_add_co_u32 v71, vcc_lo, s10, v71
	s_wait_alu 0xfffd
	v_add_co_ci_u32_e64 v72, null, s11, v72, vcc_lo
	s_delay_alu instid0(VALU_DEP_3)
	v_add_co_u32 v81, vcc_lo, s10, v81
	s_wait_alu 0xfffd
	v_add_co_ci_u32_e64 v82, null, s11, v82, vcc_lo
	global_store_b64 v[71:72], v[45:46], off
	v_fma_f64 v[71:72], v[61:62], s[8:9], v[35:36]
	v_fma_f64 v[35:36], v[79:80], v[29:30], s[22:23]
	s_wait_alu 0xfffe
	v_fma_f64 v[29:30], v[2:3], s[0:1], v[43:44]
	v_fma_f64 v[43:44], v[77:78], v[69:70], s[20:21]
	v_lshlrev_b64_e32 v[45:46], 3, v[0:1]
	v_cmp_ngt_f64_e64 s0, 0xc090cc00, v[37:38]
	v_rndne_f64_e32 v[51:52], v[51:52]
	s_delay_alu instid0(VALU_DEP_3) | instskip(SKIP_1) | instid1(VALU_DEP_4)
	v_add_co_u32 v93, vcc_lo, s10, v45
	s_wait_alu 0xfffd
	v_add_co_ci_u32_e64 v94, null, s11, v46, vcc_lo
	v_cmp_nlt_f64_e32 vcc_lo, 0x40900000, v[37:38]
	v_mul_f64_e32 v[37:38], s[72:73], v[91:92]
	s_mov_b32 s73, 0x42d6bcc4
	v_fma_f64 v[69:70], v[49:50], v[73:74], 1.0
	v_fma_f64 v[83:84], v[75:76], v[84:85], s[24:25]
	v_fma_f64 v[85:86], v[63:64], v[86:87], s[26:27]
	;; [unrolled: 1-line block ×6, first 2 shown]
	s_wait_alu 0xfffd
	v_cndmask_b32_e32 v7, 0x7ff00000, v89, vcc_lo
	global_store_b64 v[81:82], v[37:38], off
	v_fma_f64 v[37:38], v[51:52], s[12:13], v[23:24]
	s_and_b32 vcc_lo, s0, vcc_lo
	v_cndmask_b32_e64 v89, 0, v7, s0
	s_wait_alu 0xfffe
	v_cndmask_b32_e32 v88, 0, v88, vcc_lo
	v_fma_f64 v[47:48], v[49:50], v[69:70], 1.0
	v_mul_f64_e32 v[49:50], s[14:15], v[29:30]
	v_fma_f64 v[57:58], v[75:76], v[83:84], s[26:27]
	v_mul_f64_e32 v[83:84], s[74:75], v[91:92]
	v_fma_f64 v[69:70], v[63:64], v[85:86], s[28:29]
	v_fma_f64 v[81:82], v[73:74], s[18:19], s[16:17]
	v_cmp_nlt_f64_e32 vcc_lo, 0x40900000, v[39:40]
	v_cmp_ngt_f64_e64 s0, 0xc090cc00, v[39:40]
	v_fma_f64 v[85:86], v[71:72], v[45:46], s[20:21]
	v_fma_f64 v[35:36], v[79:80], v[35:36], s[26:27]
	;; [unrolled: 1-line block ×3, first 2 shown]
	v_ldexp_f64 v[47:48], v[47:48], v22
	v_rndne_f64_e32 v[45:46], v[49:50]
	v_fma_f64 v[49:50], v[75:76], v[57:58], s[28:29]
	global_store_b64 v[93:94], v[83:84], off
	v_fma_f64 v[69:70], v[63:64], v[69:70], s[30:31]
	v_mad_co_u64_u32 v[83:84], null, 0xffffffcc, s33, v[0:1]
	v_mov_b32_e32 v84, v1
	v_fma_f64 v[57:58], v[51:52], s[8:9], v[37:38]
	v_fma_f64 v[37:38], v[73:74], v[81:82], s[20:21]
	v_cvt_i32_f64_e32 v22, v[59:60]
	s_delay_alu instid0(VALU_DEP_4)
	v_lshlrev_b64_e32 v[81:82], 3, v[83:84]
	v_add_nc_u32_e32 v0, s33, v83
	v_fma_f64 v[83:84], v[4:5], s[62:63], s[2:3]
	s_mov_b32 s2, 0x5b2d4d40
	v_fma_f64 v[85:86], v[71:72], v[85:86], s[22:23]
	v_fma_f64 v[92:93], v[79:80], v[35:36], s[28:29]
	v_add_co_u32 v81, s1, s10, v81
	s_wait_alu 0xf1ff
	v_add_co_ci_u32_e64 v82, null, s11, v82, s1
	v_fma_f64 v[43:44], v[77:78], v[43:44], s[26:27]
	v_lshlrev_b64_e32 v[90:91], 3, v[0:1]
	s_mov_b32 s3, 0x409bc16b
	global_store_b64 v[81:82], v[88:89], off
	v_add_nc_u32_e32 v0, s33, v0
	s_mov_b32 s63, 0x3ffe6666
	v_add_co_u32 v39, s1, s10, v90
	s_wait_alu 0xf1ff
	v_add_co_ci_u32_e64 v40, null, s11, v91, s1
	s_wait_alu 0xfffd
	v_cndmask_b32_e32 v7, 0x7ff00000, v48, vcc_lo
	v_fma_f64 v[81:82], v[45:46], s[12:13], v[29:30]
	v_fma_f64 v[49:50], v[75:76], v[49:50], s[30:31]
	s_and_b32 vcc_lo, s0, vcc_lo
	v_fma_f64 v[87:88], v[63:64], v[69:70], s[36:37]
	v_fma_f64 v[89:90], v[57:58], s[18:19], s[16:17]
	;; [unrolled: 1-line block ×3, first 2 shown]
	s_wait_alu 0xfffe
	v_fma_f64 v[35:36], v[2:3], s[2:3], v[83:84]
	s_mov_b32 s2, 0xbaef54b7
	v_fma_f64 v[83:84], v[71:72], v[85:86], s[24:25]
	s_mov_b32 s3, 0x40344ec8
	v_fma_f64 v[43:44], v[77:78], v[43:44], s[28:29]
	v_fma_f64 v[69:70], v[45:46], s[8:9], v[81:82]
	;; [unrolled: 1-line block ×5, first 2 shown]
	v_cndmask_b32_e64 v88, 0, v7, s0
	v_cndmask_b32_e32 v87, 0, v47, vcc_lo
	s_wait_alu 0xfffe
	v_fma_f64 v[91:92], v[4:5], s[4:5], s[2:3]
	v_fma_f64 v[89:90], v[57:58], v[89:90], s[20:21]
	;; [unrolled: 1-line block ×3, first 2 shown]
	v_cvt_i32_f64_e32 v7, v[53:54]
	global_store_b64 v[39:40], v[87:88], off
	v_cmp_ngt_f64_e64 s0, 0xc090cc00, v[41:42]
	s_mov_b32 s2, 0xbcba3012
	s_mov_b32 s3, 0x4034be39
	v_mul_f64_e32 v[39:40], s[14:15], v[35:36]
	v_fma_f64 v[83:84], v[71:72], v[83:84], s[26:27]
	v_fma_f64 v[87:88], v[77:78], v[43:44], s[30:31]
	;; [unrolled: 1-line block ×5, first 2 shown]
	v_fma_f64 v[85:86], v[63:64], v[85:86], 1.0
	v_fma_f64 v[43:44], v[2:3], s[80:81], v[91:92]
	v_fma_f64 v[89:90], v[57:58], v[89:90], s[22:23]
	;; [unrolled: 1-line block ×3, first 2 shown]
	v_cvt_i32_f64_e32 v92, v[55:56]
	s_mov_b32 s80, 0xd0a67621
	s_mov_b32 s81, 0xc0b0e7a9
	v_rndne_f64_e32 v[49:50], v[39:40]
	v_fma_f64 v[39:40], v[71:72], v[83:84], s[28:29]
	v_fma_f64 v[83:84], v[77:78], v[87:88], s[36:37]
	;; [unrolled: 1-line block ×4, first 2 shown]
	v_fma_f64 v[47:48], v[75:76], v[47:48], 1.0
	v_fma_f64 v[63:64], v[63:64], v[85:86], 1.0
	v_mul_f64_e32 v[85:86], s[14:15], v[43:44]
	v_fma_f64 v[89:90], v[57:58], v[89:90], s[24:25]
	v_fma_f64 v[37:38], v[73:74], v[37:38], s[28:29]
	;; [unrolled: 1-line block ×6, first 2 shown]
	v_fma_f64 v[81:82], v[79:80], v[81:82], 1.0
	v_fma_f64 v[75:76], v[75:76], v[47:48], 1.0
	v_ldexp_f64 v[87:88], v[63:64], v7
	v_cvt_i32_f64_e32 v7, v[67:68]
	v_lshlrev_b64_e32 v[67:68], 3, v[0:1]
	v_rndne_f64_e32 v[47:48], v[85:86]
	v_fma_f64 v[85:86], v[57:58], v[89:90], s[26:27]
	v_fma_f64 v[37:38], v[73:74], v[37:38], s[30:31]
	v_mov_b32_e32 v63, 0xe37e0000
	v_mov_b32_e32 v64, 0x42d32ae7
	v_add_co_u32 v67, vcc_lo, s10, v67
	s_wait_alu 0xfffd
	v_add_co_ci_u32_e64 v68, null, s11, v68, vcc_lo
	v_fma_f64 v[53:54], v[49:50], s[8:9], v[53:54]
	v_cmp_nlt_f64_e32 vcc_lo, 0x40900000, v[41:42]
	v_fma_f64 v[39:40], v[71:72], v[39:40], s[36:37]
	global_store_b64 v[67:68], v[63:64], off
	s_wait_alu 0xfffe
	v_fma_f64 v[67:68], 0x3ff80000, v[4:5], s[2:3]
	v_add_nc_u32_e32 v0, s33, v0
	v_cmp_ngt_f64_e64 s2, 0xc090cc00, v[14:15]
	v_fma_f64 v[59:60], v[77:78], v[59:60], 1.0
	s_delay_alu instid0(VALU_DEP_3) | instskip(SKIP_1) | instid1(VALU_DEP_2)
	v_lshlrev_b64_e32 v[41:42], 3, v[0:1]
	v_add_nc_u32_e32 v0, s33, v0
	v_add_co_u32 v41, s1, s10, v41
	s_wait_alu 0xf1ff
	s_delay_alu instid0(VALU_DEP_3)
	v_add_co_ci_u32_e64 v42, null, s11, v42, s1
	v_cmp_nlt_f64_e64 s1, 0x40900000, v[14:15]
	v_fma_f64 v[14:15], v[4:5], 2.0, s[84:85]
	s_mov_b32 s84, 0xbaf88ef2
	v_fma_f64 v[83:84], v[69:70], v[83:84], s[24:25]
	v_fma_f64 v[79:80], v[79:80], v[81:82], 1.0
	v_ldexp_f64 v[75:76], v[75:76], v22
	s_mov_b32 s85, 0x40326bb1
	v_lshlrev_b64_e32 v[90:91], 3, v[0:1]
	v_add_nc_u32_e32 v0, s33, v0
	v_fma_f64 v[81:82], v[47:48], s[12:13], v[43:44]
	v_fma_f64 v[85:86], v[57:58], v[85:86], s[28:29]
	;; [unrolled: 1-line block ×3, first 2 shown]
	s_wait_alu 0xfffd
	v_cndmask_b32_e32 v22, 0x7ff00000, v88, vcc_lo
	v_fma_f64 v[88:89], v[53:54], s[18:19], s[16:17]
	v_fma_f64 v[39:40], v[71:72], v[39:40], s[38:39]
	s_and_b32 vcc_lo, s0, vcc_lo
	s_delay_alu instid0(VALU_DEP_3)
	v_cndmask_b32_e64 v56, 0, v22, s0
	s_wait_alu 0xfffe
	v_cndmask_b32_e32 v55, 0, v87, vcc_lo
	v_fma_f64 v[59:60], v[77:78], v[59:60], 1.0
	v_mov_b32_e32 v77, 0x2a740000
	v_mov_b32_e32 v78, 0x42b6bf18
	v_cmp_ngt_f64_e64 s0, 0xc090cc00, v[27:28]
	global_store_b64 v[41:42], v[55:56], off
	v_fma_f64 v[41:42], v[4:5], s[70:71], s[84:85]
	s_mov_b32 s70, 0x122fad6d
	s_mov_b32 s71, 0xc0b0419a
	v_fma_f64 v[83:84], v[69:70], v[83:84], s[26:27]
	v_ldexp_f64 v[79:80], v[79:80], v7
	v_cndmask_b32_e64 v7, 0x7ff00000, v76, s1
	s_and_b32 s1, s2, s1
	v_fma_f64 v[63:64], v[47:48], s[8:9], v[81:82]
	v_fma_f64 v[81:82], v[57:58], v[85:86], s[30:31]
	v_fma_f64 v[85:86], v[73:74], v[37:38], s[38:39]
	v_fma_f64 v[37:38], v[2:3], s[80:81], v[67:68]
	v_add_co_u32 v67, vcc_lo, s10, v90
	s_wait_alu 0xfffd
	v_add_co_ci_u32_e64 v68, null, s11, v91, vcc_lo
	v_cmp_nlt_f64_e32 vcc_lo, 0x40900000, v[27:28]
	s_wait_alu 0xfffe
	v_fma_f64 v[27:28], v[2:3], s[70:71], v[14:15]
	v_cndmask_b32_e64 v15, 0, v7, s2
	v_fma_f64 v[55:56], v[53:54], v[88:89], s[20:21]
	global_store_b64 v[67:68], v[77:78], off
	v_lshlrev_b64_e32 v[87:88], 3, v[0:1]
	v_fma_f64 v[89:90], v[71:72], v[39:40], 1.0
	v_cndmask_b32_e64 v14, 0, v75, s1
	v_add_nc_u32_e32 v0, s33, v0
	v_ldexp_f64 v[59:60], v[59:60], v92
	v_cvt_i32_f64_e32 v7, v[61:62]
	v_add_co_u32 v39, s3, s10, v87
	s_wait_alu 0xf1ff
	v_add_co_ci_u32_e64 v40, null, s11, v88, s3
	s_mov_b32 s2, 0xdd2f1aa0
	s_mov_b32 s3, 0xc0988824
	v_lshlrev_b64_e32 v[67:68], 3, v[0:1]
	global_store_b64 v[39:40], v[14:15], off
	s_wait_alu 0xfffe
	v_fma_f64 v[39:40], v[2:3], s[2:3], v[41:42]
	v_add_nc_u32_e32 v0, s33, v0
	v_mov_b32_e32 v14, 0xa2000000
	v_mov_b32_e32 v15, 0x426d1a94
	v_add_co_u32 v67, s1, s10, v67
	v_fma_f64 v[76:77], v[69:70], v[83:84], s[28:29]
	v_lshlrev_b64_e32 v[87:88], 3, v[0:1]
	v_add_nc_u32_e32 v0, s33, v0
	s_wait_alu 0xf1ff
	v_add_co_ci_u32_e64 v68, null, s11, v68, s1
	v_fma_f64 v[83:84], v[63:64], s[18:19], s[16:17]
	v_mov_b32_e32 v75, 0x7ae00000
	v_fma_f64 v[85:86], v[73:74], v[85:86], 1.0
	v_mul_f64_e32 v[91:92], s[14:15], v[37:38]
	v_add_co_u32 v87, s1, s10, v87
	s_wait_alu 0xf1ff
	v_add_co_ci_u32_e64 v88, null, s11, v88, s1
	s_wait_alu 0xfffd
	v_cndmask_b32_e32 v22, 0x7ff00000, v80, vcc_lo
	v_fma_f64 v[80:81], v[57:58], v[81:82], s[36:37]
	s_and_b32 vcc_lo, s0, vcc_lo
	v_fma_f64 v[41:42], v[53:54], v[55:56], s[22:23]
	v_lshlrev_b64_e32 v[55:56], 3, v[0:1]
	v_mul_f64_e32 v[61:62], s[14:15], v[27:28]
	v_fma_f64 v[71:72], v[71:72], v[89:90], 1.0
	s_wait_alu 0xfffe
	v_cndmask_b32_e32 v89, 0, v79, vcc_lo
	v_cmp_nlt_f64_e32 vcc_lo, 0x40900000, v[33:34]
	v_cndmask_b32_e64 v90, 0, v22, s0
	v_cmp_ngt_f64_e64 s0, 0xc090cc00, v[33:34]
	v_add_co_u32 v33, s1, s10, v55
	v_cvt_i32_f64_e32 v22, v[65:66]
	s_wait_alu 0xf1ff
	v_add_co_ci_u32_e64 v34, null, s11, v56, s1
	global_store_b64 v[67:68], v[89:90], off
	v_add_nc_u32_e32 v0, s33, v0
	s_mov_b32 s2, 0xc1369695
	v_mul_f64_e32 v[67:68], s[14:15], v[39:40]
	s_mov_b32 s70, 0xd9ec7000
	s_mov_b32 s3, 0x403c19dc
	;; [unrolled: 1-line block ×3, first 2 shown]
	global_store_b64 v[87:88], v[14:15], off
	v_cvt_i32_f64_e32 v15, v[51:52]
	v_fma_f64 v[77:78], v[69:70], v[76:77], s[30:31]
	v_mov_b32_e32 v76, 0x42a85fdc
	v_fma_f64 v[65:66], v[63:64], v[83:84], s[20:21]
	global_store_b64 v[33:34], v[75:76], off
	v_fma_f64 v[73:74], v[73:74], v[85:86], 1.0
	v_rndne_f64_e32 v[55:56], v[91:92]
	s_wait_alu 0xfffe
	v_fma_f64 v[33:34], v[2:3], s[70:71], s[2:3]
	v_mov_b32_e32 v83, 0x8d000000
	v_cmp_ngt_f64_e64 s2, 0xc090cc00, v[31:32]
	s_mov_b32 s70, 0xa7d4c5c0
	s_mov_b32 s71, 0x40412866
	v_fma_f64 v[79:80], v[57:58], v[80:81], s[38:39]
	v_lshlrev_b64_e32 v[81:82], 3, v[0:1]
	v_fma_f64 v[41:42], v[53:54], v[41:42], s[24:25]
	v_add_nc_u32_e32 v0, s33, v0
	v_rndne_f64_e32 v[61:62], v[61:62]
	v_ldexp_f64 v[71:72], v[71:72], v7
	s_wait_alu 0xfffd
	v_cndmask_b32_e32 v60, 0x7ff00000, v60, vcc_lo
	v_add_co_u32 v81, s1, s10, v81
	s_and_b32 vcc_lo, s0, vcc_lo
	v_add_co_ci_u32_e64 v82, null, s11, v82, s1
	v_cndmask_b32_e64 v60, 0, v60, s0
	s_wait_alu 0xfffe
	v_cndmask_b32_e32 v59, 0, v59, vcc_lo
	v_lshlrev_b64_e32 v[84:85], 3, v[0:1]
	v_add_nc_u32_e32 v0, s33, v0
	v_cmp_ngt_f64_e64 s0, 0xc090cc00, v[25:26]
	global_store_b64 v[81:82], v[59:60], off
	v_rndne_f64_e32 v[59:60], v[67:68]
	v_lshlrev_b64_e32 v[75:76], 3, v[0:1]
	v_add_nc_u32_e32 v0, s33, v0
	v_add_co_u32 v86, s1, s10, v84
	v_fma_f64 v[77:78], v[69:70], v[77:78], s[36:37]
	s_wait_alu 0xf1ff
	v_add_co_ci_u32_e64 v87, null, s11, v85, s1
	v_lshlrev_b64_e32 v[84:85], 3, v[0:1]
	v_fma_f64 v[65:66], v[63:64], v[65:66], s[22:23]
	v_add_nc_u32_e32 v0, s33, v0
	v_add_co_u32 v75, vcc_lo, s10, v75
	v_fma_f64 v[81:82], v[55:56], s[12:13], v[37:38]
	s_wait_alu 0xfffd
	v_add_co_ci_u32_e64 v76, null, s11, v76, vcc_lo
	v_lshlrev_b64_e32 v[88:89], 3, v[0:1]
	v_add_co_u32 v67, vcc_lo, s10, v84
	v_fma_f64 v[79:80], v[57:58], v[79:80], 1.0
	v_fma_f64 v[41:42], v[53:54], v[41:42], s[26:27]
	s_wait_alu 0xfffd
	v_add_co_ci_u32_e64 v68, null, s11, v85, vcc_lo
	v_add_co_u32 v88, vcc_lo, s10, v88
	s_wait_alu 0xfffd
	v_add_co_ci_u32_e64 v89, null, s11, v89, vcc_lo
	v_cmp_nlt_f64_e32 vcc_lo, 0x40900000, v[25:26]
	v_mov_b32_e32 v84, 0x429ed99d
	v_ldexp_f64 v[73:74], v[73:74], v22
	v_cmp_nlt_f64_e64 s1, 0x40900000, v[31:32]
	global_store_b64 v[86:87], v[12:13], off
	v_fma_f64 v[51:52], v[61:62], s[12:13], v[27:28]
	global_store_b64 v[75:76], v[83:84], off
	v_mul_f64_e32 v[75:76], s[14:15], v[33:34]
	v_add_nc_u32_e32 v0, s33, v0
	v_mov_b32_e32 v22, 0x42b05ef3
	s_delay_alu instid0(VALU_DEP_2)
	v_lshlrev_b64_e32 v[90:91], 3, v[0:1]
	v_add_nc_u32_e32 v0, s33, v0
	global_store_b64 v[67:68], v[21:22], off
	v_fma_f64 v[77:78], v[69:70], v[77:78], s[38:39]
	v_mad_co_u64_u32 v[25:26], null, s33, 15, v[0:1]
	v_fma_f64 v[83:84], v[63:64], v[65:66], s[24:25]
	v_mov_b32_e32 v26, v1
	v_lshlrev_b64_e32 v[85:86], 3, v[0:1]
	v_fma_f64 v[65:66], v[55:56], s[8:9], v[81:82]
	v_fma_f64 v[81:82], v[59:60], s[12:13], v[39:40]
	s_delay_alu instid0(VALU_DEP_4)
	v_mad_co_u64_u32 v[21:22], null, s33, -14, v[25:26]
	v_mov_b32_e32 v22, v1
	v_fma_f64 v[57:58], v[57:58], v[79:80], 1.0
	v_fma_f64 v[41:42], v[53:54], v[41:42], s[28:29]
	v_add_co_u32 v79, s3, s10, v90
	s_wait_alu 0xf1ff
	v_add_co_ci_u32_e64 v80, null, s11, v91, s3
	v_add_co_u32 v67, s3, s10, v85
	s_wait_alu 0xf1ff
	v_add_co_ci_u32_e64 v68, null, s11, v86, s3
	v_add_nc_u32_e32 v0, s33, v21
	v_lshlrev_b64_e32 v[21:22], 3, v[21:22]
	s_wait_alu 0xfffd
	v_cndmask_b32_e32 v7, 0x7ff00000, v72, vcc_lo
	s_and_b32 vcc_lo, s0, vcc_lo
	v_cndmask_b32_e64 v74, 0x7ff00000, v74, s1
	s_wait_alu 0xfffe
	v_cndmask_b32_e32 v71, 0, v71, vcc_lo
	v_rndne_f64_e32 v[31:32], v[75:76]
	v_cndmask_b32_e64 v72, 0, v7, s0
	v_add_co_u32 v21, vcc_lo, s10, v21
	s_wait_alu 0xfffd
	v_add_co_ci_u32_e64 v22, null, s11, v22, vcc_lo
	s_and_b32 vcc_lo, s2, s1
	v_fma_f64 v[75:76], v[61:62], s[8:9], v[51:52]
	v_fma_f64 v[85:86], v[69:70], v[77:78], 1.0
	v_cndmask_b32_e64 v52, 0, v74, s2
	s_wait_alu 0xfffe
	v_cndmask_b32_e32 v51, 0, v73, vcc_lo
	v_mul_f64_e32 v[92:93], s[6:7], v[71:72]
	v_lshlrev_b64_e32 v[90:91], 3, v[0:1]
	v_fma_f64 v[83:84], v[63:64], v[83:84], s[26:27]
	v_add_nc_u32_e32 v0, s33, v0
	global_store_b64 v[88:89], v[51:52], off
	v_fma_f64 v[51:52], v[65:66], s[18:19], s[16:17]
	v_fma_f64 v[77:78], v[59:60], s[8:9], v[81:82]
	;; [unrolled: 1-line block ×3, first 2 shown]
	v_lshlrev_b64_e32 v[73:74], 3, v[0:1]
	v_add_nc_u32_e32 v0, s33, v0
	v_cvt_i32_f64_e32 v7, v[45:46]
	v_add_co_u32 v81, vcc_lo, s10, v90
	v_fma_f64 v[41:42], v[53:54], v[41:42], s[30:31]
	s_wait_alu 0xfffd
	v_add_co_ci_u32_e64 v82, null, s11, v91, vcc_lo
	v_lshlrev_b64_e32 v[25:26], 3, v[25:26]
	s_mov_b32 s0, 0xe545699
	s_mov_b32 s1, 0x4033c577
	global_store_b64 v[79:80], v[19:20], off
	v_add_f64_e32 v[89:90], v[4:5], v[4:5]
	v_ldexp_f64 v[57:58], v[57:58], v15
	v_add_co_u32 v25, s3, s10, v25
	s_wait_alu 0xf1ff
	v_add_co_ci_u32_e64 v26, null, s11, v26, s3
	s_mov_b32 s2, 0xbcd35a86
	v_fma_f64 v[19:20], v[31:32], s[12:13], v[33:34]
	s_mov_b32 s3, 0xc0d8f08f
	v_mul_f64_e32 v[71:72], s[78:79], v[71:72]
	s_mov_b32 s71, 0x408f7377
	s_mov_b32 s70, 0x7af64064
	;; [unrolled: 1-line block ×5, first 2 shown]
	v_fma_f64 v[45:46], v[69:70], v[85:86], 1.0
	v_lshlrev_b64_e32 v[69:70], 3, v[0:1]
	v_add_co_u32 v85, vcc_lo, s10, v73
	s_wait_alu 0xfffd
	v_add_co_ci_u32_e64 v86, null, s11, v74, vcc_lo
	global_store_b64 v[67:68], v[92:93], off
	v_add_co_u32 v79, vcc_lo, s10, v69
	s_wait_alu 0xfffd
	v_add_co_ci_u32_e64 v80, null, s11, v70, vcc_lo
	s_wait_alu 0xfffe
	v_fma_f64 v[69:70], v[4:5], s[4:5], s[0:1]
	v_fma_f64 v[67:68], v[75:76], s[18:19], s[16:17]
	;; [unrolled: 1-line block ×3, first 2 shown]
	v_cmp_nlt_f64_e32 vcc_lo, 0x40900000, v[23:24]
	v_cmp_ngt_f64_e64 s0, 0xc090cc00, v[23:24]
	v_fma_f64 v[23:24], v[77:78], s[18:19], s[16:17]
	v_fma_f64 v[91:92], v[53:54], v[41:42], s[36:37]
	;; [unrolled: 1-line block ×4, first 2 shown]
	s_mov_b32 s2, 0x902de01
	s_mov_b32 s3, 0xc0d234d2
	v_cmp_nlt_f64_e64 s1, 0x40900000, v[29:30]
	s_mov_b32 s4, 0x10492360
	s_mov_b32 s5, 0xc020dcae
	v_add_nc_u32_e32 v0, s33, v0
	s_mov_b32 s7, 0x42c5d3ef
	v_fma_f64 v[73:74], v[31:32], s[8:9], v[19:20]
	global_store_b64 v[25:26], v[71:72], off
	v_ldexp_f64 v[95:96], v[45:46], v7
	s_wait_alu 0xfffe
	v_fma_f64 v[45:46], v[2:3], s[2:3], v[69:70]
	s_mov_b32 s2, 0xb2b777d1
	v_fma_f64 v[67:68], v[75:76], v[67:68], s[20:21]
	s_mov_b32 s3, 0xc08de0e4
	v_fma_f64 v[19:20], v[63:64], v[83:84], s[30:31]
	s_wait_alu 0xfffe
	v_fma_f64 v[51:52], v[2:3], s[2:3], v[89:90]
	v_fma_f64 v[23:24], v[77:78], v[23:24], s[20:21]
	;; [unrolled: 1-line block ×4, first 2 shown]
	v_cmp_ngt_f64_e64 s2, 0xc090cc00, v[29:30]
	v_mul_f64_e32 v[29:30], s[14:15], v[41:42]
	s_wait_alu 0xfffd
	v_cndmask_b32_e32 v15, 0x7ff00000, v58, vcc_lo
	s_and_b32 vcc_lo, s0, vcc_lo
	s_wait_alu 0xfffe
	v_cndmask_b32_e32 v57, 0, v57, vcc_lo
	s_delay_alu instid0(VALU_DEP_2)
	v_cndmask_b32_e64 v58, 0, v15, s0
	v_mov_b32_e32 v15, 0x42ad1a94
	v_fma_f64 v[25:26], v[73:74], s[18:19], s[16:17]
	global_store_b64 v[21:22], v[57:58], off
	v_fma_f64 v[57:58], 0x40120000, v[4:5], s[4:5]
	v_cmp_ngt_f64_e64 s4, 0xc090cc00, v[39:40]
	v_cndmask_b32_e64 v7, 0x7ff00000, v96, s1
	v_mul_f64_e32 v[71:72], s[14:15], v[45:46]
	v_fma_f64 v[87:88], v[75:76], v[67:68], s[22:23]
	v_fma_f64 v[19:20], v[63:64], v[19:20], s[36:37]
	v_mul_f64_e32 v[89:90], s[14:15], v[51:52]
	v_fma_f64 v[91:92], v[77:78], v[23:24], s[22:23]
	v_fma_f64 v[93:94], v[53:54], v[69:70], 1.0
	v_fma_f64 v[83:84], v[65:66], v[83:84], s[24:25]
	v_lshlrev_b64_e32 v[69:70], 3, v[0:1]
	v_rndne_f64_e32 v[22:23], v[29:30]
	v_add_nc_u32_e32 v0, s33, v0
	s_and_b32 vcc_lo, s2, s1
	v_cndmask_b32_e64 v30, 0, v7, s2
	s_wait_alu 0xfffe
	v_cndmask_b32_e32 v29, 0, v95, vcc_lo
	v_cvt_i32_f64_e32 v7, v[49:50]
	s_mov_b32 s0, 0xe9b53ae0
	s_mov_b32 s1, 0xc01e8abe
	;; [unrolled: 1-line block ×3, first 2 shown]
	v_fma_f64 v[24:25], v[73:74], v[25:26], s[20:21]
	global_store_b64 v[81:82], v[29:30], off
	v_add_co_u32 v81, vcc_lo, s10, v69
	s_wait_alu 0xfffd
	v_add_co_ci_u32_e64 v82, null, s11, v70, vcc_lo
	v_fma_f64 v[29:30], v[2:3], s[60:61], v[57:58]
	s_clause 0x2
	global_store_b64 v[85:86], v[8:9], off
	global_store_b64 v[79:80], v[10:11], off
	;; [unrolled: 1-line block ×3, first 2 shown]
	s_mov_b32 s3, 0x40301e3b
	s_mov_b32 s60, 0x9ae924f2
	;; [unrolled: 1-line block ×3, first 2 shown]
	v_rndne_f64_e32 v[67:68], v[71:72]
	v_lshlrev_b64_e32 v[71:72], 3, v[0:1]
	v_fma_f64 v[87:88], v[75:76], v[87:88], s[24:25]
	v_add_nc_u32_e32 v0, s33, v0
	v_fma_f64 v[19:20], v[63:64], v[19:20], s[38:39]
	v_rndne_f64_e32 v[69:70], v[89:90]
	v_fma_f64 v[57:58], v[77:78], v[91:92], s[24:25]
	v_add_co_u32 v89, vcc_lo, s10, v71
	v_fma_f64 v[49:50], v[53:54], v[93:94], 1.0
	v_fma_f64 v[53:54], v[65:66], v[83:84], s[26:27]
	s_wait_alu 0xfffd
	v_add_co_ci_u32_e64 v90, null, s11, v72, vcc_lo
	v_fma_f64 v[71:72], v[22:23], s[12:13], v[41:42]
	v_lshlrev_b64_e32 v[95:96], 3, v[0:1]
	v_add_nc_u32_e32 v0, s33, v0
	global_store_b64 v[89:90], v[14:15], off
	v_fma_f64 v[24:25], v[73:74], v[24:25], s[22:23]
	v_lshlrev_b64_e32 v[83:84], 3, v[0:1]
	v_add_nc_u32_e32 v0, s33, v0
	v_add_co_u32 v91, vcc_lo, s10, v95
	s_wait_alu 0xfffd
	v_add_co_ci_u32_e64 v92, null, s11, v96, vcc_lo
	s_delay_alu instid0(VALU_DEP_3)
	v_lshlrev_b64_e32 v[17:18], 3, v[0:1]
	v_add_co_u32 v85, vcc_lo, s10, v83
	s_wait_alu 0xfffd
	v_add_co_ci_u32_e64 v86, null, s11, v84, vcc_lo
	v_add_nc_u32_e32 v0, s33, v0
	v_fma_f64 v[79:80], v[67:68], s[12:13], v[45:46]
	v_fma_f64 v[81:82], v[75:76], v[87:88], s[26:27]
	v_add_co_u32 v87, vcc_lo, s10, v17
	v_fma_f64 v[19:20], v[63:64], v[19:20], 1.0
	s_wait_alu 0xfffd
	v_add_co_ci_u32_e64 v88, null, s11, v18, vcc_lo
	v_fma_f64 v[17:18], v[77:78], v[57:58], s[26:27]
	v_mul_f64_e32 v[57:58], s[14:15], v[29:30]
	v_fma_f64 v[93:94], v[69:70], s[12:13], v[51:52]
	v_fma_f64 v[53:54], v[65:66], v[53:54], s[28:29]
	v_ldexp_f64 v[49:50], v[49:50], v7
	v_fma_f64 v[83:84], v[22:23], s[8:9], v[71:72]
	v_cvt_i32_f64_e32 v7, v[47:48]
	v_cmp_nlt_f64_e32 vcc_lo, 0x40900000, v[35:36]
	v_fma_f64 v[24:25], v[73:74], v[24:25], s[24:25]
	v_fma_f64 v[71:72], v[67:68], s[8:9], v[79:80]
	;; [unrolled: 1-line block ×3, first 2 shown]
	v_fma_f64 v[47:48], v[63:64], v[19:20], 1.0
	s_wait_alu 0xfffe
	v_fma_f64 v[63:64], v[4:5], 4.0, s[0:1]
	v_cmp_ngt_f64_e64 s0, 0xc090cc00, v[35:36]
	v_fma_f64 v[18:19], v[77:78], v[17:18], s[28:29]
	v_rndne_f64_e32 v[57:58], v[57:58]
	v_fma_f64 v[81:82], v[69:70], s[8:9], v[93:94]
	v_fma_f64 v[53:54], v[65:66], v[53:54], s[30:31]
	v_mov_b32_e32 v20, s74
	v_fma_f64 v[35:36], v[83:84], s[18:19], s[16:17]
	v_mov_b32_e32 v21, s75
	v_mov_b32_e32 v17, 0x4292309c
	s_wait_alu 0xfffd
	v_cndmask_b32_e32 v26, 0x7ff00000, v50, vcc_lo
	v_fma_f64 v[89:90], v[73:74], v[24:25], s[26:27]
	s_clause 0x1
	global_store_b64 v[91:92], v[20:21], off
	global_store_b64 v[85:86], v[16:17], off
	v_fma_f64 v[91:92], v[71:72], s[18:19], s[16:17]
	v_ldexp_f64 v[47:48], v[47:48], v7
	v_fma_f64 v[24:25], v[2:3], s[70:71], v[63:64]
	v_fma_f64 v[63:64], v[75:76], v[79:80], s[30:31]
	;; [unrolled: 1-line block ×6, first 2 shown]
	s_and_b32 vcc_lo, s0, vcc_lo
	v_fma_f64 v[35:36], v[83:84], v[35:36], s[20:21]
	v_cndmask_b32_e64 v50, 0, v26, s0
	s_wait_alu 0xfffe
	v_cndmask_b32_e32 v49, 0, v49, vcc_lo
	v_cmp_nlt_f64_e32 vcc_lo, 0x40900000, v[43:44]
	v_cmp_ngt_f64_e64 s0, 0xc090cc00, v[43:44]
	v_cvt_i32_f64_e32 v26, v[59:60]
	v_fma_f64 v[85:86], v[73:74], v[89:90], s[28:29]
	global_store_b64 v[87:88], v[49:50], off
	s_mov_b32 s71, 0xc08f7377
	v_fma_f64 v[89:90], v[71:72], v[91:92], s[20:21]
	v_mul_f64_e32 v[43:44], s[14:15], v[24:25]
	v_fma_f64 v[91:92], v[75:76], v[63:64], s[36:37]
	v_fma_f64 v[17:18], v[77:78], v[18:19], s[36:37]
	;; [unrolled: 1-line block ×6, first 2 shown]
	s_wait_alu 0xfffd
	v_cndmask_b32_e32 v7, 0x7ff00000, v48, vcc_lo
	v_lshlrev_b64_e32 v[48:49], 3, v[0:1]
	s_and_b32 vcc_lo, s0, vcc_lo
	s_wait_alu 0xfffe
	v_dual_cndmask_b32 v93, 0, v47 :: v_dual_add_nc_u32 v0, s33, v0
	v_cndmask_b32_e64 v94, 0, v7, s0
	v_fma_f64 v[85:86], v[73:74], v[85:86], s[30:31]
	v_add_co_u32 v48, s1, s10, v48
	s_wait_alu 0xf1ff
	v_add_co_ci_u32_e64 v49, null, s11, v49, s1
	s_mov_b32 s0, 0x8e7ddca5
	s_mov_b32 s1, 0x405fdb8f
	v_cvt_i32_f64_e32 v7, v[55:56]
	global_store_b64 v[48:49], v[93:94], off
	v_lshlrev_b64_e32 v[47:48], 3, v[0:1]
	v_add_nc_u32_e32 v0, s33, v0
	s_delay_alu instid0(VALU_DEP_2) | instskip(SKIP_2) | instid1(VALU_DEP_4)
	v_add_co_u32 v93, vcc_lo, s10, v47
	v_fma_f64 v[87:88], v[71:72], v[89:90], s[22:23]
	s_wait_alu 0xfffd
	v_add_co_ci_u32_e64 v94, null, s11, v48, vcc_lo
	s_wait_alu 0xfffe
	v_fma_f64 v[47:48], v[4:5], s[56:57], s[0:1]
	s_mov_b32 s0, 0x9db22d0e
	v_rndne_f64_e32 v[35:36], v[43:44]
	v_fma_f64 v[43:44], v[75:76], v[91:92], s[38:39]
	v_fma_f64 v[89:90], v[77:78], v[17:18], s[38:39]
	v_fma_f64 v[18:19], v[4:5], 2.0, s[2:3]
	v_fma_f64 v[15:16], v[81:82], v[15:16], s[22:23]
	v_fma_f64 v[53:54], v[65:66], v[53:54], 1.0
	v_fma_f64 v[91:92], v[63:64], s[18:19], s[16:17]
	v_fma_f64 v[79:80], v[83:84], v[79:80], s[24:25]
	s_mov_b32 s1, 0xc0d18efb
	v_cvt_i32_f64_e32 v17, v[61:62]
	s_mov_b32 s2, 0xf8104776
	s_mov_b32 s3, 0x4040b70d
	;; [unrolled: 1-line block ×3, first 2 shown]
	v_fma_f64 v[85:86], v[73:74], v[85:86], s[36:37]
	v_fma_f64 v[87:88], v[71:72], v[87:88], s[24:25]
	s_wait_alu 0xfffe
	v_fma_f64 v[47:48], v[2:3], s[0:1], v[47:48]
	v_cmp_ngt_f64_e64 s0, 0xc090cc00, v[37:38]
	v_fma_f64 v[55:56], v[35:36], s[12:13], v[24:25]
	v_fma_f64 v[43:44], v[75:76], v[43:44], 1.0
	v_fma_f64 v[89:90], v[77:78], v[89:90], 1.0
	v_fma_f64 v[49:50], v[2:3], s[60:61], v[18:19]
	v_fma_f64 v[15:16], v[81:82], v[15:16], s[24:25]
	v_fma_f64 v[53:54], v[65:66], v[53:54], 1.0
	v_fma_f64 v[91:92], v[63:64], v[91:92], s[20:21]
	v_fma_f64 v[65:66], v[83:84], v[79:80], s[26:27]
	v_cmp_nlt_f64_e64 s1, 0x40900000, v[27:28]
	v_fma_f64 v[85:86], v[73:74], v[85:86], s[38:39]
	v_fma_f64 v[79:80], v[71:72], v[87:88], s[26:27]
	;; [unrolled: 1-line block ×3, first 2 shown]
	v_fma_f64 v[43:44], v[75:76], v[43:44], 1.0
	v_fma_f64 v[55:56], v[77:78], v[89:90], 1.0
	v_mul_f64_e32 v[77:78], s[14:15], v[49:50]
	v_fma_f64 v[15:16], v[81:82], v[15:16], s[26:27]
	v_mul_f64_e32 v[89:90], s[14:15], v[47:48]
	v_fma_f64 v[59:60], v[63:64], v[91:92], s[22:23]
	v_fma_f64 v[65:66], v[83:84], v[65:66], s[28:29]
	v_ldexp_f64 v[87:88], v[53:54], v7
	v_lshlrev_b64_e32 v[75:76], 3, v[0:1]
	v_add_nc_u32_e32 v0, s33, v0
	s_delay_alu instid0(VALU_DEP_2) | instskip(SKIP_2) | instid1(VALU_DEP_4)
	v_add_co_u32 v75, vcc_lo, s10, v75
	v_fma_f64 v[85:86], v[73:74], v[85:86], 1.0
	s_wait_alu 0xfffd
	v_add_co_ci_u32_e64 v76, null, s11, v76, vcc_lo
	v_cmp_nlt_f64_e32 vcc_lo, 0x40900000, v[37:38]
	v_fma_f64 v[37:38], v[4:5], s[44:45], s[2:3]
	v_cmp_ngt_f64_e64 s2, 0xc090cc00, v[27:28]
	v_cmp_nlt_f64_e64 s3, 0x40900000, v[39:40]
	v_cvt_i32_f64_e32 v28, v[31:32]
	s_mov_b32 s45, 0x3ffeb851
	v_fma_f64 v[79:80], v[71:72], v[79:80], s[28:29]
	v_fma_f64 v[95:96], v[61:62], s[18:19], s[16:17]
	v_ldexp_f64 v[43:44], v[43:44], v17
	v_ldexp_f64 v[91:92], v[55:56], v26
	v_rndne_f64_e32 v[53:54], v[77:78]
	v_fma_f64 v[15:16], v[81:82], v[15:16], s[28:29]
	v_rndne_f64_e32 v[55:56], v[89:90]
	v_fma_f64 v[59:60], v[63:64], v[59:60], s[24:25]
	v_fma_f64 v[65:66], v[83:84], v[65:66], s[30:31]
	v_fma_f64 v[73:74], v[73:74], v[85:86], 1.0
	s_wait_alu 0xfffd
	v_cndmask_b32_e32 v7, 0x7ff00000, v88, vcc_lo
	s_and_b32 vcc_lo, s0, vcc_lo
	v_fma_f64 v[38:39], v[2:3], s[78:79], v[37:38]
	s_mov_b32 s78, 0x821d7c12
	s_mov_b32 s79, 0x403520f4
	v_fma_f64 v[77:78], v[71:72], v[79:80], s[30:31]
	v_fma_f64 v[79:80], v[61:62], v[95:96], s[20:21]
	v_cndmask_b32_e64 v17, 0x7ff00000, v44, s1
	v_cndmask_b32_e64 v44, 0x7ff00000, v92, s3
	v_fma_f64 v[26:27], v[53:54], s[12:13], v[49:50]
	v_fma_f64 v[15:16], v[81:82], v[15:16], s[30:31]
	;; [unrolled: 1-line block ×5, first 2 shown]
	v_ldexp_f64 v[88:89], v[73:74], v28
	v_cvt_i32_f64_e32 v28, v[69:70]
	v_fma_f64 v[77:78], v[71:72], v[77:78], s[36:37]
	v_fma_f64 v[85:86], v[61:62], v[79:80], s[22:23]
	;; [unrolled: 1-line block ×7, first 2 shown]
	s_wait_alu 0xfffe
	v_cndmask_b32_e32 v65, 0, v87, vcc_lo
	s_and_b32 vcc_lo, s4, s3
	v_cndmask_b32_e64 v66, 0, v7, s0
	v_cmp_ngt_f64_e64 s0, 0xc090cc00, v[33:34]
	global_store_b64 v[93:94], v[65:66], off
	v_mul_f64_e32 v[65:66], s[14:15], v[38:39]
	v_fma_f64 v[31:32], v[71:72], v[77:78], s[38:39]
	s_wait_alu 0xfffe
	v_cndmask_b32_e32 v77, 0, v91, vcc_lo
	v_lshlrev_b64_e32 v[90:91], 3, v[0:1]
	v_add_nc_u32_e32 v0, s33, v0
	v_cndmask_b32_e64 v78, 0, v44, s4
	v_fma_f64 v[85:86], v[61:62], v[85:86], s[24:25]
	v_cndmask_b32_e64 v44, 0, v17, s2
	v_cmp_ngt_f64_e64 s4, 0xc090cc00, v[51:52]
	v_fma_f64 v[92:93], v[79:80], s[18:19], s[16:17]
	v_fma_f64 v[95:96], v[81:82], v[15:16], s[38:39]
	v_lshlrev_b64_e32 v[15:16], 3, v[0:1]
	global_store_b64 v[75:76], v[77:78], off
	v_fma_f64 v[77:78], v[83:84], v[26:27], 1.0
	v_add_co_u32 v26, vcc_lo, s10, v90
	s_wait_alu 0xfffd
	v_add_co_ci_u32_e64 v27, null, s11, v91, vcc_lo
	s_and_b32 vcc_lo, s2, s1
	v_fma_f64 v[59:60], v[63:64], v[59:60], s[30:31]
	s_wait_alu 0xfffe
	v_cndmask_b32_e32 v43, 0, v43, vcc_lo
	v_add_co_u32 v90, vcc_lo, s10, v15
	s_wait_alu 0xfffd
	v_add_co_ci_u32_e64 v91, null, s11, v16, vcc_lo
	v_cmp_nlt_f64_e32 vcc_lo, 0x40900000, v[33:34]
	v_fma_f64 v[75:76], v[4:5], s[48:49], s[78:79]
	v_dual_mov_b32 v16, s64 :: v_dual_mov_b32 v17, s65
	s_clause 0x1
	global_store_b64 v[26:27], v[16:17], off
	global_store_b64 v[90:91], v[43:44], off
	s_mov_b32 s2, 0x8216c615
	s_mov_b32 s3, 0xc095269c
	v_add_nc_u32_e32 v0, s82, v0
	v_cvt_i32_f64_e32 v15, v[22:23]
	v_mov_b32_e32 v22, s72
	v_fma_f64 v[43:44], v[71:72], v[31:32], 1.0
	v_mov_b32_e32 v23, s73
	v_lshlrev_b64_e32 v[97:98], 3, v[0:1]
	v_add_nc_u32_e32 v0, s33, v0
	v_rndne_f64_e32 v[65:66], v[65:66]
	v_fma_f64 v[85:86], v[61:62], v[85:86], s[26:27]
	v_cvt_i32_f64_e32 v31, v[57:58]
	s_mov_b32 s73, 0x3fd28f5c
	v_fma_f64 v[91:92], v[79:80], v[92:93], s[20:21]
	v_fma_f64 v[94:95], v[81:82], v[95:96], 1.0
	s_mov_b32 s72, 0x28f5c28f
	s_mov_b32 s65, 0x429b48eb
	v_fma_f64 v[77:78], v[83:84], v[77:78], 1.0
	v_add_co_u32 v83, s1, s10, v97
	s_wait_alu 0xf1ff
	v_add_co_ci_u32_e64 v84, null, s11, v98, s1
	s_mov_b32 s49, 0x3ffee147
	v_fma_f64 v[59:60], v[63:64], v[59:60], s[36:37]
	s_wait_alu 0xfffd
	v_cndmask_b32_e32 v7, 0x7ff00000, v89, vcc_lo
	v_fma_f64 v[89:90], v[73:74], s[18:19], s[16:17]
	s_wait_alu 0xfffe
	v_fma_f64 v[26:27], v[2:3], s[2:3], v[75:76]
	v_lshlrev_b64_e32 v[75:76], 3, v[0:1]
	s_mov_b32 s2, 0x712a0ec7
	s_mov_b32 s3, 0xc0853abd
	s_and_b32 vcc_lo, s0, vcc_lo
	s_wait_alu 0xfffe
	v_fma_f64 v[32:33], v[2:3], s[2:3], s[58:59]
	v_add_nc_u32_e32 v0, s33, v0
	v_add_co_u32 v75, s1, s10, v75
	s_wait_alu 0xf1ff
	v_add_co_ci_u32_e64 v76, null, s11, v76, s1
	s_clause 0x1
	global_store_b64 v[83:84], v[22:23], off
	global_store_b64 v[75:76], v[22:23], off
	v_cndmask_b32_e64 v76, 0, v7, s0
	v_cvt_i32_f64_e32 v7, v[67:68]
	v_cndmask_b32_e32 v75, 0, v88, vcc_lo
	v_fma_f64 v[83:84], v[61:62], v[85:86], s[28:29]
	v_fma_f64 v[71:72], v[71:72], v[43:44], 1.0
	v_lshlrev_b64_e32 v[43:44], 3, v[0:1]
	v_fma_f64 v[85:86], v[79:80], v[91:92], s[22:23]
	v_fma_f64 v[81:82], v[81:82], v[94:95], 1.0
	v_add_nc_u32_e32 v0, s33, v0
	v_fma_f64 v[69:70], v[65:66], s[12:13], v[38:39]
	s_mov_b32 s0, 0x63073655
	s_mov_b32 s1, 0x403d6f9f
	v_cmp_nlt_f64_e64 s3, 0x40900000, v[51:52]
	v_ldexp_f64 v[77:78], v[77:78], v15
	s_mov_b32 s58, 0x4399b2c4
	s_mov_b32 s59, 0xc0619cd2
	v_fma_f64 v[59:60], v[63:64], v[59:60], s[38:39]
	v_cmp_ngt_f64_e64 s2, 0xc090cc00, v[45:46]
	v_fma_f64 v[67:68], v[73:74], v[89:90], s[20:21]
	v_mul_f64_e32 v[87:88], s[14:15], v[26:27]
	v_add_co_u32 v89, vcc_lo, s10, v43
	s_wait_alu 0xfffd
	v_add_co_ci_u32_e64 v90, null, s11, v44, vcc_lo
	v_lshlrev_b64_e32 v[43:44], 3, v[0:1]
	v_mul_f64_e32 v[91:92], s[14:15], v[32:33]
	v_add_nc_u32_e32 v0, s33, v0
	global_store_b64 v[89:90], v[75:76], off
	v_add_co_u32 v93, vcc_lo, s10, v43
	s_wait_alu 0xfffd
	v_add_co_ci_u32_e64 v94, null, s11, v44, vcc_lo
	v_mul_f64_e32 v[43:44], s[70:71], v[2:3]
	s_mov_b32 s71, 0x3fd147ae
	s_mov_b32 s70, 0x147ae148
	v_fma_f64 v[83:84], v[61:62], v[83:84], s[30:31]
	v_lshlrev_b64_e32 v[75:76], 3, v[0:1]
	v_fma_f64 v[85:86], v[79:80], v[85:86], s[24:25]
	v_ldexp_f64 v[81:82], v[81:82], v28
	v_add_nc_u32_e32 v0, s33, v0
	global_store_b64 v[93:94], v[8:9], off
	v_fma_f64 v[69:70], v[65:66], s[8:9], v[69:70]
	v_add_co_u32 v75, vcc_lo, s10, v75
	v_lshlrev_b64_e32 v[93:94], 3, v[0:1]
	s_wait_alu 0xfffd
	v_add_co_ci_u32_e64 v76, null, s11, v76, vcc_lo
	v_fma_f64 v[95:96], v[63:64], v[59:60], 1.0
	v_add_nc_u32_e32 v0, s33, v0
	v_ldexp_f64 v[71:72], v[71:72], v7
	v_fma_f64 v[89:90], v[73:74], v[67:68], s[22:23]
	v_rndne_f64_e32 v[59:60], v[87:88]
	s_wait_alu 0xfffe
	v_fma_f64 v[87:88], v[4:5], s[70:71], s[0:1]
	v_cmp_ngt_f64_e64 s0, 0xc090cc00, v[41:42]
	v_cmp_nlt_f64_e64 s1, 0x40900000, v[45:46]
	s_mov_b32 s71, 0x3ffd47ae
	v_rndne_f64_e32 v[67:68], v[91:92]
	v_add_co_u32 v91, vcc_lo, s10, v93
	s_wait_alu 0xfffd
	v_add_co_ci_u32_e64 v92, null, s11, v94, vcc_lo
	v_cmp_nlt_f64_e32 vcc_lo, 0x40900000, v[41:42]
	s_clause 0x1
	global_store_b64 v[75:76], v[12:13], off
	global_store_b64 v[91:92], v[20:21], off
	v_lshlrev_b64_e32 v[75:76], 3, v[0:1]
	v_mul_f64_e32 v[93:94], s[14:15], v[43:44]
	v_add_nc_u32_e32 v0, s33, v0
	v_cvt_i32_f64_e32 v42, v[65:66]
	v_fma_f64 v[57:58], v[61:62], v[83:84], s[36:37]
	s_wait_alu 0xf1ff
	v_cndmask_b32_e64 v28, 0x7ff00000, v82, s3
	v_fma_f64 v[82:83], v[79:80], v[85:86], s[26:27]
	v_fma_f64 v[51:52], v[69:70], s[18:19], s[16:17]
	v_fma_f64 v[63:64], v[63:64], v[95:96], 1.0
	s_delay_alu instid0(VALU_DEP_4)
	v_cndmask_b32_e64 v95, 0, v28, s4
	v_lshlrev_b64_e32 v[96:97], 3, v[0:1]
	v_add_nc_u32_e32 v0, s33, v0
	v_fma_f64 v[89:90], v[73:74], v[89:90], s[24:25]
	v_fma_f64 v[84:85], v[59:60], s[12:13], v[26:27]
	;; [unrolled: 1-line block ×3, first 2 shown]
	s_mov_b32 s59, 0x4072beac
	v_cndmask_b32_e64 v15, 0x7ff00000, v72, s1
	s_mov_b32 s58, 0x94b380cb
	v_fma_f64 v[86:87], v[67:68], s[12:13], v[32:33]
	s_wait_alu 0xfffd
	v_cndmask_b32_e32 v7, 0x7ff00000, v78, vcc_lo
	s_and_b32 vcc_lo, s0, vcc_lo
	v_rndne_f64_e32 v[45:46], v[93:94]
	s_delay_alu instid0(VALU_DEP_2)
	v_cndmask_b32_e64 v91, 0, v7, s0
	v_cmp_ngt_f64_e64 s0, 0xc090cc00, v[29:30]
	v_fma_f64 v[57:58], v[61:62], v[57:58], s[38:39]
	v_fma_f64 v[51:52], v[69:70], v[51:52], s[20:21]
	;; [unrolled: 1-line block ×3, first 2 shown]
	s_wait_alu 0xfffe
	v_cndmask_b32_e32 v90, 0, v77, vcc_lo
	v_add_co_u32 v92, vcc_lo, s10, v75
	s_wait_alu 0xfffd
	v_add_co_ci_u32_e64 v93, null, s11, v76, vcc_lo
	s_and_b32 vcc_lo, s4, s3
	v_fma_f64 v[75:76], v[59:60], s[8:9], v[84:85]
	s_wait_alu 0xfffe
	v_cndmask_b32_e32 v94, 0, v81, vcc_lo
	v_fma_f64 v[81:82], v[79:80], v[82:83], s[28:29]
	v_mul_f64_e32 v[83:84], s[14:15], v[40:41]
	v_fma_f64 v[77:78], v[67:68], s[8:9], v[86:87]
	global_store_b64 v[92:93], v[90:91], off
	v_mul_f64_e32 v[85:86], 0x416f20c0, v[94:95]
	s_and_b32 vcc_lo, s2, s1
	v_ldexp_f64 v[92:93], v[63:64], v31
	v_fma_f64 v[90:91], v[45:46], s[12:13], v[43:44]
	s_wait_alu 0xfffe
	v_cndmask_b32_e32 v63, 0, v71, vcc_lo
	v_add_co_u32 v87, vcc_lo, s10, v96
	v_cndmask_b32_e64 v64, 0, v15, s2
	s_mov_b32 s2, 0x652a2644
	s_mov_b32 s3, 0x402c3763
	v_cvt_i32_f64_e32 v15, v[35:36]
	v_mul_f64_e32 v[36:37], 0x414f20c0, v[94:95]
	v_fma_f64 v[51:52], v[69:70], v[51:52], s[22:23]
	s_mov_b32 s4, 0x95810625
	s_mov_b32 s5, 0xc0224b43
	v_fma_f64 v[71:72], v[73:74], v[88:89], s[28:29]
	s_wait_alu 0xfffd
	v_add_co_ci_u32_e64 v88, null, s11, v97, vcc_lo
	v_lshlrev_b64_e32 v[96:97], 3, v[0:1]
	v_add_nc_u32_e32 v0, s33, v0
	global_store_b64 v[87:88], v[63:64], off
	v_fma_f64 v[87:88], v[61:62], v[57:58], 1.0
	v_fma_f64 v[81:82], v[79:80], v[81:82], s[30:31]
	v_rndne_f64_e32 v[57:58], v[83:84]
	v_add_co_u32 v63, vcc_lo, s10, v96
	s_wait_alu 0xfffd
	v_add_co_ci_u32_e64 v64, null, s11, v97, vcc_lo
	v_fma_f64 v[96:97], v[75:76], s[18:19], s[16:17]
	v_fma_f64 v[83:84], v[77:78], s[18:19], s[16:17]
	global_store_b64 v[63:64], v[85:86], off
	v_lshlrev_b64_e32 v[85:86], 3, v[0:1]
	v_fma_f64 v[63:64], v[45:46], s[8:9], v[90:91]
	v_add_nc_u32_e32 v0, s33, v0
	s_delay_alu instid0(VALU_DEP_3) | instskip(SKIP_1) | instid1(VALU_DEP_4)
	v_add_co_u32 v85, vcc_lo, s10, v85
	s_wait_alu 0xfffd
	v_add_co_ci_u32_e64 v86, null, s11, v86, vcc_lo
	v_cmp_nlt_f64_e32 vcc_lo, 0x40900000, v[29:30]
	s_wait_alu 0xfffe
	v_fma_f64 v[30:31], v[4:5], s[76:77], s[2:3]
	s_mov_b32 s2, 0x590c0ad0
	v_fma_f64 v[51:52], v[69:70], v[51:52], s[24:25]
	s_mov_b32 s3, 0x40681ddd
	global_store_b64 v[85:86], v[36:37], off
	v_lshlrev_b64_e32 v[36:37], 3, v[0:1]
	v_add_nc_u32_e32 v0, s33, v0
	v_fma_f64 v[28:29], v[73:74], v[71:72], s[30:31]
	v_fma_f64 v[61:62], v[61:62], v[87:88], 1.0
	v_fma_f64 v[71:72], v[79:80], v[81:82], s[36:37]
	v_fma_f64 v[87:88], v[57:58], s[12:13], v[40:41]
	;; [unrolled: 1-line block ×5, first 2 shown]
	s_wait_alu 0xfffd
	v_cndmask_b32_e32 v7, 0x7ff00000, v93, vcc_lo
	s_wait_alu 0xfffe
	v_fma_f64 v[30:31], v[2:3], s[2:3], v[30:31]
	s_and_b32 vcc_lo, s0, vcc_lo
	v_fma_f64 v[51:52], v[69:70], v[51:52], s[26:27]
	s_wait_alu 0xfffe
	v_cndmask_b32_e32 v85, 0, v92, vcc_lo
	v_cndmask_b32_e64 v86, 0, v7, s0
	s_mov_b32 s0, 0x9924ff9
	s_mov_b32 s1, 0x403a6d53
	;; [unrolled: 1-line block ×3, first 2 shown]
	v_fma_f64 v[28:29], v[73:74], v[28:29], s[36:37]
	s_mov_b32 s3, 0xbff63d70
	v_cvt_i32_f64_e32 v7, v[53:54]
	v_ldexp_f64 v[61:62], v[61:62], v15
	v_cvt_i32_f64_e32 v15, v[55:56]
	v_fma_f64 v[89:90], v[79:80], v[71:72], s[38:39]
	v_fma_f64 v[71:72], v[57:58], s[8:9], v[87:88]
	v_add_co_u32 v87, vcc_lo, s10, v36
	s_wait_alu 0xfffd
	v_add_co_ci_u32_e64 v88, null, s11, v37, vcc_lo
	v_fma_f64 v[81:82], v[75:76], v[81:82], s[22:23]
	v_fma_f64 v[83:84], v[77:78], v[83:84], s[22:23]
	v_cmp_nlt_f64_e32 vcc_lo, 0x40900000, v[24:25]
	global_store_b64 v[87:88], v[85:86], off
	v_fma_f64 v[34:35], v[63:64], v[34:35], s[20:21]
	v_mul_f64_e32 v[36:37], s[14:15], v[30:31]
	v_fma_f64 v[91:92], v[69:70], v[51:52], s[28:29]
	v_fma_f64 v[28:29], v[73:74], v[28:29], s[38:39]
	v_fma_f64 v[89:90], v[79:80], v[89:90], 1.0
	v_fma_f64 v[93:94], v[71:72], s[18:19], s[16:17]
	v_fma_f64 v[81:82], v[75:76], v[81:82], s[24:25]
	;; [unrolled: 1-line block ×4, first 2 shown]
	v_rndne_f64_e32 v[51:52], v[36:37]
	v_fma_f64 v[36:37], v[69:70], v[91:92], s[30:31]
	s_wait_alu 0xfffe
	v_fma_f64 v[91:92], v[4:5], s[72:73], s[0:1]
	s_mov_b32 s0, 0x8be57bf0
	s_mov_b32 s1, 0x40432f07
	;; [unrolled: 1-line block ×3, first 2 shown]
	s_wait_alu 0xfffe
	v_fma_f64 v[55:56], v[4:5], s[2:3], s[0:1]
	v_fma_f64 v[28:29], v[73:74], v[28:29], 1.0
	s_mov_b32 s0, 0x87c07e35
	s_mov_b32 s1, 0xc016243b
	v_cmp_ngt_f64_e64 s2, 0xc090cc00, v[49:50]
	v_fma_f64 v[79:80], v[79:80], v[89:90], 1.0
	v_fma_f64 v[89:90], v[71:72], v[93:94], s[20:21]
	v_fma_f64 v[81:82], v[75:76], v[81:82], s[26:27]
	;; [unrolled: 1-line block ×5, first 2 shown]
	s_wait_alu 0xfffe
	v_fma_f64 v[36:37], v[2:3], s[0:1], v[91:92]
	s_mov_b32 s0, 0x395c4220
	s_mov_b32 s1, 0xc07fc3fb
	v_fma_f64 v[73:74], v[73:74], v[28:29], 1.0
	v_fma_f64 v[28:29], v[51:52], s[12:13], v[30:31]
	v_ldexp_f64 v[79:80], v[79:80], v7
	v_fma_f64 v[89:90], v[71:72], v[89:90], s[22:23]
	s_wait_alu 0xfffd
	v_cndmask_b32_e32 v7, 0x7ff00000, v62, vcc_lo
	v_fma_f64 v[81:82], v[75:76], v[81:82], s[28:29]
	v_fma_f64 v[83:84], v[77:78], v[83:84], s[28:29]
	;; [unrolled: 1-line block ×3, first 2 shown]
	v_mul_f64_e32 v[85:86], s[14:15], v[36:37]
	v_ldexp_f64 v[73:74], v[73:74], v15
	v_fma_f64 v[53:54], v[51:52], s[8:9], v[28:29]
	s_wait_alu 0xfffe
	v_fma_f64 v[28:29], v[2:3], s[0:1], v[55:56]
	v_fma_f64 v[55:56], v[69:70], v[93:94], s[38:39]
	v_cmp_nlt_f64_e64 s1, 0x40900000, v[49:50]
	v_cmp_ngt_f64_e64 s0, 0xc090cc00, v[24:25]
	v_fma_f64 v[89:90], v[71:72], v[89:90], s[24:25]
	v_fma_f64 v[81:82], v[75:76], v[81:82], s[30:31]
	;; [unrolled: 1-line block ×5, first 2 shown]
	v_mul_f64_e32 v[24:25], s[14:15], v[28:29]
	v_fma_f64 v[91:92], v[69:70], v[55:56], 1.0
	s_wait_alu 0xf1ff
	v_cndmask_b32_e64 v15, 0x7ff00000, v80, s1
	v_rndne_f64_e32 v[55:56], v[85:86]
	s_and_b32 vcc_lo, s0, vcc_lo
	v_cndmask_b32_e64 v62, 0, v7, s0
	s_wait_alu 0xfffe
	v_cndmask_b32_e32 v61, 0, v61, vcc_lo
	v_cmp_nlt_f64_e32 vcc_lo, 0x40900000, v[47:48]
	v_fma_f64 v[89:90], v[71:72], v[89:90], s[26:27]
	v_cmp_ngt_f64_e64 s0, 0xc090cc00, v[47:48]
	s_and_b32 s1, s2, s1
	v_cndmask_b32_e64 v48, 0, v15, s2
	s_wait_alu 0xfffe
	v_cndmask_b32_e64 v47, 0, v79, s1
	v_fma_f64 v[80:81], v[75:76], v[81:82], s[36:37]
	v_fma_f64 v[82:83], v[77:78], v[83:84], s[36:37]
	v_cvt_i32_f64_e32 v15, v[59:60]
	v_fma_f64 v[34:35], v[63:64], v[34:35], s[30:31]
	v_fma_f64 v[84:85], v[53:54], v[87:88], s[20:21]
	v_rndne_f64_e32 v[49:50], v[24:25]
	v_lshlrev_b64_e32 v[24:25], 3, v[0:1]
	v_add_nc_u32_e32 v0, s33, v0
	v_fma_f64 v[69:70], v[69:70], v[91:92], 1.0
	s_delay_alu instid0(VALU_DEP_3)
	v_add_co_u32 v24, s3, s10, v24
	v_fma_f64 v[65:66], v[71:72], v[89:90], s[28:29]
	s_wait_alu 0xf1ff
	v_add_co_ci_u32_e64 v25, null, s11, v25, s3
	s_mov_b32 s2, 0xa9c205c9
	v_fma_f64 v[79:80], v[75:76], v[80:81], s[38:39]
	v_fma_f64 v[81:82], v[77:78], v[82:83], s[38:39]
	;; [unrolled: 1-line block ×3, first 2 shown]
	s_mov_b32 s3, 0x4037376a
	v_lshlrev_b64_e32 v[86:87], 3, v[0:1]
	v_fma_f64 v[88:89], v[63:64], v[34:35], s[36:37]
	s_wait_alu 0xfffe
	v_fma_f64 v[34:35], v[2:3], s[58:59], s[2:3]
	s_wait_alu 0xfffd
	v_cndmask_b32_e32 v7, 0x7ff00000, v74, vcc_lo
	global_store_b64 v[24:25], v[61:62], off
	s_and_b32 vcc_lo, s0, vcc_lo
	v_add_co_u32 v86, s1, s10, v86
	s_wait_alu 0xf1ff
	v_add_co_ci_u32_e64 v87, null, s11, v87, s1
	v_cndmask_b32_e64 v74, 0, v7, s0
	s_mov_b32 s0, 0xe113abae
	s_mov_b32 s1, 0x404bd570
	global_store_b64 v[86:87], v[47:48], off
	s_wait_alu 0xfffe
	v_dual_cndmask_b32 v73, 0, v73 :: v_dual_add_nc_u32 v0, s33, v0
	s_mov_b32 s2, 0xa75cd0bb
	s_mov_b32 s3, 0xc0c24c71
	;; [unrolled: 1-line block ×3, first 2 shown]
	s_delay_alu instid0(VALU_DEP_1)
	v_lshlrev_b64_e32 v[61:62], 3, v[0:1]
	v_fma_f64 v[83:84], v[53:54], v[84:85], s[22:23]
	v_fma_f64 v[24:25], v[49:50], s[12:13], v[28:29]
	v_fma_f64 v[85:86], v[4:5], s[56:57], s[0:1]
	v_add_nc_u32_e32 v0, s33, v0
	v_ldexp_f64 v[47:48], v[69:70], v42
	v_add_co_u32 v94, vcc_lo, s10, v61
	s_wait_alu 0xfffd
	v_add_co_ci_u32_e64 v95, null, s11, v62, vcc_lo
	v_lshlrev_b64_e32 v[92:93], 3, v[0:1]
	v_fma_f64 v[65:66], v[71:72], v[65:66], s[30:31]
	v_cmp_ngt_f64_e64 s0, 0xc090cc00, v[38:39]
	global_store_b64 v[94:95], v[73:74], off
	v_cvt_i32_f64_e32 v42, v[67:68]
	v_fma_f64 v[79:80], v[75:76], v[79:80], 1.0
	v_fma_f64 v[81:82], v[77:78], v[81:82], 1.0
	v_fma_f64 v[69:70], v[55:56], s[8:9], v[90:91]
	v_add_nc_u32_e32 v0, s33, v0
	v_fma_f64 v[87:88], v[63:64], v[88:89], s[38:39]
	v_add_co_u32 v89, vcc_lo, s10, v92
	v_mul_f64_e32 v[91:92], s[14:15], v[34:35]
	s_wait_alu 0xfffd
	v_add_co_ci_u32_e64 v90, null, s11, v93, vcc_lo
	v_cmp_nlt_f64_e32 vcc_lo, 0x40900000, v[38:39]
	global_store_b64 v[89:90], v[22:23], off
	v_fma_f64 v[83:84], v[53:54], v[83:84], s[24:25]
	v_fma_f64 v[61:62], v[49:50], s[8:9], v[24:25]
	s_wait_alu 0xfffe
	v_fma_f64 v[38:39], v[2:3], s[2:3], v[85:86]
	s_mov_b32 s2, 0x7bb2fec5
	s_mov_b32 s3, 0x40581d72
	v_lshlrev_b64_e32 v[24:25], 3, v[0:1]
	v_add_nc_u32_e32 v0, s33, v0
	v_fma_f64 v[65:66], v[71:72], v[65:66], s[36:37]
	s_delay_alu instid0(VALU_DEP_3) | instskip(SKIP_1) | instid1(VALU_DEP_4)
	v_add_co_u32 v24, s1, s10, v24
	s_wait_alu 0xf1ff
	v_add_co_ci_u32_e64 v25, null, s11, v25, s1
	v_fma_f64 v[73:74], v[75:76], v[79:80], 1.0
	v_fma_f64 v[75:76], v[77:78], v[81:82], 1.0
	v_fma_f64 v[77:78], v[69:70], s[18:19], s[16:17]
	s_wait_alu 0xfffe
	v_fma_f64 v[79:80], v[4:5], s[4:5], s[2:3]
	v_fma_f64 v[67:68], v[63:64], v[87:88], 1.0
	global_store_b64 v[24:25], v[22:23], off
	v_lshlrev_b64_e32 v[24:25], 3, v[0:1]
	v_rndne_f64_e32 v[59:60], v[91:92]
	v_add_nc_u32_e32 v0, s33, v0
	v_cmp_ngt_f64_e64 s2, 0xc090cc00, v[32:33]
	s_wait_alu 0xfffd
	v_cndmask_b32_e32 v7, 0x7ff00000, v48, vcc_lo
	s_and_b32 vcc_lo, s0, vcc_lo
	v_add_co_u32 v24, s1, s10, v24
	v_lshlrev_b64_e32 v[81:82], 3, v[0:1]
	s_wait_alu 0xf1ff
	v_add_co_ci_u32_e64 v25, null, s11, v25, s1
	v_cndmask_b32_e64 v90, 0, v7, s0
	s_wait_alu 0xfffe
	v_cndmask_b32_e32 v89, 0, v47, vcc_lo
	v_cvt_i32_f64_e32 v7, v[45:46]
	v_add_co_u32 v81, s1, s10, v81
	s_wait_alu 0xf1ff
	v_add_co_ci_u32_e64 v82, null, s11, v82, s1
	v_fma_f64 v[83:84], v[53:54], v[83:84], s[26:27]
	v_fma_f64 v[85:86], v[61:62], s[18:19], s[16:17]
	v_mul_f64_e32 v[91:92], s[14:15], v[38:39]
	s_mov_b32 s0, 0x2617c1be
	s_mov_b32 s1, 0xc0d70c37
	v_mul_f64_e32 v[45:46], s[54:55], v[2:3]
	v_add_nc_u32_e32 v0, s33, v0
	v_cmp_nlt_f64_e64 s3, 0x40900000, v[43:44]
	v_cmp_ngt_f64_e64 s4, 0xc090cc00, v[43:44]
	v_fma_f64 v[65:66], v[71:72], v[65:66], s[38:39]
	s_mov_b32 s54, 0xe22d8722
	v_lshlrev_b64_e32 v[87:88], 3, v[0:1]
	s_mov_b32 s55, 0x403db5e0
	v_add_nc_u32_e32 v0, s82, v0
	v_ldexp_f64 v[73:74], v[73:74], v15
	v_ldexp_f64 v[75:76], v[75:76], v42
	s_wait_alu 0xfffe
	v_fma_f64 v[47:48], v[2:3], s[0:1], v[79:80]
	v_fma_f64 v[63:64], v[63:64], v[67:68], 1.0
	v_fma_f64 v[67:68], v[69:70], v[77:78], s[20:21]
	v_cmp_nlt_f64_e64 s1, 0x40900000, v[32:33]
	v_fma_f64 v[77:78], v[59:60], s[12:13], v[34:35]
	v_add_co_u32 v87, vcc_lo, s10, v87
	s_wait_alu 0xfffd
	v_add_co_ci_u32_e64 v88, null, s11, v88, vcc_lo
	v_cmp_nlt_f64_e32 vcc_lo, 0x40900000, v[26:27]
	v_cmp_ngt_f64_e64 s0, 0xc090cc00, v[26:27]
	s_clause 0x2
	global_store_b64 v[24:25], v[10:11], off
	global_store_b64 v[81:82], v[20:21], off
	;; [unrolled: 1-line block ×3, first 2 shown]
	v_lshlrev_b64_e32 v[24:25], 3, v[0:1]
	v_add_nc_u32_e32 v0, s82, v0
	v_fma_f64 v[79:80], v[53:54], v[83:84], s[28:29]
	v_fma_f64 v[83:84], v[61:62], v[85:86], s[20:21]
	v_fma_f64 v[85:86], v[71:72], v[65:66], 1.0
	v_rndne_f64_e32 v[65:66], v[91:92]
	v_ldexp_f64 v[26:27], v[63:64], v7
	v_fma_f64 v[32:33], v[69:70], v[67:68], s[22:23]
	v_mul_f64_e32 v[67:68], s[14:15], v[47:48]
	s_wait_alu 0xf1ff
	v_cndmask_b32_e64 v91, 0x7ff00000, v76, s1
	v_fma_f64 v[63:64], v[59:60], s[8:9], v[77:78]
	v_mul_f64_e32 v[76:77], s[14:15], v[45:46]
	v_cvt_i32_f64_e32 v7, v[57:58]
	s_wait_alu 0xfffd
	v_cndmask_b32_e32 v15, 0x7ff00000, v74, vcc_lo
	s_and_b32 vcc_lo, s0, vcc_lo
	s_wait_alu 0xfffe
	v_cndmask_b32_e32 v10, 0, v73, vcc_lo
	v_add_co_u32 v24, vcc_lo, s10, v24
	s_wait_alu 0xfffd
	v_add_co_ci_u32_e64 v25, null, s11, v25, vcc_lo
	s_and_b32 vcc_lo, s4, s3
	v_cndmask_b32_e64 v11, 0, v15, s0
	v_cvt_i32_f64_e32 v15, v[55:56]
	v_fma_f64 v[78:79], v[53:54], v[79:80], s[30:31]
	v_fma_f64 v[83:84], v[61:62], v[83:84], s[22:23]
	v_fma_f64 v[80:81], v[4:5], s[46:47], s[54:55]
	s_mov_b32 s46, 0x89a02752
	s_mov_b32 s47, 0xc0bb8508
	v_fma_f64 v[85:86], v[71:72], v[85:86], 1.0
	v_fma_f64 v[71:72], v[65:66], s[12:13], v[38:39]
	v_cndmask_b32_e64 v92, 0x7ff00000, v27, s3
	v_fma_f64 v[42:43], v[69:70], v[32:33], s[24:25]
	v_rndne_f64_e32 v[67:68], v[67:68]
	v_cndmask_b32_e64 v27, 0, v91, s2
	v_fma_f64 v[57:58], v[63:64], s[18:19], s[16:17]
	v_rndne_f64_e32 v[32:33], v[76:77]
	v_cndmask_b32_e64 v44, 0, v92, s4
	s_mov_b32 s4, 0xab8a5ce6
	s_mov_b32 s5, 0xc093a82a
	v_fma_f64 v[76:77], v[53:54], v[78:79], s[36:37]
	v_fma_f64 v[78:79], v[61:62], v[83:84], s[24:25]
	v_lshlrev_b64_e32 v[82:83], 3, v[0:1]
	v_add_nc_u32_e32 v0, s33, v0
	v_ldexp_f64 v[73:74], v[85:86], v7
	v_fma_f64 v[71:72], v[65:66], s[8:9], v[71:72]
	v_cvt_i32_f64_e32 v7, v[51:52]
	v_fma_f64 v[84:85], v[69:70], v[42:43], s[26:27]
	v_fma_f64 v[86:87], v[67:68], s[12:13], v[47:48]
	s_wait_alu 0xfffe
	v_cndmask_b32_e32 v43, 0, v26, vcc_lo
	v_fma_f64 v[57:58], v[63:64], v[57:58], s[20:21]
	v_fma_f64 v[88:89], v[32:33], s[12:13], v[45:46]
	s_and_b32 vcc_lo, s2, s1
	s_mov_b32 s0, 0x652bd3c3
	s_wait_alu 0xfffe
	v_cndmask_b32_e32 v26, 0, v75, vcc_lo
	s_mov_b32 s1, 0xc0e5cfd1
	s_mov_b32 s2, 0x1172ef0b
	;; [unrolled: 1-line block ×3, first 2 shown]
	v_fma_f64 v[90:91], v[53:54], v[76:77], s[38:39]
	v_mul_f64_e32 v[75:76], s[64:65], v[43:44]
	v_add_co_u32 v77, vcc_lo, s10, v82
	v_fma_f64 v[92:93], v[61:62], v[78:79], s[26:27]
	s_wait_alu 0xfffd
	v_add_co_ci_u32_e64 v78, null, s11, v83, vcc_lo
	v_cmp_nlt_f64_e32 vcc_lo, 0x40900000, v[40:41]
	s_clause 0x1
	global_store_b64 v[24:25], v[10:11], off
	global_store_b64 v[77:78], v[26:27], off
	v_mul_f64_e32 v[10:11], s[74:75], v[43:44]
	v_fma_f64 v[24:25], v[71:72], s[18:19], s[16:17]
	s_wait_alu 0xfffe
	v_fma_f64 v[26:27], v[2:3], s[0:1], v[80:81]
	v_mad_co_u64_u32 v[81:82], null, s33, 21, v[0:1]
	v_lshlrev_b64_e32 v[77:78], 3, v[0:1]
	v_mov_b32_e32 v82, v1
	v_cmp_ngt_f64_e64 s0, 0xc090cc00, v[40:41]
	v_fma_f64 v[83:84], v[69:70], v[84:85], s[28:29]
	v_fma_f64 v[79:80], v[67:68], s[8:9], v[86:87]
	v_add_co_u32 v40, s1, s10, v77
	v_mad_co_u64_u32 v[85:86], null, s33, 34, v[81:82]
	s_wait_alu 0xf1ff
	v_add_co_ci_u32_e64 v41, null, s11, v78, s1
	v_fma_f64 v[77:78], v[32:33], s[8:9], v[88:89]
	v_mov_b32_e32 v86, v1
	v_lshlrev_b64_e32 v[81:82], 3, v[81:82]
	v_fma_f64 v[57:58], v[63:64], v[57:58], s[22:23]
	s_delay_alu instid0(VALU_DEP_2) | instskip(SKIP_1) | instid1(VALU_DEP_3)
	v_add_co_u32 v81, s1, s10, v81
	s_wait_alu 0xf1ff
	v_add_co_ci_u32_e64 v82, null, s11, v82, s1
	v_fma_f64 v[87:88], v[53:54], v[90:91], 1.0
	global_store_b64 v[40:41], v[75:76], off
	v_mad_co_u64_u32 v[40:41], null, 0xffffffca, s33, v[85:86]
	v_mov_b32_e32 v41, v1
	v_lshlrev_b64_e32 v[85:86], 3, v[85:86]
	s_wait_alu 0xfffd
	v_cndmask_b32_e32 v0, 0x7ff00000, v74, vcc_lo
	v_fma_f64 v[74:75], v[61:62], v[92:93], s[28:29]
	global_store_b64 v[81:82], v[10:11], off
	v_lshlrev_b64_e32 v[10:11], 3, v[40:41]
	v_fma_f64 v[24:25], v[71:72], v[24:25], s[20:21]
	v_mul_f64_e32 v[41:42], s[14:15], v[26:27]
	v_add_co_u32 v81, s1, s10, v85
	s_wait_alu 0xf1ff
	v_add_co_ci_u32_e64 v82, null, s11, v86, s1
	v_cndmask_b32_e64 v86, 0, v0, s0
	s_and_b32 vcc_lo, s0, vcc_lo
	s_mov_b32 s0, 0x524b266f
	s_mov_b32 s1, 0x403bb53e
	v_fma_f64 v[83:84], v[69:70], v[83:84], s[30:31]
	v_fma_f64 v[91:92], v[79:80], s[18:19], s[16:17]
	s_wait_alu 0xfffe
	v_cndmask_b32_e32 v85, 0, v73, vcc_lo
	v_add_co_u32 v89, vcc_lo, s10, v10
	v_fma_f64 v[93:94], v[77:78], s[18:19], s[16:17]
	s_wait_alu 0xfffd
	v_add_co_ci_u32_e64 v90, null, s11, v11, vcc_lo
	v_fma_f64 v[57:58], v[63:64], v[57:58], s[24:25]
	v_add_nc_u32_e32 v0, s33, v40
	v_fma_f64 v[53:54], v[53:54], v[87:88], 1.0
	v_fma_f64 v[87:88], v[4:5], s[68:69], s[0:1]
	s_mov_b32 s0, 0xad96a6a0
	s_mov_b32 s1, 0xc08c9ed5
	v_fma_f64 v[73:74], v[61:62], v[74:75], s[30:31]
	v_fma_f64 v[75:76], v[71:72], v[24:25], s[22:23]
	v_rndne_f64_e32 v[10:11], v[41:42]
	v_mul_f64_e32 v[41:42], s[52:53], v[43:44]
	s_clause 0x1
	global_store_b64 v[81:82], v[41:42], off
	global_store_b64 v[89:90], v[85:86], off
	v_fma_f64 v[43:44], v[69:70], v[83:84], s[36:37]
	v_fma_f64 v[83:84], v[79:80], v[91:92], s[20:21]
	s_wait_alu 0xfffe
	v_fma_f64 v[24:25], v[2:3], s[0:1], v[87:88]
	v_fma_f64 v[57:58], v[63:64], v[57:58], s[26:27]
	;; [unrolled: 1-line block ×6, first 2 shown]
	s_mov_b32 s0, 0xc84f8f8a
	s_mov_b32 s1, 0x4031bdce
	v_lshlrev_b64_e32 v[40:41], 3, v[0:1]
	s_wait_alu 0xfffe
	v_fma_f64 v[87:88], v[4:5], s[48:49], s[0:1]
	s_mov_b32 s0, 0x88d7aa76
	s_mov_b32 s1, 0x403087bb
	v_add_nc_u32_e32 v0, s33, v0
	s_mov_b32 s49, 0xc014e147
	v_add_co_u32 v40, vcc_lo, s10, v40
	s_wait_alu 0xfffd
	v_add_co_ci_u32_e64 v41, null, s11, v41, vcc_lo
	v_lshlrev_b64_e32 v[89:90], 3, v[0:1]
	v_add_nc_u32_e32 v0, s33, v0
	global_store_b64 v[40:41], v[12:13], off
	v_add_co_u32 v12, vcc_lo, s10, v89
	v_lshlrev_b64_e32 v[40:41], 3, v[0:1]
	s_wait_alu 0xfffd
	v_add_co_ci_u32_e64 v13, null, s11, v90, vcc_lo
	v_add_nc_u32_e32 v0, s33, v0
	v_ldexp_f64 v[89:90], v[53:54], v7
	global_store_b64 v[12:13], v[16:17], off
	v_add_co_u32 v12, vcc_lo, s10, v40
	s_wait_alu 0xfffd
	v_add_co_ci_u32_e64 v13, null, s11, v41, vcc_lo
	v_fma_f64 v[81:82], v[79:80], v[83:84], s[22:23]
	v_mul_f64_e32 v[85:86], s[14:15], v[24:25]
	v_fma_f64 v[57:58], v[63:64], v[57:58], s[28:29]
	v_fma_f64 v[83:84], v[77:78], v[91:92], s[22:23]
	;; [unrolled: 1-line block ×6, first 2 shown]
	s_wait_alu 0xfffe
	v_fma_f64 v[75:76], v[4:5], s[72:73], s[0:1]
	s_mov_b32 s0, 0xe5c91d15
	s_mov_b32 s1, 0xc0b974a7
	v_cvt_i32_f64_e32 v44, v[49:50]
	s_wait_alu 0xfffe
	v_fma_f64 v[53:54], v[2:3], s[0:1], v[87:88]
	v_lshlrev_b64_e32 v[87:88], 3, v[0:1]
	v_cmp_ngt_f64_e64 s0, 0xc090cc00, v[30:31]
	v_add_nc_u32_e32 v0, s33, v0
	v_fma_f64 v[81:82], v[79:80], v[81:82], s[24:25]
	v_rndne_f64_e32 v[40:41], v[85:86]
	v_dual_mov_b32 v86, s7 :: v_dual_mov_b32 v85, s6
	v_fma_f64 v[57:58], v[63:64], v[57:58], s[30:31]
	v_fma_f64 v[83:84], v[77:78], v[83:84], s[24:25]
	v_fma_f64 v[91:92], v[61:62], v[91:92], 1.0
	v_fma_f64 v[42:43], v[69:70], v[42:43], 1.0
	global_store_b64 v[12:13], v[85:86], off
	v_add_co_u32 v12, vcc_lo, s10, v87
	s_wait_alu 0xfffd
	v_add_co_ci_u32_e64 v13, null, s11, v88, vcc_lo
	v_cmp_nlt_f64_e32 vcc_lo, 0x40900000, v[30:31]
	v_fma_f64 v[30:31], v[71:72], v[51:52], s[28:29]
	v_fma_f64 v[51:52], v[2:3], s[2:3], v[75:76]
	;; [unrolled: 1-line block ×3, first 2 shown]
	s_mov_b32 s2, 0x6a875d57
	s_mov_b32 s3, 0xc05bad4a
	global_store_b64 v[12:13], v[85:86], off
	s_mov_b32 s7, 0x42b5d3ef
	v_fma_f64 v[75:76], v[79:80], v[81:82], s[26:27]
	v_mul_f64_e32 v[81:82], s[14:15], v[53:54]
	v_fma_f64 v[55:56], v[63:64], v[57:58], s[36:37]
	v_fma_f64 v[57:58], v[77:78], v[83:84], s[26:27]
	v_fma_f64 v[83:84], v[61:62], v[91:92], 1.0
	v_fma_f64 v[42:43], v[69:70], v[42:43], 1.0
	v_fma_f64 v[69:70], v[40:41], s[12:13], v[24:25]
	s_wait_alu 0xfffd
	v_cndmask_b32_e32 v7, 0x7ff00000, v90, vcc_lo
	s_wait_alu 0xfffe
	v_mul_f64_e32 v[90:91], s[2:3], v[2:3]
	v_mul_f64_e32 v[49:50], s[14:15], v[51:52]
	v_fma_f64 v[12:13], v[71:72], v[30:31], s[30:31]
	v_fma_f64 v[30:31], v[73:74], v[87:88], s[20:21]
	s_and_b32 vcc_lo, s0, vcc_lo
	s_mov_b32 s2, 0x290fc3c2
	s_mov_b32 s3, 0x402e3161
	v_fma_f64 v[75:76], v[79:80], v[75:76], s[28:29]
	v_fma_f64 v[87:88], v[63:64], v[55:56], s[38:39]
	v_lshlrev_b64_e32 v[55:56], 3, v[0:1]
	v_add_nc_u32_e32 v0, s33, v0
	v_fma_f64 v[92:93], v[77:78], v[57:58], s[28:29]
	v_fma_f64 v[61:62], v[40:41], s[8:9], v[69:70]
	v_ldexp_f64 v[85:86], v[42:43], v15
	v_rndne_f64_e32 v[42:43], v[81:82]
	v_add_co_u32 v69, s1, s10, v55
	s_wait_alu 0xf1ff
	v_add_co_ci_u32_e64 v70, null, s11, v56, s1
	v_fma_f64 v[57:58], v[4:5], s[70:71], v[90:91]
	v_lshlrev_b64_e32 v[90:91], 3, v[0:1]
	s_wait_alu 0xfffe
	v_cndmask_b32_e32 v81, 0, v89, vcc_lo
	v_rndne_f64_e32 v[55:56], v[49:50]
	v_fma_f64 v[30:31], v[73:74], v[30:31], s[22:23]
	v_mov_b32_e32 v89, 0xdaac0000
	v_cndmask_b32_e64 v82, 0, v7, s0
	v_add_co_u32 v49, vcc_lo, s10, v90
	s_wait_alu 0xfffd
	v_add_co_ci_u32_e64 v50, null, s11, v91, vcc_lo
	v_cmp_nlt_f64_e32 vcc_lo, 0x40900000, v[36:37]
	v_mov_b32_e32 v90, 0x42bb6287
	s_clause 0x1
	global_store_b64 v[69:70], v[89:90], off
	global_store_b64 v[49:50], v[81:82], off
	v_cmp_ngt_f64_e64 s0, 0xc090cc00, v[36:37]
	v_fma_f64 v[12:13], v[71:72], v[12:13], s[36:37]
	v_cmp_nlt_f64_e64 s1, 0x40900000, v[28:29]
	v_ldexp_f64 v[83:84], v[83:84], v44
	v_add_nc_u32_e32 v0, s33, v0
	v_fma_f64 v[49:50], v[79:80], v[75:76], s[30:31]
	v_cvt_i32_f64_e32 v44, v[59:60]
	v_fma_f64 v[69:70], v[63:64], v[87:88], 1.0
	v_fma_f64 v[88:89], v[4:5], 2.0, s[2:3]
	v_cmp_ngt_f64_e64 s2, 0xc090cc00, v[28:29]
	v_fma_f64 v[36:37], v[77:78], v[92:93], s[30:31]
	v_fma_f64 v[75:76], v[61:62], s[18:19], s[16:17]
	;; [unrolled: 1-line block ×5, first 2 shown]
	s_wait_alu 0xfffd
	v_cndmask_b32_e32 v7, 0x7ff00000, v86, vcc_lo
	v_mul_f64_e32 v[86:87], s[14:15], v[57:58]
	s_and_b32 vcc_lo, s0, vcc_lo
	v_fma_f64 v[28:29], v[71:72], v[12:13], s[38:39]
	v_cndmask_b32_e64 v15, 0x7ff00000, v84, s1
	v_fma_f64 v[92:93], v[79:80], v[49:50], s[36:37]
	v_fma_f64 v[94:95], v[63:64], v[69:70], 1.0
	v_fma_f64 v[12:13], v[2:3], s[4:5], v[88:89]
	s_mov_b32 s4, 0xb295e9e2
	v_fma_f64 v[36:37], v[77:78], v[36:37], s[36:37]
	v_fma_f64 v[59:60], v[61:62], v[75:76], s[20:21]
	s_wait_alu 0xfffe
	v_cndmask_b32_e32 v75, 0, v85, vcc_lo
	v_fma_f64 v[49:50], v[42:43], s[8:9], v[81:82]
	v_lshlrev_b64_e32 v[81:82], 3, v[0:1]
	v_cndmask_b32_e64 v76, 0, v7, s0
	v_add_nc_u32_e32 v0, s33, v0
	v_cmp_ngt_f64_e64 s0, 0xc090cc00, v[34:35]
	v_cvt_i32_f64_e32 v7, v[65:66]
	s_mov_b32 s5, 0xc0dde0e4
	v_add_co_u32 v81, vcc_lo, s10, v81
	v_fma_f64 v[30:31], v[73:74], v[30:31], s[26:27]
	v_fma_f64 v[69:70], v[55:56], s[8:9], v[90:91]
	s_wait_alu 0xfffd
	v_add_co_ci_u32_e64 v82, null, s11, v82, vcc_lo
	s_and_b32 vcc_lo, s2, s1
	global_store_b64 v[81:82], v[75:76], off
	v_rndne_f64_e32 v[63:64], v[86:87]
	s_wait_alu 0xfffe
	v_cndmask_b32_e32 v81, 0, v83, vcc_lo
	v_lshlrev_b64_e32 v[75:76], 3, v[0:1]
	v_add_nc_u32_e32 v0, s33, v0
	v_cndmask_b32_e64 v82, 0, v15, s2
	s_mov_b32 s2, 0xd95a79c9
	s_mov_b32 s3, 0x403f5f99
	v_fma_f64 v[28:29], v[71:72], v[28:29], 1.0
	v_add_co_u32 v85, vcc_lo, s10, v75
	s_wait_alu 0xfffd
	v_add_co_ci_u32_e64 v86, null, s11, v76, vcc_lo
	v_fma_f64 v[83:84], v[79:80], v[92:93], s[38:39]
	v_cmp_nlt_f64_e32 vcc_lo, 0x40900000, v[34:35]
	v_ldexp_f64 v[87:88], v[94:95], v44
	v_mul_f64_e32 v[91:92], s[14:15], v[12:13]
	v_cvt_i32_f64_e32 v44, v[67:68]
	v_fma_f64 v[36:37], v[77:78], v[36:37], s[38:39]
	v_fma_f64 v[59:60], v[61:62], v[59:60], s[22:23]
	;; [unrolled: 1-line block ×6, first 2 shown]
	v_fma_f64 v[28:29], v[71:72], v[28:29], 1.0
	v_fma_f64 v[83:84], v[79:80], v[83:84], 1.0
	s_wait_alu 0xfffd
	v_cndmask_b32_e32 v15, 0x7ff00000, v88, vcc_lo
	v_rndne_f64_e32 v[71:72], v[91:92]
	s_and_b32 vcc_lo, s0, vcc_lo
	v_fma_f64 v[36:37], v[77:78], v[36:37], 1.0
	v_fma_f64 v[59:60], v[61:62], v[59:60], s[24:25]
	s_wait_alu 0xfffe
	v_cndmask_b32_e32 v87, 0, v87, vcc_lo
	v_fma_f64 v[95:96], v[49:50], v[75:76], s[20:21]
	v_cndmask_b32_e64 v88, 0, v15, s0
	v_cmp_ngt_f64_e64 s0, 0xc090cc00, v[38:39]
	v_fma_f64 v[91:92], v[69:70], v[93:94], s[20:21]
	v_cvt_i32_f64_e32 v93, v[32:33]
	v_fma_f64 v[75:76], v[63:64], s[8:9], v[89:90]
	v_fma_f64 v[89:90], v[73:74], v[30:31], s[30:31]
	v_lshlrev_b64_e32 v[30:31], 3, v[0:1]
	v_add_nc_u32_e32 v0, s33, v0
	v_ldexp_f64 v[28:29], v[28:29], v7
	v_fma_f64 v[34:35], v[79:80], v[83:84], 1.0
	v_fma_f64 v[67:68], v[71:72], s[12:13], v[12:13]
	v_fma_f64 v[36:37], v[77:78], v[36:37], 1.0
	v_add_co_u32 v77, s1, s10, v30
	s_wait_alu 0xf1ff
	v_add_co_ci_u32_e64 v78, null, s11, v31, s1
	v_fma_f64 v[30:31], v[2:3], s[4:5], s[2:3]
	v_fma_f64 v[32:33], v[61:62], v[59:60], s[26:27]
	;; [unrolled: 1-line block ×3, first 2 shown]
	s_clause 0x1
	global_store_b64 v[85:86], v[81:82], off
	global_store_b64 v[77:78], v[20:21], off
	v_cmp_ngt_f64_e64 s2, 0xc090cc00, v[47:48]
	s_mov_b32 s4, 0xb196e661
	s_mov_b32 s5, 0x403c52fc
	v_fma_f64 v[83:84], v[69:70], v[91:92], s[22:23]
	v_fma_f64 v[65:66], v[75:76], s[18:19], s[16:17]
	;; [unrolled: 1-line block ×3, first 2 shown]
	v_ldexp_f64 v[89:90], v[34:35], v44
	v_lshlrev_b64_e32 v[34:35], 3, v[0:1]
	v_add_nc_u32_e32 v0, s33, v0
	v_ldexp_f64 v[36:37], v[36:37], v93
	s_delay_alu instid0(VALU_DEP_2) | instskip(SKIP_4) | instid1(VALU_DEP_4)
	v_lshlrev_b64_e32 v[20:21], 3, v[0:1]
	v_add_nc_u32_e32 v0, s33, v0
	v_add_co_u32 v34, vcc_lo, s10, v34
	s_wait_alu 0xfffd
	v_add_co_ci_u32_e64 v35, null, s11, v35, vcc_lo
	v_add_co_u32 v81, vcc_lo, s10, v20
	s_wait_alu 0xfffd
	v_add_co_ci_u32_e64 v82, null, s11, v21, vcc_lo
	v_lshlrev_b64_e32 v[20:21], 3, v[0:1]
	v_cmp_nlt_f64_e32 vcc_lo, 0x40900000, v[38:39]
	v_fma_f64 v[59:60], v[49:50], v[59:60], s[24:25]
	v_fma_f64 v[32:33], v[61:62], v[32:33], s[28:29]
	v_add_nc_u32_e32 v0, s33, v0
	global_store_b64 v[34:35], v[87:88], off
	v_add_co_u32 v38, s1, s10, v20
	s_wait_alu 0xf1ff
	v_add_co_ci_u32_e64 v39, null, s11, v21, s1
	v_fma_f64 v[91:92], v[75:76], v[65:66], s[20:21]
	v_fma_f64 v[65:66], v[71:72], s[8:9], v[67:68]
	v_mul_f64_e32 v[67:68], s[14:15], v[30:31]
	v_fma_f64 v[77:78], v[73:74], v[79:80], s[38:39]
	v_cmp_nlt_f64_e64 s1, 0x40900000, v[47:48]
	v_fma_f64 v[79:80], v[69:70], v[83:84], s[24:25]
	v_mov_b32_e32 v83, 0xe4010000
	v_mov_b32_e32 v84, 0x42d489e5
	v_bfrev_b32_e32 v47, 42
	v_mov_b32_e32 v48, 0x4256d141
	s_clause 0x1
	global_store_b64 v[81:82], v[83:84], off
	global_store_b64 v[38:39], v[47:48], off
	s_wait_alu 0xfffe
	v_fma_f64 v[34:35], v[2:3], s[46:47], s[4:5]
	v_mov_b32_e32 v93, 0x42d476b0
	s_mov_b32 s4, 0x7d7a7f22
	v_mul_f64_e32 v[85:86], s[52:53], v[36:37]
	v_fma_f64 v[36:37], v[2:3], s[66:67], v[18:19]
	v_lshlrev_b64_e32 v[18:19], 3, v[0:1]
	v_add_nc_u32_e32 v0, s33, v0
	s_mov_b32 s5, 0x4036e2f7
	s_delay_alu instid0(VALU_DEP_1) | instskip(SKIP_1) | instid1(VALU_DEP_4)
	v_lshlrev_b64_e32 v[38:39], 3, v[0:1]
	v_add_nc_u32_e32 v0, s33, v0
	v_add_co_u32 v18, s3, s10, v18
	s_wait_alu 0xfffd
	v_cndmask_b32_e32 v7, 0x7ff00000, v29, vcc_lo
	s_and_b32 vcc_lo, s0, vcc_lo
	v_fma_f64 v[59:60], v[49:50], v[59:60], s[26:27]
	v_fma_f64 v[32:33], v[61:62], v[32:33], s[30:31]
	v_add_co_ci_u32_e64 v19, null, s11, v19, s3
	v_fma_f64 v[87:88], v[75:76], v[91:92], s[22:23]
	v_mov_b32_e32 v92, 0x81e80000
	v_rndne_f64_e32 v[20:21], v[67:68]
	v_fma_f64 v[67:68], v[73:74], v[77:78], 1.0
	s_wait_alu 0xfffe
	v_cndmask_b32_e32 v77, 0, v28, vcc_lo
	v_lshlrev_b64_e32 v[28:29], 3, v[0:1]
	v_add_co_u32 v38, vcc_lo, s10, v38
	s_wait_alu 0xfffd
	v_add_co_ci_u32_e64 v39, null, s11, v39, vcc_lo
	s_and_b32 vcc_lo, s2, s1
	v_fma_f64 v[47:48], v[69:70], v[79:80], s[26:27]
	s_wait_alu 0xfffe
	v_cndmask_b32_e32 v79, 0, v89, vcc_lo
	v_add_co_u32 v81, vcc_lo, s10, v28
	v_cndmask_b32_e64 v15, 0x7ff00000, v90, s1
	v_fma_f64 v[90:91], v[65:66], s[18:19], s[16:17]
	s_wait_alu 0xfffd
	v_add_co_ci_u32_e64 v82, null, s11, v29, vcc_lo
	v_cmp_nlt_f64_e32 vcc_lo, 0x40900000, v[45:46]
	v_cndmask_b32_e64 v78, 0, v7, s0
	v_cmp_ngt_f64_e64 s0, 0xc090cc00, v[45:46]
	v_cndmask_b32_e64 v80, 0, v15, s2
	s_mov_b32 s2, 0xe92ba824
	s_mov_b32 s3, 0x403ea072
	v_cvt_i32_f64_e32 v15, v[10:11]
	s_wait_alu 0xfffe
	v_fma_f64 v[28:29], v[2:3], s[60:61], s[2:3]
	v_mov_b32_e32 v10, 0x1e900000
	v_dual_mov_b32 v11, 0x42b6bcc4 :: v_dual_add_nc_u32 v0, s33, v0
	s_mov_b32 s2, 0x595d6968
	v_fma_f64 v[44:45], v[49:50], v[59:60], s[28:29]
	v_fma_f64 v[32:33], v[61:62], v[32:33], s[36:37]
	global_store_b64 v[18:19], v[10:11], off
	v_lshlrev_b64_e32 v[18:19], 3, v[0:1]
	s_clause 0x1
	global_store_b64 v[38:39], v[77:78], off
	global_store_b64 v[81:82], v[79:80], off
	s_mov_b32 s3, 0x4028aa58
	v_add_nc_u32_e32 v0, s33, v0
	v_fma_f64 v[59:60], v[75:76], v[87:88], s[24:25]
	v_mul_f64_e32 v[88:89], s[14:15], v[34:35]
	v_add_co_u32 v38, s1, s10, v18
	s_wait_alu 0xf1ff
	v_add_co_ci_u32_e64 v39, null, s11, v19, s1
	v_fma_f64 v[67:68], v[73:74], v[67:68], 1.0
	v_lshlrev_b64_e32 v[77:78], 3, v[0:1]
	v_add_nc_u32_e32 v0, s33, v0
	v_cvt_i32_f64_e32 v11, v[40:41]
	v_fma_f64 v[73:74], v[69:70], v[47:48], s[28:29]
	s_delay_alu instid0(VALU_DEP_4)
	v_add_co_u32 v77, s1, s10, v77
	s_wait_alu 0xf1ff
	v_add_co_ci_u32_e64 v78, null, s11, v78, s1
	v_fma_f64 v[83:84], v[65:66], v[90:91], s[20:21]
	v_mul_f64_e32 v[90:91], s[14:15], v[36:37]
	s_wait_alu 0xfffd
	v_cndmask_b32_e32 v7, 0x7ff00000, v86, vcc_lo
	v_fma_f64 v[86:87], v[20:21], s[12:13], v[30:31]
	s_and_b32 vcc_lo, s0, vcc_lo
	s_clause 0x1
	global_store_b64 v[38:39], v[22:23], off
	global_store_b64 v[77:78], v[92:93], off
	v_fma_f64 v[79:80], v[49:50], v[44:45], s[30:31]
	v_fma_f64 v[32:33], v[61:62], v[32:33], s[38:39]
	;; [unrolled: 1-line block ×3, first 2 shown]
	v_rndne_f64_e32 v[46:47], v[88:89]
	s_wait_alu 0xfffe
	v_cndmask_b32_e32 v88, 0, v85, vcc_lo
	v_cndmask_b32_e64 v89, 0, v7, s0
	s_mov_b32 s0, 0xe5215769
	s_mov_b32 s1, 0xc0b21597
	v_ldexp_f64 v[67:68], v[67:68], v15
	v_fma_f64 v[73:74], v[69:70], v[73:74], s[30:31]
	v_fma_f64 v[81:82], v[65:66], v[83:84], s[22:23]
	v_rndne_f64_e32 v[44:45], v[90:91]
	v_mul_f64_e32 v[83:84], s[14:15], v[28:29]
	v_fma_f64 v[18:19], v[20:21], s[8:9], v[86:87]
	v_fma_f64 v[86:87], v[4:5], 2.0, s[2:3]
	v_lshlrev_b64_e32 v[90:91], 3, v[0:1]
	v_add_nc_u32_e32 v0, s33, v0
	s_mov_b32 s2, 0xa83e781
	s_mov_b32 s3, 0x404465b3
	s_delay_alu instid0(VALU_DEP_2)
	v_add_co_u32 v90, vcc_lo, s10, v90
	s_wait_alu 0xfffd
	v_add_co_ci_u32_e64 v91, null, s11, v91, vcc_lo
	v_fma_f64 v[38:39], v[49:50], v[79:80], s[36:37]
	v_fma_f64 v[22:23], v[61:62], v[32:33], 1.0
	global_store_b64 v[90:91], v[88:89], off
	v_fma_f64 v[77:78], v[75:76], v[59:60], s[28:29]
	v_fma_f64 v[92:93], v[46:47], s[12:13], v[34:35]
	;; [unrolled: 1-line block ×5, first 2 shown]
	v_rndne_f64_e32 v[59:60], v[83:84]
	v_fma_f64 v[90:91], v[18:19], s[18:19], s[16:17]
	s_wait_alu 0xfffe
	v_fma_f64 v[32:33], v[2:3], s[0:1], v[86:87]
	v_lshlrev_b64_e32 v[81:82], 3, v[0:1]
	v_add_nc_u32_e32 v0, s82, v0
	v_cmp_ngt_f64_e64 s0, 0xc090cc00, v[26:27]
	s_delay_alu instid0(VALU_DEP_3) | instskip(NEXT) | instid1(VALU_DEP_3)
	v_add_co_u32 v81, vcc_lo, s10, v81
	v_lshlrev_b64_e32 v[83:84], 3, v[0:1]
	s_wait_alu 0xfffd
	v_add_co_ci_u32_e64 v82, null, s11, v82, vcc_lo
	v_fma_f64 v[38:39], v[49:50], v[38:39], s[38:39]
	v_add_nc_u32_e32 v0, s33, v0
	global_store_b64 v[81:82], v[88:89], off
	v_add_co_u32 v81, vcc_lo, s10, v83
	s_wait_alu 0xfffd
	v_add_co_ci_u32_e64 v82, null, s11, v84, vcc_lo
	v_cmp_nlt_f64_e32 vcc_lo, 0x40900000, v[26:27]
	v_bfrev_b32_e32 v26, 60
	v_mov_b32_e32 v27, 0x42404c53
	v_fma_f64 v[40:41], v[75:76], v[77:78], s[30:31]
	global_store_b64 v[81:82], v[26:27], off
	v_fma_f64 v[81:82], v[61:62], v[22:23], 1.0
	v_fma_f64 v[61:62], v[46:47], s[8:9], v[92:93]
	v_lshlrev_b64_e32 v[26:27], 3, v[0:1]
	v_add_nc_u32_e32 v0, s33, v0
	v_fma_f64 v[77:78], v[65:66], v[79:80], s[26:27]
	v_fma_f64 v[22:23], v[44:45], s[8:9], v[94:95]
	v_fma_f64 v[85:86], v[59:60], s[12:13], v[28:29]
	v_fma_f64 v[83:84], v[18:19], v[90:91], s[20:21]
	v_mul_f64_e32 v[87:88], s[14:15], v[32:33]
	v_fma_f64 v[91:92], v[4:5], s[42:43], s[2:3]
	v_add_co_u32 v26, s1, s10, v26
	s_wait_alu 0xf1ff
	v_add_co_ci_u32_e64 v27, null, s11, v27, s1
	v_bfrev_b32_e32 v79, 11
	v_mov_b32_e32 v80, 0x4210c388
	s_mov_b32 s2, 0x63dc486b
	s_mov_b32 s3, 0xc0ae4589
	v_fma_f64 v[89:90], v[69:70], v[73:74], s[38:39]
	s_mov_b32 s42, 0xe8427419
	global_store_b64 v[26:27], v[79:80], off
	v_lshlrev_b64_e32 v[26:27], 3, v[0:1]
	v_fma_f64 v[79:80], v[49:50], v[38:39], 1.0
	v_add_nc_u32_e32 v0, s33, v0
	s_mov_b32 s43, 0xc07ea220
	s_wait_alu 0xfffd
	v_cndmask_b32_e32 v7, 0x7ff00000, v68, vcc_lo
	s_and_b32 vcc_lo, s0, vcc_lo
	s_wait_alu 0xfffe
	v_cndmask_b32_e32 v67, 0, v67, vcc_lo
	v_add_co_u32 v26, vcc_lo, s10, v26
	v_cndmask_b32_e64 v68, 0, v7, s0
	s_mov_b32 s0, 0x496249a1
	s_mov_b32 s1, 0x403a85b9
	s_wait_alu 0xfffd
	v_add_co_ci_u32_e64 v27, null, s11, v27, vcc_lo
	s_wait_alu 0xfffe
	v_fma_f64 v[38:39], v[2:3], s[2:3], s[0:1]
	s_mov_b32 s0, 0x9f40a287
	s_mov_b32 s1, 0xc088d8a8
	v_fma_f64 v[77:78], v[65:66], v[77:78], s[28:29]
	global_store_b64 v[26:27], v[67:68], off
	v_ldexp_f64 v[26:27], v[81:82], v11
	v_fma_f64 v[83:84], v[18:19], v[83:84], s[22:23]
	v_fma_f64 v[81:82], v[75:76], v[40:41], s[36:37]
	;; [unrolled: 1-line block ×5, first 2 shown]
	v_rndne_f64_e32 v[67:68], v[87:88]
	s_wait_alu 0xfffe
	v_fma_f64 v[40:41], v[2:3], s[0:1], v[91:92]
	v_cmp_nlt_f64_e32 vcc_lo, 0x40900000, v[24:25]
	v_cvt_i32_f64_e32 v11, v[42:43]
	v_cmp_ngt_f64_e64 s0, 0xc090cc00, v[24:25]
	v_cmp_nlt_f64_e64 s1, 0x40900000, v[53:54]
	v_fma_f64 v[85:86], v[69:70], v[89:90], 1.0
	v_cmp_ngt_f64_e64 s2, 0xc090cc00, v[53:54]
	v_fma_f64 v[48:49], v[49:50], v[79:80], 1.0
	v_mul_f64_e32 v[79:80], s[14:15], v[38:39]
	v_fma_f64 v[24:25], v[65:66], v[77:78], s[30:31]
	v_fma_f64 v[77:78], v[18:19], v[83:84], s[24:25]
	;; [unrolled: 1-line block ×7, first 2 shown]
	v_mul_f64_e32 v[91:92], s[14:15], v[40:41]
	s_wait_alu 0xfffd
	v_cndmask_b32_e32 v7, 0x7ff00000, v27, vcc_lo
	v_cvt_i32_f64_e32 v27, v[63:64]
	s_and_b32 vcc_lo, s0, vcc_lo
	v_fma_f64 v[85:86], v[69:70], v[85:86], 1.0
	s_wait_alu 0xfffe
	v_cndmask_b32_e32 v26, 0, v26, vcc_lo
	v_cmp_nlt_f64_e32 vcc_lo, 0x40900000, v[51:52]
	v_ldexp_f64 v[93:94], v[48:49], v11
	v_cvt_i32_f64_e32 v11, v[55:56]
	v_rndne_f64_e32 v[48:49], v[79:80]
	v_fma_f64 v[24:25], v[65:66], v[24:25], s[36:37]
	v_fma_f64 v[77:78], v[18:19], v[77:78], s[26:27]
	v_fma_f64 v[95:96], v[75:76], v[42:43], 1.0
	v_fma_f64 v[79:80], v[61:62], v[81:82], s[22:23]
	v_fma_f64 v[81:82], v[22:23], v[83:84], s[22:23]
	;; [unrolled: 1-line block ×4, first 2 shown]
	v_rndne_f64_e32 v[42:43], v[91:92]
	v_cndmask_b32_e64 v15, 0x7ff00000, v94, s1
	s_and_b32 s1, s2, s1
	v_ldexp_f64 v[85:86], v[85:86], v11
	v_cvt_i32_f64_e32 v11, v[71:72]
	v_fma_f64 v[55:56], v[48:49], s[12:13], v[38:39]
	v_fma_f64 v[24:25], v[65:66], v[24:25], s[38:39]
	;; [unrolled: 1-line block ×3, first 2 shown]
	v_fma_f64 v[75:76], v[75:76], v[95:96], 1.0
	v_fma_f64 v[77:78], v[61:62], v[79:80], s[24:25]
	v_fma_f64 v[79:80], v[22:23], v[81:82], s[24:25]
	;; [unrolled: 1-line block ×6, first 2 shown]
	v_fma_f64 v[24:25], v[65:66], v[24:25], 1.0
	v_fma_f64 v[87:88], v[18:19], v[53:54], s[30:31]
	v_fma_f64 v[77:78], v[61:62], v[77:78], s[26:27]
	;; [unrolled: 1-line block ×6, first 2 shown]
	v_ldexp_f64 v[63:64], v[75:76], v27
	v_cndmask_b32_e64 v27, 0, v7, s0
	v_cmp_ngt_f64_e64 s0, 0xc090cc00, v[51:52]
	v_lshlrev_b64_e32 v[50:51], 3, v[0:1]
	v_add_nc_u32_e32 v0, s33, v0
	s_wait_alu 0xfffd
	v_cndmask_b32_e32 v7, 0x7ff00000, v86, vcc_lo
	s_delay_alu instid0(VALU_DEP_3)
	v_add_co_u32 v50, s3, s10, v50
	s_wait_alu 0xf1ff
	v_add_co_ci_u32_e64 v51, null, s11, v51, s3
	global_store_b64 v[50:51], v[26:27], off
	s_wait_alu 0xfffe
	v_cndmask_b32_e64 v50, 0, v93, s1
	v_cmp_nlt_f64_e64 s1, 0x40900000, v[57:58]
	v_cndmask_b32_e64 v51, 0, v15, s2
	v_cmp_ngt_f64_e64 s2, 0xc090cc00, v[57:58]
	v_lshlrev_b64_e32 v[26:27], 3, v[0:1]
	v_add_nc_u32_e32 v0, s33, v0
	v_fma_f64 v[71:72], v[55:56], s[18:19], s[16:17]
	s_delay_alu instid0(VALU_DEP_3)
	v_add_co_u32 v57, s3, s10, v26
	v_fma_f64 v[24:25], v[65:66], v[24:25], 1.0
	s_wait_alu 0xf1ff
	v_add_co_ci_u32_e64 v58, null, s11, v27, s3
	v_fma_f64 v[65:66], v[18:19], v[87:88], s[36:37]
	v_fma_f64 v[75:76], v[61:62], v[77:78], s[28:29]
	;; [unrolled: 1-line block ×7, first 2 shown]
	v_lshlrev_b64_e32 v[87:88], 3, v[0:1]
	v_add_nc_u32_e32 v0, s33, v0
	s_and_b32 vcc_lo, s0, vcc_lo
	v_cndmask_b32_e64 v86, 0, v7, s0
	s_wait_alu 0xfffe
	v_cndmask_b32_e32 v85, 0, v85, vcc_lo
	global_store_b64 v[57:58], v[50:51], off
	v_lshlrev_b64_e32 v[50:51], 3, v[0:1]
	v_add_nc_u32_e32 v0, s33, v0
	s_mov_b32 s4, 0x2c3bc82d
	s_mov_b32 s5, 0x40328f79
	v_cndmask_b32_e64 v15, 0x7ff00000, v64, s1
	s_delay_alu instid0(VALU_DEP_1)
	v_cndmask_b32_e64 v58, 0, v15, s2
	v_ldexp_f64 v[89:90], v[24:25], v11
	v_fma_f64 v[24:25], v[18:19], v[65:66], s[38:39]
	v_fma_f64 v[64:65], v[55:56], v[71:72], s[20:21]
	;; [unrolled: 1-line block ×7, first 2 shown]
	v_add_co_u32 v83, vcc_lo, s10, v87
	s_wait_alu 0xfffd
	v_add_co_ci_u32_e64 v84, null, s11, v88, vcc_lo
	s_and_b32 vcc_lo, s2, s1
	s_wait_alu 0xfffe
	v_fma_f64 v[87:88], v[4:5], s[62:63], s[4:5]
	v_cndmask_b32_e32 v57, 0, v63, vcc_lo
	global_store_b64 v[83:84], v[85:86], off
	v_lshlrev_b64_e32 v[83:84], 3, v[0:1]
	v_add_co_u32 v50, vcc_lo, s10, v50
	s_wait_alu 0xfffd
	v_add_co_ci_u32_e64 v51, null, s11, v51, vcc_lo
	s_mov_b32 s0, 0x69c23b79
	s_mov_b32 s2, 0x6d50657
	;; [unrolled: 1-line block ×6, first 2 shown]
	v_mul_f64_e32 v[92:93], 0x41724f80, v[57:58]
	v_mul_f64_e32 v[57:58], 0x41177000, v[57:58]
	v_add_nc_u32_e32 v0, s33, v0
	s_mov_b32 s63, 0x3ffa6666
	v_fma_f64 v[85:86], v[18:19], v[24:25], 1.0
	v_fma_f64 v[63:64], v[55:56], v[64:65], s[22:23]
	v_add_co_u32 v65, vcc_lo, s10, v83
	s_wait_alu 0xfffd
	v_add_co_ci_u32_e64 v66, null, s11, v84, vcc_lo
	v_cmp_nlt_f64_e32 vcc_lo, 0x40900000, v[12:13]
	v_fma_f64 v[75:76], v[22:23], v[75:76], s[36:37]
	v_fma_f64 v[77:78], v[73:74], v[77:78], s[30:31]
	;; [unrolled: 1-line block ×5, first 2 shown]
	v_mul_f64_e32 v[83:84], s[14:15], v[26:27]
	s_wait_alu 0xfffe
	v_fma_f64 v[24:25], v[2:3], s[0:1], v[87:88]
	v_fma_f64 v[87:88], v[4:5], s[44:45], s[2:3]
	s_mov_b32 s2, 0x385e155f
	s_mov_b32 s3, 0x402e28c6
	v_cmp_ngt_f64_e64 s0, 0xc090cc00, v[12:13]
	v_cvt_i32_f64_e32 v13, v[20:21]
	s_clause 0x1
	global_store_b64 v[50:51], v[92:93], off
	global_store_b64 v[65:66], v[57:58], off
	v_lshlrev_b64_e32 v[57:58], 3, v[0:1]
	v_add_nc_u32_e32 v0, s33, v0
	v_fma_f64 v[85:86], v[18:19], v[85:86], 1.0
	v_fma_f64 v[63:64], v[55:56], v[63:64], s[24:25]
	s_wait_alu 0xfffd
	v_cndmask_b32_e32 v7, 0x7ff00000, v90, vcc_lo
	s_wait_alu 0xfffe
	v_fma_f64 v[90:91], v[4:5], s[4:5], s[2:3]
	v_fma_f64 v[20:21], v[22:23], v[75:76], s[38:39]
	;; [unrolled: 1-line block ×6, first 2 shown]
	v_rndne_f64_e32 v[71:72], v[83:84]
	s_mov_b32 s2, 0xdd82fd7
	s_mov_b32 s3, 0xc0a65e9b
	v_mul_f64_e32 v[81:82], s[14:15], v[24:25]
	s_wait_alu 0xfffe
	v_fma_f64 v[11:12], v[2:3], s[2:3], v[87:88]
	s_mov_b32 s2, 0xa8fc0d2c
	s_mov_b32 s3, 0xc07b5cc6
	s_and_b32 vcc_lo, s0, vcc_lo
	s_mov_b32 s4, 0x7683141c
	s_mov_b32 s5, 0x4049903d
	v_ldexp_f64 v[85:86], v[85:86], v13
	v_fma_f64 v[50:51], v[55:56], v[63:64], s[26:27]
	v_cndmask_b32_e64 v64, 0, v7, s0
	s_mov_b32 s0, 0x176f885
	s_mov_b32 s1, 0x403f51e5
	s_wait_alu 0xfffe
	v_cndmask_b32_e32 v63, 0, v89, vcc_lo
	v_add_co_u32 v87, vcc_lo, s10, v57
	v_fma_f64 v[18:19], v[2:3], s[2:3], v[90:91]
	s_mov_b32 s2, 0x820e6299
	s_mov_b32 s3, 0x40714c4e
	v_fma_f64 v[89:90], v[22:23], v[20:21], 1.0
	v_fma_f64 v[79:80], v[53:54], v[79:80], s[26:27]
	s_wait_alu 0xfffe
	v_fma_f64 v[20:21], v[2:3], s[2:3], s[0:1]
	v_fma_f64 v[83:84], v[61:62], v[94:95], 1.0
	s_wait_alu 0xfffd
	v_add_co_ci_u32_e64 v88, null, s11, v58, vcc_lo
	v_fma_f64 v[57:58], v[71:72], s[12:13], v[26:27]
	v_rndne_f64_e32 v[65:66], v[81:82]
	s_mov_b32 s0, 0x4ef60759
	s_mov_b32 s1, 0x402f42bb
	v_cvt_i32_f64_e32 v7, v[46:47]
	s_wait_alu 0xfffe
	v_fma_f64 v[95:96], v[4:5], s[40:41], s[0:1]
	v_cvt_i32_f64_e32 v13, v[44:45]
	v_cmp_nlt_f64_e32 vcc_lo, 0x40900000, v[30:31]
	v_cmp_ngt_f64_e64 s0, 0xc090cc00, v[30:31]
	v_fma_f64 v[75:76], v[73:74], v[75:76], s[38:39]
	v_fma_f64 v[91:92], v[69:70], v[77:78], s[30:31]
	v_mul_f64_e32 v[81:82], s[14:15], v[11:12]
	s_mov_b32 s2, 0x3ae685db
	s_mov_b32 s3, 0xc0b48a9d
	global_store_b64 v[87:88], v[63:64], off
	v_cmp_nlt_f64_e64 s1, 0x40900000, v[36:37]
	s_mov_b32 s40, 0x51eb851f
	s_mov_b32 s41, 0xc0031eb8
	v_fma_f64 v[50:51], v[55:56], v[50:51], s[28:29]
	v_mul_f64_e32 v[93:94], s[14:15], v[18:19]
	v_fma_f64 v[46:47], v[22:23], v[89:90], 1.0
	v_fma_f64 v[44:45], v[53:54], v[79:80], s[28:29]
	v_mul_f64_e32 v[30:31], s[14:15], v[20:21]
	v_fma_f64 v[83:84], v[61:62], v[83:84], 1.0
	v_fma_f64 v[77:78], v[71:72], s[8:9], v[57:58]
	v_fma_f64 v[79:80], v[65:66], s[12:13], v[24:25]
	s_wait_alu 0xfffe
	v_fma_f64 v[22:23], v[2:3], s[2:3], v[95:96]
	v_cmp_ngt_f64_e64 s2, 0xc090cc00, v[36:37]
	s_wait_alu 0xfffd
	v_cndmask_b32_e32 v15, 0x7ff00000, v86, vcc_lo
	s_and_b32 vcc_lo, s0, vcc_lo
	v_fma_f64 v[89:90], v[73:74], v[75:76], 1.0
	s_wait_alu 0xfffe
	v_cndmask_b32_e32 v85, 0, v85, vcc_lo
	v_fma_f64 v[91:92], v[69:70], v[91:92], s[36:37]
	v_rndne_f64_e32 v[61:62], v[81:82]
	v_cndmask_b32_e64 v86, 0, v15, s0
	v_cmp_ngt_f64_e64 s0, 0xc090cc00, v[34:35]
	v_fma_f64 v[50:51], v[55:56], v[50:51], s[30:31]
	v_rndne_f64_e32 v[57:58], v[93:94]
	v_ldexp_f64 v[93:94], v[46:47], v13
	v_fma_f64 v[46:47], v[53:54], v[44:45], s[30:31]
	v_rndne_f64_e32 v[44:45], v[30:31]
	v_lshlrev_b64_e32 v[30:31], 3, v[0:1]
	v_ldexp_f64 v[81:82], v[83:84], v7
	v_cvt_i32_f64_e32 v7, v[59:60]
	v_fma_f64 v[83:84], v[77:78], s[18:19], s[16:17]
	v_fma_f64 v[75:76], v[65:66], s[8:9], v[79:80]
	v_add_nc_u32_e32 v0, s33, v0
	v_add_co_u32 v30, vcc_lo, s10, v30
	s_wait_alu 0xfffd
	v_add_co_ci_u32_e64 v31, null, s11, v31, vcc_lo
	v_cmp_nlt_f64_e32 vcc_lo, 0x40900000, v[34:35]
	v_mul_f64_e32 v[87:88], s[14:15], v[22:23]
	v_fma_f64 v[73:74], v[73:74], v[89:90], 1.0
	global_store_b64 v[30:31], v[85:86], off
	v_fma_f64 v[79:80], v[69:70], v[91:92], s[38:39]
	v_fma_f64 v[59:60], v[61:62], s[12:13], v[11:12]
	v_lshlrev_b64_e32 v[85:86], 3, v[0:1]
	v_add_nc_u32_e32 v0, s33, v0
	v_fma_f64 v[50:51], v[55:56], v[50:51], s[36:37]
	v_fma_f64 v[89:90], v[57:58], s[12:13], v[18:19]
	v_cndmask_b32_e64 v15, 0x7ff00000, v94, s1
	v_fma_f64 v[36:37], v[53:54], v[46:47], s[36:37]
	s_and_b32 s1, s2, s1
	v_fma_f64 v[46:47], v[75:76], s[18:19], s[16:17]
	s_wait_alu 0xfffd
	v_cndmask_b32_e32 v13, 0x7ff00000, v82, vcc_lo
	v_fma_f64 v[82:83], v[77:78], v[83:84], s[20:21]
	v_rndne_f64_e32 v[34:35], v[87:88]
	s_and_b32 vcc_lo, s0, vcc_lo
	v_fma_f64 v[79:80], v[69:70], v[79:80], 1.0
	v_fma_f64 v[63:64], v[61:62], s[8:9], v[59:60]
	s_wait_alu 0xfffe
	v_cndmask_b32_e32 v81, 0, v81, vcc_lo
	v_add_co_u32 v85, vcc_lo, s10, v85
	v_fma_f64 v[87:88], v[4:5], s[40:41], s[4:5]
	s_wait_alu 0xfffd
	v_add_co_ci_u32_e64 v86, null, s11, v86, vcc_lo
	v_ldexp_f64 v[73:74], v[73:74], v7
	v_cmp_nlt_f64_e32 vcc_lo, 0x40900000, v[28:29]
	v_cvt_i32_f64_e32 v7, v[67:68]
	v_fma_f64 v[50:51], v[55:56], v[50:51], s[38:39]
	s_mov_b32 s4, 0xb7564303
	s_mov_b32 s5, 0xc099a35a
	v_fma_f64 v[59:60], v[57:58], s[8:9], v[89:90]
	v_fma_f64 v[89:90], v[44:45], s[12:13], v[20:21]
	;; [unrolled: 1-line block ×5, first 2 shown]
	v_cndmask_b32_e64 v82, 0, v13, s0
	v_cmp_ngt_f64_e64 s0, 0xc090cc00, v[28:29]
	v_fma_f64 v[69:70], v[69:70], v[79:80], 1.0
	v_fma_f64 v[67:68], v[63:64], s[18:19], s[16:17]
	v_lshlrev_b64_e32 v[28:29], 3, v[0:1]
	global_store_b64 v[85:86], v[81:82], off
	v_fma_f64 v[81:82], v[34:35], s[12:13], v[22:23]
	v_cndmask_b32_e64 v85, 0, v93, s1
	v_cndmask_b32_e64 v86, 0, v15, s2
	s_mov_b32 s2, 0x4e8ed94c
	v_add_co_u32 v28, s1, s10, v28
	v_fma_f64 v[50:51], v[55:56], v[50:51], 1.0
	s_wait_alu 0xf1ff
	v_add_co_ci_u32_e64 v29, null, s11, v29, s1
	s_mov_b32 s3, 0x403e3802
	v_add_nc_u32_e32 v0, s33, v0
	s_wait_alu 0xfffd
	v_cndmask_b32_e32 v13, 0x7ff00000, v74, vcc_lo
	global_store_b64 v[28:29], v[85:86], off
	v_fma_f64 v[79:80], v[59:60], s[18:19], s[16:17]
	v_fma_f64 v[46:47], v[44:45], s[8:9], v[89:90]
	v_cvt_i32_f64_e32 v15, v[42:43]
	v_fma_f64 v[36:37], v[53:54], v[36:37], 1.0
	v_fma_f64 v[89:90], v[77:78], v[30:31], s[24:25]
	v_fma_f64 v[83:84], v[75:76], v[83:84], s[22:23]
	s_wait_alu 0xfffe
	v_fma_f64 v[30:31], v[2:3], s[4:5], s[2:3]
	s_mov_b32 s2, 0x5bea0ba2
	s_mov_b32 s3, 0xc0b5f9f6
	s_and_b32 vcc_lo, s0, vcc_lo
	s_wait_alu 0xfffe
	v_fma_f64 v[28:29], v[2:3], s[2:3], v[87:88]
	v_lshlrev_b64_e32 v[87:88], 3, v[0:1]
	v_cndmask_b32_e32 v73, 0, v73, vcc_lo
	v_fma_f64 v[67:68], v[63:64], v[67:68], s[20:21]
	v_add_nc_u32_e32 v0, s33, v0
	v_ldexp_f64 v[69:70], v[69:70], v7
	v_cvt_i32_f64_e32 v7, v[48:49]
	v_cndmask_b32_e64 v74, 0, v13, s0
	v_fma_f64 v[55:56], v[55:56], v[50:51], 1.0
	v_fma_f64 v[50:51], v[34:35], s[8:9], v[81:82]
	v_add_co_u32 v81, vcc_lo, s10, v87
	s_wait_alu 0xfffd
	v_add_co_ci_u32_e64 v82, null, s11, v88, vcc_lo
	v_lshlrev_b64_e32 v[48:49], 3, v[0:1]
	v_fma_f64 v[79:80], v[59:60], v[79:80], s[20:21]
	v_fma_f64 v[85:86], v[46:47], s[18:19], s[16:17]
	s_mov_b32 s0, 0xabaa3d56
	s_mov_b32 s1, 0x4028164c
	v_fma_f64 v[36:37], v[53:54], v[36:37], 1.0
	v_add_nc_u32_e32 v0, s33, v0
	s_mov_b32 s2, 0xba5e353f
	s_mov_b32 s3, 0xc0939409
	global_store_b64 v[81:82], v[73:74], off
	s_mov_b32 s4, 0xedefb22a
	s_mov_b32 s5, 0x3fe93b0a
	v_fma_f64 v[87:88], v[77:78], v[89:90], s[26:27]
	v_add_co_u32 v89, vcc_lo, s10, v48
	s_wait_alu 0xfffd
	v_add_co_ci_u32_e64 v90, null, s11, v49, vcc_lo
	v_fma_f64 v[48:49], v[75:76], v[83:84], s[24:25]
	s_wait_alu 0xfffe
	v_fma_f64 v[83:84], 0x40040000, v[4:5], s[0:1]
	v_mul_f64_e32 v[52:53], s[14:15], v[30:31]
	v_cmp_nlt_f64_e32 vcc_lo, 0x40900000, v[32:33]
	v_cmp_ngt_f64_e64 s0, 0xc090cc00, v[32:33]
	v_fma_f64 v[67:68], v[63:64], v[67:68], s[22:23]
	v_mul_f64_e32 v[91:92], s[14:15], v[28:29]
	global_store_b64 v[89:90], v[8:9], off
	v_ldexp_f64 v[54:55], v[55:56], v7
	v_fma_f64 v[93:94], v[50:51], s[18:19], s[16:17]
	v_fma_f64 v[79:80], v[59:60], v[79:80], s[22:23]
	;; [unrolled: 1-line block ×6, first 2 shown]
	v_ldexp_f64 v[83:84], v[36:37], v15
	v_lshlrev_b64_e32 v[36:37], 3, v[0:1]
	v_add_nc_u32_e32 v0, s33, v0
	v_rndne_f64_e32 v[42:43], v[52:53]
	s_wait_alu 0xfffd
	v_cndmask_b32_e32 v13, 0x7ff00000, v70, vcc_lo
	s_and_b32 vcc_lo, s0, vcc_lo
	v_fma_f64 v[52:53], v[63:64], v[67:68], s[24:25]
	v_add_co_u32 v81, s1, s10, v36
	s_wait_alu 0xf1ff
	v_add_co_ci_u32_e64 v82, null, s11, v37, s1
	v_lshlrev_b64_e32 v[36:37], 3, v[0:1]
	s_wait_alu 0xfffe
	v_cndmask_b32_e32 v69, 0, v69, vcc_lo
	v_rndne_f64_e32 v[48:49], v[91:92]
	v_fma_f64 v[67:68], v[59:60], v[79:80], s[24:25]
	v_fma_f64 v[79:80], v[46:47], v[85:86], s[22:23]
	;; [unrolled: 1-line block ×3, first 2 shown]
	v_cndmask_b32_e64 v70, 0, v13, s0
	v_cmp_ngt_f64_e64 s0, 0xc090cc00, v[38:39]
	v_cmp_nlt_f64_e64 s1, 0x40900000, v[40:41]
	v_cmp_ngt_f64_e64 s2, 0xc090cc00, v[40:41]
	v_add_nc_u32_e32 v0, s33, v0
	v_fma_f64 v[85:86], v[77:78], v[87:88], s[30:31]
	v_add_co_u32 v87, vcc_lo, s10, v36
	s_wait_alu 0xfffd
	v_add_co_ci_u32_e64 v88, null, s11, v37, vcc_lo
	v_cmp_nlt_f64_e32 vcc_lo, 0x40900000, v[38:39]
	v_fma_f64 v[36:37], v[75:76], v[95:96], s[28:29]
	s_clause 0x1
	global_store_b64 v[81:82], v[8:9], off
	global_store_b64 v[87:88], v[69:70], off
	v_lshlrev_b64_e32 v[81:82], 3, v[0:1]
	v_add_nc_u32_e32 v0, s33, v0
	v_fma_f64 v[38:39], v[42:43], s[12:13], v[30:31]
	v_cvt_i32_f64_e32 v9, v[71:72]
	v_fma_f64 v[52:53], v[63:64], v[52:53], s[26:27]
	v_fma_f64 v[40:41], v[48:49], s[12:13], v[28:29]
	;; [unrolled: 1-line block ×5, first 2 shown]
	s_wait_alu 0xf1ff
	v_cndmask_b32_e64 v15, 0x7ff00000, v84, s1
	v_fma_f64 v[84:85], v[77:78], v[85:86], s[36:37]
	s_wait_alu 0xfffd
	v_cndmask_b32_e32 v13, 0x7ff00000, v55, vcc_lo
	v_mul_f64_e32 v[55:56], s[14:15], v[32:33]
	v_fma_f64 v[89:90], v[75:76], v[36:37], s[30:31]
	s_and_b32 vcc_lo, s0, vcc_lo
	v_fma_f64 v[38:39], v[42:43], s[8:9], v[38:39]
	s_wait_alu 0xfffe
	v_cndmask_b32_e32 v69, 0, v54, vcc_lo
	v_add_co_u32 v81, vcc_lo, s10, v81
	v_fma_f64 v[52:53], v[63:64], v[52:53], s[28:29]
	v_cndmask_b32_e64 v70, 0, v13, s0
	s_wait_alu 0xfffd
	v_add_co_ci_u32_e64 v82, null, s11, v82, vcc_lo
	s_and_b32 vcc_lo, s2, s1
	s_mov_b32 s0, 0x5bd5e9ac
	v_fma_f64 v[40:41], v[48:49], s[8:9], v[40:41]
	global_store_b64 v[81:82], v[69:70], off
	v_lshlrev_b64_e32 v[81:82], 3, v[0:1]
	v_fma_f64 v[73:74], v[50:51], v[73:74], s[24:25]
	s_wait_alu 0xfffe
	v_cndmask_b32_e32 v69, 0, v83, vcc_lo
	v_cndmask_b32_e64 v70, 0, v15, s2
	v_dual_mov_b32 v15, 0x427d1a94 :: v_dual_add_nc_u32 v0, s33, v0
	v_add_co_u32 v81, vcc_lo, s10, v81
	s_wait_alu 0xfffd
	v_add_co_ci_u32_e64 v82, null, s11, v82, vcc_lo
	s_delay_alu instid0(VALU_DEP_3)
	v_lshlrev_b64_e32 v[92:93], 3, v[0:1]
	v_add_nc_u32_e32 v0, s33, v0
	s_mov_b32 s1, 0x40329a5e
	global_store_b64 v[81:82], v[69:70], off
	s_mov_b32 s2, 0x96d670ba
	s_mov_b32 s3, 0x40315ef0
	v_fma_f64 v[7:8], v[77:78], v[84:85], s[38:39]
	v_lshlrev_b64_e32 v[69:70], 3, v[0:1]
	v_add_nc_u32_e32 v0, s33, v0
	v_rndne_f64_e32 v[36:37], v[55:56]
	v_fma_f64 v[55:56], v[59:60], v[67:68], s[28:29]
	v_fma_f64 v[67:68], v[46:47], v[79:80], s[26:27]
	;; [unrolled: 1-line block ×7, first 2 shown]
	v_fma_f64 v[90:91], v[77:78], v[7:8], 1.0
	v_fma_f64 v[86:87], v[36:37], s[12:13], v[32:33]
	v_fma_f64 v[54:55], v[59:60], v[55:56], s[30:31]
	;; [unrolled: 1-line block ×5, first 2 shown]
	v_add_co_u32 v85, vcc_lo, s10, v92
	v_fma_f64 v[52:53], v[63:64], v[52:53], s[36:37]
	v_fma_f64 v[81:82], v[40:41], v[88:89], s[20:21]
	v_mov_b32_e32 v88, 0x42ad2d35
	v_bfrev_b32_e32 v89, 4
	v_fma_f64 v[73:74], v[50:51], v[73:74], s[28:29]
	v_fma_f64 v[77:78], v[77:78], v[90:91], 1.0
	v_mov_b32_e32 v90, 0x4212a05f
	v_cvt_i32_f64_e32 v91, v[57:58]
	v_fma_f64 v[7:8], v[36:37], s[8:9], v[86:87]
	v_fma_f64 v[54:55], v[59:60], v[54:55], s[36:37]
	;; [unrolled: 1-line block ×3, first 2 shown]
	s_wait_alu 0xfffd
	v_add_co_ci_u32_e64 v86, null, s11, v93, vcc_lo
	v_add_co_u32 v69, vcc_lo, s10, v69
	s_wait_alu 0xfffd
	v_add_co_ci_u32_e64 v70, null, s11, v70, vcc_lo
	v_mov_b32_e32 v87, 0x1200000
	v_fma_f64 v[71:72], v[75:76], v[79:80], 1.0
	v_fma_f64 v[79:80], v[38:39], v[83:84], s[22:23]
	s_clause 0x1
	global_store_b64 v[85:86], v[14:15], off
	global_store_b64 v[69:70], v[87:88], off
	s_wait_alu 0xfffe
	v_fma_f64 v[87:88], v[4:5], s[62:63], s[0:1]
	v_fma_f64 v[81:82], v[40:41], v[81:82], s[22:23]
	;; [unrolled: 1-line block ×3, first 2 shown]
	v_lshlrev_b64_e32 v[92:93], 3, v[0:1]
	v_dual_mov_b32 v69, 0x20b40000 :: v_dual_add_nc_u32 v0, s33, v0
	v_mov_b32_e32 v70, 0x42d23c41
	s_mov_b32 s0, 0x2e000000
	s_mov_b32 s1, 0x42517659
	s_delay_alu instid0(VALU_DEP_3) | instskip(SKIP_4) | instid1(VALU_DEP_3)
	v_add_co_u32 v13, vcc_lo, s10, v92
	v_lshlrev_b64_e32 v[85:86], 3, v[0:1]
	s_wait_alu 0xfffd
	v_add_co_ci_u32_e64 v14, null, s11, v93, vcc_lo
	v_add_nc_u32_e32 v0, s33, v0
	v_add_co_u32 v85, vcc_lo, s10, v85
	global_store_b64 v[13:14], v[69:70], off
	v_lshlrev_b64_e32 v[13:14], 3, v[0:1]
	s_wait_alu 0xfffd
	v_add_co_ci_u32_e64 v86, null, s11, v86, vcc_lo
	v_add_nc_u32_e32 v0, s33, v0
	v_fma_f64 v[83:84], v[7:8], s[18:19], s[16:17]
	v_fma_f64 v[54:55], v[59:60], v[54:55], s[38:39]
	;; [unrolled: 1-line block ×4, first 2 shown]
	global_store_b64 v[85:86], v[89:90], off
	v_fma_f64 v[73:74], v[4:5], s[62:63], s[2:3]
	v_add_co_u32 v85, vcc_lo, s10, v13
	s_wait_alu 0xfffd
	v_add_co_ci_u32_e64 v86, null, s11, v14, vcc_lo
	v_lshlrev_b64_e32 v[13:14], 3, v[0:1]
	s_wait_alu 0xfffe
	v_mov_b32_e32 v90, s1
	v_ldexp_f64 v[77:78], v[77:78], v9
	v_cvt_i32_f64_e32 v9, v[65:66]
	v_fma_f64 v[65:66], v[38:39], v[79:80], s[24:25]
	v_mov_b32_e32 v89, s0
	v_add_co_u32 v79, vcc_lo, s10, v13
	s_mov_b32 s0, 0xc154c986
	s_wait_alu 0xfffd
	v_add_co_ci_u32_e64 v80, null, s11, v14, vcc_lo
	s_mov_b32 s1, 0xc06491a8
	s_mov_b32 s63, 0x3fe66666
	s_wait_alu 0xfffe
	v_fma_f64 v[13:14], v[2:3], s[0:1], v[87:88]
	s_mov_b32 s0, 0x92245a52
	s_mov_b32 s1, 0x4039ea8d
	v_fma_f64 v[71:72], v[75:76], v[71:72], 1.0
	v_fma_f64 v[81:82], v[40:41], v[81:82], s[24:25]
	s_clause 0x1
	global_store_b64 v[85:86], v[89:90], off
	global_store_b64 v[79:80], v[89:90], off
	s_wait_alu 0xfffe
	v_fma_f64 v[79:80], v[4:5], s[62:63], s[0:1]
	s_mov_b32 s0, 0xbdcd5589
	s_mov_b32 s1, 0x402de4d1
	v_cmp_nlt_f64_e32 vcc_lo, 0x40900000, v[26:27]
	s_wait_alu 0xfffe
	v_fma_f64 v[85:86], v[4:5], 2.0, s[0:1]
	s_mov_b32 s2, 0x8ec52a41
	s_mov_b32 s0, 0x1cf45780
	;; [unrolled: 1-line block ×3, first 2 shown]
	v_fma_f64 v[75:76], v[7:8], v[83:84], s[20:21]
	v_fma_f64 v[54:55], v[59:60], v[54:55], 1.0
	v_fma_f64 v[67:68], v[46:47], v[67:68], s[38:39]
	v_fma_f64 v[83:84], v[63:64], v[52:53], 1.0
	s_mov_b32 s1, 0x402256cb
	s_wait_alu 0xfffe
	v_fma_f64 v[52:53], v[2:3], s[2:3], v[73:74]
	v_fma_f64 v[73:74], v[4:5], s[50:51], s[0:1]
	v_cmp_ngt_f64_e64 s0, 0xc090cc00, v[26:27]
	s_mov_b32 s2, 0xf91e646f
	s_mov_b32 s3, 0xc0a71dd3
	v_fma_f64 v[89:90], 0x400c0000, v[4:5], s[4:5]
	v_fma_f64 v[69:70], v[50:51], v[69:70], s[36:37]
	v_dual_mov_b32 v27, s7 :: v_dual_add_nc_u32 v0, s33, v0
	v_fma_f64 v[65:66], v[38:39], v[65:66], s[26:27]
	v_mov_b32_e32 v26, s6
	s_mov_b32 s4, 0x8049667b
	s_delay_alu instid0(VALU_DEP_3) | instskip(SKIP_2) | instid1(VALU_DEP_2)
	v_lshlrev_b64_e32 v[87:88], 3, v[0:1]
	v_add_nc_u32_e32 v0, s33, v0
	s_mov_b32 s5, 0xc0c36882
	v_add_co_u32 v87, s1, s10, v87
	s_wait_alu 0xf1ff
	s_delay_alu instid0(VALU_DEP_3)
	v_add_co_ci_u32_e64 v88, null, s11, v88, s1
	v_ldexp_f64 v[71:72], v[71:72], v9
	v_cvt_i32_f64_e32 v9, v[61:62]
	v_fma_f64 v[81:82], v[40:41], v[81:82], s[26:27]
	global_store_b64 v[87:88], v[26:27], off
	v_lshlrev_b64_e32 v[87:88], 3, v[0:1]
	v_add_nc_u32_e32 v0, s33, v0
	s_wait_alu 0xfffd
	v_cndmask_b32_e32 v15, 0x7ff00000, v78, vcc_lo
	v_cmp_ngt_f64_e64 s6, 0xc090cc00, v[13:14]
	s_delay_alu instid0(VALU_DEP_4)
	v_add_co_u32 v87, s1, s10, v87
	v_fma_f64 v[60:61], v[59:60], v[54:55], 1.0
	v_fma_f64 v[67:68], v[46:47], v[67:68], 1.0
	s_wait_alu 0xfffe
	v_fma_f64 v[54:55], v[2:3], s[2:3], v[79:80]
	s_mov_b32 s2, 0xd2079f3
	s_mov_b32 s3, 0x404c4902
	v_fma_f64 v[75:76], v[7:8], v[75:76], s[22:23]
	v_fma_f64 v[63:64], v[63:64], v[83:84], 1.0
	v_mul_f64_e32 v[83:84], s[14:15], v[13:14]
	s_wait_alu 0xfffe
	v_fma_f64 v[78:79], v[4:5], s[34:35], s[2:3]
	v_fma_f64 v[58:59], v[2:3], s[58:59], v[85:86]
	s_mov_b32 s2, 0x6cf41f21
	s_mov_b32 s3, 0xc0bb57be
	v_mul_f64_e32 v[85:86], s[14:15], v[52:53]
	s_and_b32 vcc_lo, s0, vcc_lo
	s_wait_alu 0xfffe
	v_fma_f64 v[56:57], v[2:3], s[2:3], v[73:74]
	v_cndmask_b32_e32 v73, 0, v77, vcc_lo
	v_cmp_nlt_f64_e32 vcc_lo, 0x40900000, v[24:25]
	v_cndmask_b32_e64 v74, 0, v15, s0
	v_cmp_ngt_f64_e64 s0, 0xc090cc00, v[24:25]
	s_mov_b32 s2, 0x599ed7c7
	s_mov_b32 s3, 0xc0a64f82
	v_fma_f64 v[65:66], v[38:39], v[65:66], s[28:29]
	s_wait_alu 0xfffe
	v_fma_f64 v[24:25], v[2:3], s[2:3], v[89:90]
	s_mov_b32 s2, 0x743e963e
	s_mov_b32 s3, 0xc0b894b9
	v_fma_f64 v[69:70], v[50:51], v[69:70], s[38:39]
	v_add_co_ci_u32_e64 v88, null, s11, v88, s1
	global_store_b64 v[87:88], v[73:74], off
	v_ldexp_f64 v[60:61], v[60:61], v91
	v_fma_f64 v[46:47], v[46:47], v[67:68], 1.0
	v_fma_f64 v[67:68], v[40:41], v[81:82], s[28:29]
	v_fma_f64 v[75:76], v[7:8], v[75:76], s[24:25]
	v_ldexp_f64 v[62:63], v[63:64], v9
	v_rndne_f64_e32 v[80:81], v[83:84]
	v_mul_f64_e32 v[82:83], s[14:15], v[54:55]
	v_cvt_i32_f64_e32 v9, v[44:45]
	s_wait_alu 0xfffe
	v_fma_f64 v[44:45], v[2:3], s[2:3], v[78:79]
	v_mul_f64_e32 v[77:78], s[14:15], v[58:59]
	v_rndne_f64_e32 v[84:85], v[85:86]
	s_mov_b32 s2, 0xf8fcd680
	s_mov_b32 s3, 0x4052c2cb
	v_mul_f64_e32 v[86:87], s[14:15], v[56:57]
	s_wait_alu 0xfffd
	v_cndmask_b32_e32 v15, 0x7ff00000, v72, vcc_lo
	v_lshlrev_b64_e32 v[72:73], 3, v[0:1]
	v_add_nc_u32_e32 v0, s33, v0
	s_and_b32 vcc_lo, s0, vcc_lo
	s_wait_alu 0xfffe
	v_fma_f64 v[4:5], v[4:5], s[48:49], s[2:3]
	v_cndmask_b32_e32 v88, 0, v71, vcc_lo
	v_cndmask_b32_e64 v89, 0, v15, s0
	v_lshlrev_b64_e32 v[90:91], 3, v[0:1]
	v_fma_f64 v[64:65], v[38:39], v[65:66], s[30:31]
	v_cmp_ngt_f64_e64 s0, 0xc090cc00, v[11:12]
	v_add_co_u32 v72, s1, s10, v72
	v_fma_f64 v[69:70], v[50:51], v[69:70], 1.0
	v_add_co_u32 v90, vcc_lo, s10, v90
	s_wait_alu 0xfffd
	v_add_co_ci_u32_e64 v91, null, s11, v91, vcc_lo
	v_cmp_nlt_f64_e32 vcc_lo, 0x40900000, v[11:12]
	s_wait_alu 0xf1ff
	v_add_co_ci_u32_e64 v73, null, s11, v73, s1
	v_cmp_nlt_f64_e64 s1, 0x40900000, v[18:19]
	v_cmp_ngt_f64_e64 s2, 0xc090cc00, v[18:19]
	v_add_nc_u32_e32 v0, s33, v0
	v_fma_f64 v[11:12], v[40:41], v[67:68], s[30:31]
	v_mul_f64_e32 v[66:67], s[14:15], v[24:25]
	v_fma_f64 v[74:75], v[7:8], v[75:76], s[26:27]
	v_rndne_f64_e32 v[18:19], v[82:83]
	v_fma_f64 v[82:83], v[80:81], s[12:13], v[13:14]
	v_mul_f64_e32 v[92:93], s[14:15], v[44:45]
	v_rndne_f64_e32 v[76:77], v[77:78]
	v_ldexp_f64 v[46:47], v[46:47], v9
	v_cvt_i32_f64_e32 v9, v[34:35]
	v_fma_f64 v[34:35], v[84:85], s[12:13], v[52:53]
	v_fma_f64 v[2:3], v[2:3], s[4:5], v[4:5]
	v_mov_b32_e32 v4, 0x57e00000
	v_mov_b32_e32 v5, 0x42db48eb
	v_cmp_ngt_f64_e64 s4, 0xc090cc00, v[32:33]
	v_cmp_nlt_f64_e64 s5, 0x40900000, v[13:14]
	global_store_b64 v[72:73], v[4:5], off
	v_fma_f64 v[50:51], v[50:51], v[69:70], 1.0
	v_rndne_f64_e32 v[68:69], v[86:87]
	global_store_b64 v[90:91], v[88:89], off
	s_wait_alu 0xfffd
	v_cndmask_b32_e32 v15, 0x7ff00000, v63, vcc_lo
	v_fma_f64 v[63:64], v[38:39], v[64:65], s[36:37]
	s_and_b32 vcc_lo, s0, vcc_lo
	v_cndmask_b32_e64 v94, 0x7ff00000, v61, s1
	s_wait_alu 0xfffe
	v_cndmask_b32_e32 v4, 0, v62, vcc_lo
	v_cmp_nlt_f64_e32 vcc_lo, 0x40900000, v[20:21]
	v_cndmask_b32_e64 v5, 0, v15, s0
	v_fma_f64 v[11:12], v[40:41], v[11:12], s[36:37]
	v_rndne_f64_e32 v[65:66], v[66:67]
	v_cmp_ngt_f64_e64 s0, 0xc090cc00, v[20:21]
	v_fma_f64 v[70:71], v[7:8], v[74:75], s[28:29]
	v_lshlrev_b64_e32 v[61:62], 3, v[0:1]
	v_add_nc_u32_e32 v0, s33, v0
	v_fma_f64 v[72:73], v[18:19], s[12:13], v[54:55]
	v_fma_f64 v[74:75], v[80:81], s[8:9], v[82:83]
	v_rndne_f64_e32 v[78:79], v[92:93]
	v_fma_f64 v[82:83], v[76:77], s[12:13], v[58:59]
	v_lshlrev_b64_e32 v[86:87], 3, v[0:1]
	v_add_co_u32 v20, s3, s10, v61
	v_fma_f64 v[34:35], v[84:85], s[8:9], v[34:35]
	s_and_b32 s1, s2, s1
	v_add_co_ci_u32_e64 v21, null, s11, v62, s3
	s_wait_alu 0xfffe
	v_cndmask_b32_e64 v60, 0, v60, s1
	v_add_co_u32 v86, s1, s10, v86
	v_cndmask_b32_e64 v61, 0, v94, s2
	s_wait_alu 0xf1ff
	v_add_co_ci_u32_e64 v87, null, s11, v87, s1
	global_store_b64 v[20:21], v[4:5], off
	v_add_nc_u32_e32 v0, s33, v0
	v_mul_f64_e32 v[90:91], s[14:15], v[2:3]
	global_store_b64 v[86:87], v[60:61], off
	v_fma_f64 v[88:89], v[68:69], s[12:13], v[56:57]
	v_ldexp_f64 v[50:51], v[50:51], v9
	v_cvt_i32_f64_e32 v67, v[80:81]
	v_mov_b32_e32 v80, 0xd7400000
	v_mov_b32_e32 v81, 0x42835aa2
	v_fma_f64 v[62:63], v[38:39], v[63:64], s[38:39]
	v_cvt_i32_f64_e32 v64, v[36:37]
	v_cmp_ngt_f64_e64 s2, 0xc090cc00, v[28:29]
	v_cvt_i32_f64_e32 v84, v[84:85]
	s_wait_alu 0xfffd
	v_cndmask_b32_e32 v15, 0x7ff00000, v47, vcc_lo
	v_fma_f64 v[4:5], v[40:41], v[11:12], s[38:39]
	v_fma_f64 v[11:12], v[65:66], s[12:13], v[24:25]
	s_and_b32 vcc_lo, s0, vcc_lo
	s_delay_alu instid0(VALU_DEP_3)
	v_cndmask_b32_e64 v47, 0, v15, s0
	s_wait_alu 0xfffe
	v_cndmask_b32_e32 v46, 0, v46, vcc_lo
	v_cmp_ngt_f64_e64 s0, 0xc090cc00, v[22:23]
	v_fma_f64 v[20:21], v[18:19], s[8:9], v[72:73]
	v_fma_f64 v[60:61], v[74:75], s[18:19], s[16:17]
	;; [unrolled: 1-line block ×4, first 2 shown]
	v_lshlrev_b64_e32 v[72:73], 3, v[0:1]
	v_fma_f64 v[70:71], v[7:8], v[70:71], s[30:31]
	v_cvt_i32_f64_e32 v15, v[48:49]
	v_add_nc_u32_e32 v0, s33, v0
	s_delay_alu instid0(VALU_DEP_4)
	v_add_co_u32 v72, vcc_lo, s10, v72
	s_wait_alu 0xfffd
	v_add_co_ci_u32_e64 v73, null, s11, v73, vcc_lo
	v_cmp_nlt_f64_e32 vcc_lo, 0x40900000, v[22:23]
	v_fma_f64 v[22:23], v[34:35], s[18:19], s[16:17]
	global_store_b64 v[72:73], v[46:47], off
	v_rndne_f64_e32 v[90:91], v[90:91]
	v_fma_f64 v[88:89], v[68:69], s[8:9], v[88:89]
	v_fma_f64 v[62:63], v[38:39], v[62:63], 1.0
	v_fma_f64 v[4:5], v[40:41], v[4:5], 1.0
	v_fma_f64 v[92:93], v[65:66], s[8:9], v[11:12]
	v_fma_f64 v[11:12], v[20:21], s[18:19], s[16:17]
	;; [unrolled: 1-line block ×6, first 2 shown]
	s_wait_alu 0xfffd
	v_cndmask_b32_e32 v9, 0x7ff00000, v51, vcc_lo
	v_fma_f64 v[22:23], v[34:35], v[22:23], s[20:21]
	s_and_b32 vcc_lo, s0, vcc_lo
	s_wait_alu 0xfffe
	v_cndmask_b32_e32 v50, 0, v50, vcc_lo
	v_cndmask_b32_e64 v51, 0, v9, s0
	v_cvt_i32_f64_e32 v9, v[42:43]
	v_fma_f64 v[86:87], v[88:89], s[18:19], s[16:17]
	v_cmp_ngt_f64_e64 s0, 0xc090cc00, v[30:31]
	v_fma_f64 v[38:39], v[38:39], v[62:63], 1.0
	v_fma_f64 v[4:5], v[40:41], v[4:5], 1.0
	v_fma_f64 v[40:41], v[92:93], s[18:19], s[16:17]
	v_fma_f64 v[11:12], v[20:21], v[11:12], s[20:21]
	;; [unrolled: 1-line block ×9, first 2 shown]
	v_ldexp_f64 v[36:37], v[38:39], v9
	v_ldexp_f64 v[4:5], v[4:5], v15
	v_fma_f64 v[40:41], v[92:93], v[40:41], s[20:21]
	v_fma_f64 v[11:12], v[20:21], v[11:12], s[22:23]
	;; [unrolled: 1-line block ×5, first 2 shown]
	v_fma_f64 v[62:63], v[7:8], v[62:63], 1.0
	v_fma_f64 v[70:71], v[90:91], s[8:9], v[70:71]
	v_fma_f64 v[22:23], v[34:35], v[22:23], s[24:25]
	v_fma_f64 v[72:73], v[88:89], v[72:73], s[22:23]
	v_fma_f64 v[40:41], v[92:93], v[40:41], s[22:23]
	v_fma_f64 v[11:12], v[20:21], v[11:12], s[24:25]
	v_fma_f64 v[42:43], v[74:75], v[42:43], s[26:27]
	v_fma_f64 v[46:47], v[60:61], v[46:47], s[22:23]
	v_fma_f64 v[48:49], v[82:83], v[48:49], s[24:25]
	v_fma_f64 v[7:8], v[7:8], v[62:63], 1.0
	v_fma_f64 v[62:63], v[70:71], s[18:19], s[16:17]
	v_fma_f64 v[22:23], v[34:35], v[22:23], s[26:27]
	;; [unrolled: 1-line block ×8, first 2 shown]
	v_ldexp_f64 v[7:8], v[7:8], v64
	v_fma_f64 v[62:63], v[70:71], v[62:63], s[20:21]
	v_fma_f64 v[22:23], v[34:35], v[22:23], s[28:29]
	v_fma_f64 v[72:73], v[88:89], v[72:73], s[26:27]
	v_fma_f64 v[40:41], v[92:93], v[40:41], s[26:27]
	v_fma_f64 v[11:12], v[20:21], v[11:12], s[28:29]
	v_fma_f64 v[42:43], v[74:75], v[42:43], s[30:31]
	v_fma_f64 v[46:47], v[60:61], v[46:47], s[26:27]
	v_fma_f64 v[48:49], v[82:83], v[48:49], s[28:29]
	v_fma_f64 v[62:63], v[70:71], v[62:63], s[22:23]
	v_fma_f64 v[22:23], v[34:35], v[22:23], s[30:31]
	v_fma_f64 v[72:73], v[88:89], v[72:73], s[28:29]
	v_fma_f64 v[40:41], v[92:93], v[40:41], s[28:29]
	v_fma_f64 v[11:12], v[20:21], v[11:12], s[30:31]
	v_fma_f64 v[42:43], v[74:75], v[42:43], s[36:37]
	v_fma_f64 v[46:47], v[60:61], v[46:47], s[28:29]
	v_fma_f64 v[48:49], v[82:83], v[48:49], s[30:31]
	v_fma_f64 v[62:63], v[70:71], v[62:63], s[24:25]
	v_fma_f64 v[22:23], v[34:35], v[22:23], s[36:37]
	v_fma_f64 v[72:73], v[88:89], v[72:73], s[30:31]
	v_fma_f64 v[40:41], v[92:93], v[40:41], s[30:31]
	v_fma_f64 v[11:12], v[20:21], v[11:12], s[36:37]
	v_fma_f64 v[42:43], v[74:75], v[42:43], s[38:39]
	v_fma_f64 v[46:47], v[60:61], v[46:47], s[30:31]
	v_fma_f64 v[48:49], v[82:83], v[48:49], s[36:37]
	v_fma_f64 v[62:63], v[70:71], v[62:63], s[26:27]
	v_fma_f64 v[22:23], v[34:35], v[22:23], s[38:39]
	v_fma_f64 v[72:73], v[88:89], v[72:73], s[36:37]
	v_fma_f64 v[40:41], v[92:93], v[40:41], s[36:37]
	v_fma_f64 v[11:12], v[20:21], v[11:12], s[38:39]
	v_fma_f64 v[42:43], v[74:75], v[42:43], 1.0
	v_fma_f64 v[46:47], v[60:61], v[46:47], s[36:37]
	v_fma_f64 v[48:49], v[82:83], v[48:49], s[38:39]
	v_fma_f64 v[62:63], v[70:71], v[62:63], s[28:29]
	v_fma_f64 v[22:23], v[34:35], v[22:23], 1.0
	v_fma_f64 v[72:73], v[88:89], v[72:73], s[38:39]
	v_fma_f64 v[38:39], v[92:93], v[40:41], s[38:39]
	v_lshlrev_b64_e32 v[40:41], 3, v[0:1]
	v_add_nc_u32_e32 v0, s33, v0
	v_fma_f64 v[86:87], v[20:21], v[11:12], 1.0
	v_fma_f64 v[42:43], v[74:75], v[42:43], 1.0
	v_fma_f64 v[46:47], v[60:61], v[46:47], s[38:39]
	v_fma_f64 v[48:49], v[82:83], v[48:49], 1.0
	v_lshlrev_b64_e32 v[11:12], 3, v[0:1]
	v_add_nc_u32_e32 v0, s82, v0
	v_add_co_u32 v40, vcc_lo, s10, v40
	v_fma_f64 v[62:63], v[70:71], v[62:63], s[30:31]
	s_wait_alu 0xfffd
	v_add_co_ci_u32_e64 v41, null, s11, v41, vcc_lo
	v_add_co_u32 v74, vcc_lo, s10, v11
	s_wait_alu 0xfffd
	v_add_co_ci_u32_e64 v75, null, s11, v12, vcc_lo
	v_fma_f64 v[22:23], v[34:35], v[22:23], 1.0
	v_lshlrev_b64_e32 v[34:35], 3, v[0:1]
	v_dual_mov_b32 v11, 0x42e6bcc4 :: v_dual_add_nc_u32 v0, s33, v0
	s_clause 0x1
	global_store_b64 v[40:41], v[50:51], off
	global_store_b64 v[74:75], v[10:11], off
	v_add_co_u32 v34, vcc_lo, s10, v34
	s_wait_alu 0xfffd
	v_add_co_ci_u32_e64 v35, null, s11, v35, vcc_lo
	v_cmp_nlt_f64_e32 vcc_lo, 0x40900000, v[30:31]
	v_cvt_i32_f64_e32 v50, v[18:19]
	v_lshlrev_b64_e32 v[18:19], 3, v[0:1]
	v_add_nc_u32_e32 v0, s33, v0
	global_store_b64 v[34:35], v[80:81], off
	v_fma_f64 v[72:73], v[88:89], v[72:73], 1.0
	v_fma_f64 v[9:10], v[92:93], v[38:39], 1.0
	v_mov_b32_e32 v38, 0x429802ba
	v_lshlrev_b64_e32 v[39:40], 3, v[0:1]
	v_add_co_u32 v18, s1, s10, v18
	v_fma_f64 v[11:12], v[20:21], v[86:87], 1.0
	v_ldexp_f64 v[20:21], v[42:43], v67
	v_cvt_i32_f64_e32 v43, v[76:77]
	v_fma_f64 v[30:31], v[82:83], v[48:49], 1.0
	v_add_co_u32 v39, s3, s10, v39
	v_fma_f64 v[34:35], v[60:61], v[46:47], 1.0
	s_wait_alu 0xf1ff
	v_add_co_ci_u32_e64 v19, null, s11, v19, s1
	v_cmp_nlt_f64_e64 s1, 0x40900000, v[28:29]
	v_add_co_ci_u32_e64 v40, null, s11, v40, s3
	v_cmp_nlt_f64_e64 s3, 0x40900000, v[32:33]
	v_fma_f64 v[62:63], v[70:71], v[62:63], s[36:37]
	v_add_nc_u32_e32 v0, s33, v0
	v_cvt_i32_f64_e32 v46, v[68:69]
	v_ldexp_f64 v[22:23], v[22:23], v84
	s_wait_alu 0xfffd
	v_cndmask_b32_e32 v15, 0x7ff00000, v37, vcc_lo
	v_mov_b32_e32 v37, 0x9f400000
	s_and_b32 vcc_lo, s0, vcc_lo
	s_wait_alu 0xfffe
	v_cndmask_b32_e32 v14, 0, v36, vcc_lo
	v_fma_f64 v[41:42], v[88:89], v[72:73], 1.0
	s_clause 0x1
	global_store_b64 v[18:19], v[37:38], off
	global_store_b64 v[39:40], v[16:17], off
	v_lshlrev_b64_e32 v[16:17], 3, v[0:1]
	v_add_nc_u32_e32 v0, s33, v0
	v_cvt_i32_f64_e32 v38, v[65:66]
	v_cvt_i32_f64_e32 v39, v[78:79]
	v_cndmask_b32_e64 v15, 0, v15, s0
	v_cmp_ngt_f64_e64 s0, 0xc090cc00, v[52:53]
	v_ldexp_f64 v[18:19], v[30:31], v43
	v_lshlrev_b64_e32 v[30:31], 3, v[0:1]
	v_add_nc_u32_e32 v0, s33, v0
	v_add_co_u32 v16, vcc_lo, s10, v16
	s_wait_alu 0xfffd
	v_add_co_ci_u32_e64 v17, null, s11, v17, vcc_lo
	v_cndmask_b32_e64 v5, 0x7ff00000, v5, s1
	s_and_b32 s1, s2, s1
	v_cndmask_b32_e64 v47, 0x7ff00000, v8, s3
	v_fma_f64 v[8:9], v[92:93], v[9:10], 1.0
	v_ldexp_f64 v[10:11], v[11:12], v50
	v_fma_f64 v[12:13], v[60:61], v[34:35], 1.0
	v_lshlrev_b64_e32 v[34:35], 3, v[0:1]
	s_wait_alu 0xfffe
	v_cndmask_b32_e64 v4, 0, v4, s1
	v_add_co_u32 v30, s1, s10, v30
	s_wait_alu 0xf1ff
	v_add_co_ci_u32_e64 v31, null, s11, v31, s1
	s_and_b32 s1, s4, s3
	v_fma_f64 v[28:29], v[70:71], v[62:63], s[38:39]
	s_wait_alu 0xfffe
	v_cndmask_b32_e64 v36, 0, v7, s1
	v_add_co_u32 v34, s1, s10, v34
	s_wait_alu 0xf1ff
	v_add_co_ci_u32_e64 v35, null, s11, v35, s1
	v_cmp_nlt_f64_e64 s1, 0x40900000, v[54:55]
	v_cmp_nlt_f64_e32 vcc_lo, 0x40900000, v[52:53]
	v_cndmask_b32_e64 v5, 0, v5, s2
	v_cmp_ngt_f64_e64 s2, 0xc090cc00, v[54:55]
	v_add_nc_u32_e32 v0, s33, v0
	v_ldexp_f64 v[32:33], v[41:42], v46
	v_cndmask_b32_e64 v21, 0x7ff00000, v21, s5
	s_and_b32 s3, s6, s5
	v_cndmask_b32_e64 v37, 0, v47, s4
	s_wait_alu 0xfffe
	v_cndmask_b32_e64 v20, 0, v20, s3
	v_cmp_nlt_f64_e64 s3, 0x40900000, v[58:59]
	v_cndmask_b32_e64 v21, 0, v21, s6
	v_cmp_ngt_f64_e64 s4, 0xc090cc00, v[58:59]
	v_cmp_ngt_f64_e64 s6, 0xc090cc00, v[24:25]
	v_cvt_i32_f64_e32 v42, v[90:91]
	v_ldexp_f64 v[7:8], v[8:9], v38
	v_fma_f64 v[28:29], v[70:71], v[28:29], 1.0
	v_cndmask_b32_e64 v9, 0x7ff00000, v11, s1
	v_ldexp_f64 v[11:12], v[12:13], v39
	v_lshlrev_b64_e32 v[38:39], 3, v[0:1]
	v_add_nc_u32_e32 v0, s33, v0
	s_wait_alu 0xfffd
	v_cndmask_b32_e32 v23, 0x7ff00000, v23, vcc_lo
	s_and_b32 vcc_lo, s0, vcc_lo
	s_and_b32 s1, s2, s1
	s_wait_alu 0xfffe
	v_cndmask_b32_e32 v22, 0, v22, vcc_lo
	v_lshlrev_b64_e32 v[40:41], 3, v[0:1]
	v_add_co_u32 v38, s5, s10, v38
	s_wait_alu 0xf1ff
	v_add_co_ci_u32_e64 v39, null, s11, v39, s5
	v_cndmask_b32_e64 v23, 0, v23, s0
	s_delay_alu instid0(VALU_DEP_4)
	v_add_co_u32 v40, s5, s10, v40
	s_wait_alu 0xf1ff
	v_add_co_ci_u32_e64 v41, null, s11, v41, s5
	v_cmp_nlt_f64_e64 s5, 0x40900000, v[24:25]
	s_clause 0x4
	global_store_b64 v[16:17], v[14:15], off
	global_store_b64 v[30:31], v[4:5], off
	;; [unrolled: 1-line block ×5, first 2 shown]
	v_cndmask_b32_e64 v4, 0, v10, s1
	v_cmp_nlt_f64_e64 s1, 0x40900000, v[44:45]
	v_cmp_nlt_f64_e32 vcc_lo, 0x40900000, v[56:57]
	v_cmp_ngt_f64_e64 s0, 0xc090cc00, v[56:57]
	v_cndmask_b32_e64 v5, 0, v9, s2
	v_cmp_ngt_f64_e64 s2, 0xc090cc00, v[44:45]
	v_add_nc_u32_e32 v0, s33, v0
	v_cndmask_b32_e64 v19, 0x7ff00000, v19, s3
	s_and_b32 s3, s4, s3
	s_wait_alu 0xfffe
	v_cndmask_b32_e64 v14, 0, v18, s3
	v_fma_f64 v[28:29], v[70:71], v[28:29], 1.0
	v_cndmask_b32_e64 v15, 0, v19, s4
	v_cndmask_b32_e64 v22, 0x7ff00000, v8, s5
	v_lshlrev_b64_e32 v[8:9], 3, v[0:1]
	v_add_nc_u32_e32 v0, s33, v0
	v_cndmask_b32_e64 v10, 0x7ff00000, v12, s1
	s_wait_alu 0xfffd
	v_cndmask_b32_e32 v33, 0x7ff00000, v33, vcc_lo
	s_and_b32 vcc_lo, s0, vcc_lo
	v_lshlrev_b64_e32 v[12:13], 3, v[0:1]
	v_add_nc_u32_e32 v0, s33, v0
	v_add_co_u32 v8, s7, s10, v8
	s_wait_alu 0xf1ff
	v_add_co_ci_u32_e64 v9, null, s11, v9, s7
	s_delay_alu instid0(VALU_DEP_4)
	v_add_co_u32 v12, s3, s10, v12
	v_lshlrev_b64_e32 v[18:19], 3, v[0:1]
	v_add_nc_u32_e32 v0, s33, v0
	s_wait_alu 0xf1ff
	v_add_co_ci_u32_e64 v13, null, s11, v13, s3
	s_clause 0x1
	global_store_b64 v[8:9], v[4:5], off
	global_store_b64 v[12:13], v[14:15], off
	v_lshlrev_b64_e32 v[4:5], 3, v[0:1]
	v_add_nc_u32_e32 v0, s33, v0
	s_wait_alu 0xfffe
	v_cndmask_b32_e32 v16, 0, v32, vcc_lo
	v_add_co_u32 v18, vcc_lo, s10, v18
	s_wait_alu 0xfffd
	v_add_co_ci_u32_e64 v19, null, s11, v19, vcc_lo
	s_and_b32 vcc_lo, s6, s5
	v_lshlrev_b64_e32 v[12:13], 3, v[0:1]
	v_add_nc_u32_e32 v0, s33, v0
	s_wait_alu 0xfffe
	v_cndmask_b32_e32 v8, 0, v7, vcc_lo
	v_add_co_u32 v4, vcc_lo, s10, v4
	s_wait_alu 0xfffd
	v_add_co_ci_u32_e64 v5, null, s11, v5, vcc_lo
	s_and_b32 vcc_lo, s2, s1
	v_cndmask_b32_e64 v15, 0, v10, s2
	s_wait_alu 0xfffe
	v_cndmask_b32_e32 v14, 0, v11, vcc_lo
	v_lshlrev_b64_e32 v[10:11], 3, v[0:1]
	v_add_co_u32 v12, vcc_lo, s10, v12
	s_wait_alu 0xfffd
	v_add_co_ci_u32_e64 v13, null, s11, v13, vcc_lo
	v_ldexp_f64 v[20:21], v[28:29], v42
	s_delay_alu instid0(VALU_DEP_4)
	v_add_co_u32 v10, vcc_lo, s10, v10
	s_wait_alu 0xfffd
	v_add_co_ci_u32_e64 v11, null, s11, v11, vcc_lo
	v_cmp_nlt_f64_e32 vcc_lo, 0x40900000, v[2:3]
	v_cndmask_b32_e64 v17, 0, v33, s0
	v_cmp_ngt_f64_e64 s0, 0xc090cc00, v[2:3]
	v_add_nc_u32_e32 v0, s33, v0
	v_cndmask_b32_e64 v9, 0, v22, s6
	v_mov_b32_e32 v7, 0x42d5d3ef
	global_store_b64 v[18:19], v[16:17], off
	v_mov_b32_e32 v16, 0xc5000000
	v_lshlrev_b64_e32 v[18:19], 3, v[0:1]
	v_dual_mov_b32 v17, 0x427a3185 :: v_dual_add_nc_u32 v0, s33, v0
	s_delay_alu instid0(VALU_DEP_2) | instskip(SKIP_1) | instid1(VALU_DEP_3)
	v_add_co_u32 v2, s1, s10, v18
	s_wait_alu 0xf1ff
	v_add_co_ci_u32_e64 v3, null, s11, v19, s1
	s_delay_alu instid0(VALU_DEP_3)
	v_lshlrev_b64_e32 v[18:19], 3, v[0:1]
	v_add_nc_u32_e32 v0, s33, v0
	s_clause 0x3
	global_store_b64 v[4:5], v[8:9], off
	global_store_b64 v[12:13], v[14:15], off
	;; [unrolled: 1-line block ×4, first 2 shown]
	v_bfrev_b32_e32 v8, 32
	v_mov_b32_e32 v9, 0x4234f46b
	v_mov_b32_e32 v12, 0x2f600000
	v_lshlrev_b64_e32 v[2:3], 3, v[0:1]
	v_add_nc_u32_e32 v0, s33, v0
	v_add_co_u32 v4, s1, s10, v18
	s_wait_alu 0xf1ff
	v_add_co_ci_u32_e64 v5, null, s11, v19, s1
	s_delay_alu instid0(VALU_DEP_3) | instskip(SKIP_4) | instid1(VALU_DEP_3)
	v_lshlrev_b64_e32 v[6:7], 3, v[0:1]
	v_add_nc_u32_e32 v0, s33, v0
	v_add_co_u32 v2, s1, s10, v2
	s_wait_alu 0xf1ff
	v_add_co_ci_u32_e64 v3, null, s11, v3, s1
	v_lshlrev_b64_e32 v[10:11], 3, v[0:1]
	v_add_nc_u32_e32 v0, s33, v0
	s_wait_alu 0xfffd
	v_cndmask_b32_e32 v21, 0x7ff00000, v21, vcc_lo
	v_add_co_u32 v6, s1, s10, v6
	s_and_b32 vcc_lo, s0, vcc_lo
	v_lshlrev_b64_e32 v[0:1], 3, v[0:1]
	v_add_co_ci_u32_e64 v7, null, s11, v7, s1
	v_add_co_u32 v10, s1, s10, v10
	s_wait_alu 0xfffe
	v_cndmask_b32_e32 v14, 0, v20, vcc_lo
	s_delay_alu instid0(VALU_DEP_4)
	v_add_co_u32 v0, vcc_lo, s10, v0
	s_wait_alu 0xf1ff
	v_add_co_ci_u32_e64 v11, null, s11, v11, s1
	v_mov_b32_e32 v13, 0x42a40246
	v_cndmask_b32_e64 v15, 0, v21, s0
	s_wait_alu 0xfffd
	v_add_co_ci_u32_e64 v1, null, s11, v1, vcc_lo
	s_clause 0x4
	global_store_b64 v[4:5], v[26:27], off
	global_store_b64 v[2:3], v[8:9], off
	;; [unrolled: 1-line block ×5, first 2 shown]
	s_nop 0
	s_sendmsg sendmsg(MSG_DEALLOC_VGPRS)
	s_endpgm
	.section	.rodata,"a",@progbits
	.p2align	6, 0x0
	.amdhsa_kernel _Z11ratt_kernelIdEvPKT_PS0_S0_
		.amdhsa_group_segment_fixed_size 0
		.amdhsa_private_segment_fixed_size 0
		.amdhsa_kernarg_size 280
		.amdhsa_user_sgpr_count 2
		.amdhsa_user_sgpr_dispatch_ptr 0
		.amdhsa_user_sgpr_queue_ptr 0
		.amdhsa_user_sgpr_kernarg_segment_ptr 1
		.amdhsa_user_sgpr_dispatch_id 0
		.amdhsa_user_sgpr_private_segment_size 0
		.amdhsa_wavefront_size32 1
		.amdhsa_uses_dynamic_stack 0
		.amdhsa_enable_private_segment 0
		.amdhsa_system_sgpr_workgroup_id_x 1
		.amdhsa_system_sgpr_workgroup_id_y 0
		.amdhsa_system_sgpr_workgroup_id_z 0
		.amdhsa_system_sgpr_workgroup_info 0
		.amdhsa_system_vgpr_workitem_id 0
		.amdhsa_next_free_vgpr 104
		.amdhsa_next_free_sgpr 86
		.amdhsa_reserve_vcc 1
		.amdhsa_float_round_mode_32 0
		.amdhsa_float_round_mode_16_64 0
		.amdhsa_float_denorm_mode_32 3
		.amdhsa_float_denorm_mode_16_64 3
		.amdhsa_fp16_overflow 0
		.amdhsa_workgroup_processor_mode 1
		.amdhsa_memory_ordered 1
		.amdhsa_forward_progress 1
		.amdhsa_inst_pref_size 255
		.amdhsa_round_robin_scheduling 0
		.amdhsa_exception_fp_ieee_invalid_op 0
		.amdhsa_exception_fp_denorm_src 0
		.amdhsa_exception_fp_ieee_div_zero 0
		.amdhsa_exception_fp_ieee_overflow 0
		.amdhsa_exception_fp_ieee_underflow 0
		.amdhsa_exception_fp_ieee_inexact 0
		.amdhsa_exception_int_div_zero 0
	.end_amdhsa_kernel
	.section	.text._Z11ratt_kernelIdEvPKT_PS0_S0_,"axG",@progbits,_Z11ratt_kernelIdEvPKT_PS0_S0_,comdat
.Lfunc_end27:
	.size	_Z11ratt_kernelIdEvPKT_PS0_S0_, .Lfunc_end27-_Z11ratt_kernelIdEvPKT_PS0_S0_
                                        ; -- End function
	.set _Z11ratt_kernelIdEvPKT_PS0_S0_.num_vgpr, 104
	.set _Z11ratt_kernelIdEvPKT_PS0_S0_.num_agpr, 0
	.set _Z11ratt_kernelIdEvPKT_PS0_S0_.numbered_sgpr, 86
	.set _Z11ratt_kernelIdEvPKT_PS0_S0_.num_named_barrier, 0
	.set _Z11ratt_kernelIdEvPKT_PS0_S0_.private_seg_size, 0
	.set _Z11ratt_kernelIdEvPKT_PS0_S0_.uses_vcc, 1
	.set _Z11ratt_kernelIdEvPKT_PS0_S0_.uses_flat_scratch, 0
	.set _Z11ratt_kernelIdEvPKT_PS0_S0_.has_dyn_sized_stack, 0
	.set _Z11ratt_kernelIdEvPKT_PS0_S0_.has_recursion, 0
	.set _Z11ratt_kernelIdEvPKT_PS0_S0_.has_indirect_call, 0
	.section	.AMDGPU.csdata,"",@progbits
; Kernel info:
; codeLenInByte = 36044
; TotalNumSgprs: 88
; NumVgprs: 104
; ScratchSize: 0
; MemoryBound: 0
; FloatMode: 240
; IeeeMode: 1
; LDSByteSize: 0 bytes/workgroup (compile time only)
; SGPRBlocks: 0
; VGPRBlocks: 12
; NumSGPRsForWavesPerEU: 88
; NumVGPRsForWavesPerEU: 104
; Occupancy: 12
; WaveLimiterHint : 0
; COMPUTE_PGM_RSRC2:SCRATCH_EN: 0
; COMPUTE_PGM_RSRC2:USER_SGPR: 2
; COMPUTE_PGM_RSRC2:TRAP_HANDLER: 0
; COMPUTE_PGM_RSRC2:TGID_X_EN: 1
; COMPUTE_PGM_RSRC2:TGID_Y_EN: 0
; COMPUTE_PGM_RSRC2:TGID_Z_EN: 0
; COMPUTE_PGM_RSRC2:TIDIG_COMP_CNT: 0
	.section	.text._Z12rdsmh_kernelIdEvPKT_PS0_S0_,"axG",@progbits,_Z12rdsmh_kernelIdEvPKT_PS0_S0_,comdat
	.protected	_Z12rdsmh_kernelIdEvPKT_PS0_S0_ ; -- Begin function _Z12rdsmh_kernelIdEvPKT_PS0_S0_
	.globl	_Z12rdsmh_kernelIdEvPKT_PS0_S0_
	.p2align	8
	.type	_Z12rdsmh_kernelIdEvPKT_PS0_S0_,@function
_Z12rdsmh_kernelIdEvPKT_PS0_S0_:        ; @_Z12rdsmh_kernelIdEvPKT_PS0_S0_
; %bb.0:
	s_clause 0x1
	s_load_b32 s2, s[0:1], 0x24
	s_load_b128 s[8:11], s[0:1], 0x0
	s_mov_b32 s4, 0x6b47b09a
	s_mov_b32 s6, 0xbf559e2b
	;; [unrolled: 1-line block ×4, first 2 shown]
	s_wait_kmcnt 0x0
	s_and_b32 s3, s2, 0xffff
	s_load_b96 s[0:2], s[0:1], 0x10
	v_mad_co_u64_u32 v[0:1], null, ttmp9, s3, v[0:1]
	s_wait_kmcnt 0x0
	s_mul_i32 s33, s2, s3
	v_mov_b32_e32 v1, 0
	s_delay_alu instid0(VALU_DEP_1) | instskip(NEXT) | instid1(VALU_DEP_1)
	v_lshlrev_b64_e32 v[9:10], 3, v[0:1]
	v_add_co_u32 v2, vcc_lo, s8, v9
	s_delay_alu instid0(VALU_DEP_1)
	v_add_co_ci_u32_e64 v3, null, s9, v10, vcc_lo
	s_mov_b32 s9, 0x3fe62e42
	s_mov_b32 s8, 0xfefa39ef
	global_load_b64 v[2:3], v[2:3], off
	s_wait_loadcnt 0x0
	v_mul_f64_e32 v[2:3], s[0:1], v[2:3]
	s_mov_b32 s1, 0x3fe55555
	s_mov_b32 s0, 0x55555555
	s_delay_alu instid0(VALU_DEP_1) | instskip(SKIP_3) | instid1(VALU_DEP_3)
	v_frexp_mant_f64_e32 v[4:5], v[2:3]
	v_frexp_exp_i32_f64_e32 v8, v[2:3]
	v_div_scale_f64 v[25:26], null, v[2:3], v[2:3], 1.0
	s_wait_alu 0xfffe
	v_cmp_gt_f64_e32 vcc_lo, s[0:1], v[4:5]
	s_mov_b32 s0, 0x55555780
	s_wait_alu 0xfffd
	v_cndmask_b32_e64 v6, 0, 1, vcc_lo
	s_delay_alu instid0(VALU_DEP_4) | instskip(NEXT) | instid1(VALU_DEP_2)
	v_subrev_co_ci_u32_e64 v8, null, 0, v8, vcc_lo
	v_ldexp_f64 v[4:5], v[4:5], v6
	s_delay_alu instid0(VALU_DEP_1) | instskip(SKIP_1) | instid1(VALU_DEP_2)
	v_add_f64_e32 v[6:7], 1.0, v[4:5]
	v_add_f64_e32 v[15:16], -1.0, v[4:5]
	v_rcp_f64_e32 v[11:12], v[6:7]
	v_add_f64_e32 v[17:18], -1.0, v[6:7]
	s_delay_alu instid0(VALU_DEP_1) | instskip(NEXT) | instid1(TRANS32_DEP_1)
	v_add_f64_e64 v[4:5], v[4:5], -v[17:18]
	v_fma_f64 v[13:14], -v[6:7], v[11:12], 1.0
	s_delay_alu instid0(VALU_DEP_1) | instskip(NEXT) | instid1(VALU_DEP_1)
	v_fma_f64 v[11:12], v[13:14], v[11:12], v[11:12]
	v_fma_f64 v[13:14], -v[6:7], v[11:12], 1.0
	s_delay_alu instid0(VALU_DEP_1) | instskip(NEXT) | instid1(VALU_DEP_1)
	v_fma_f64 v[11:12], v[13:14], v[11:12], v[11:12]
	v_mul_f64_e32 v[13:14], v[15:16], v[11:12]
	s_delay_alu instid0(VALU_DEP_1) | instskip(NEXT) | instid1(VALU_DEP_1)
	v_mul_f64_e32 v[19:20], v[6:7], v[13:14]
	v_fma_f64 v[6:7], v[13:14], v[6:7], -v[19:20]
	s_delay_alu instid0(VALU_DEP_1) | instskip(NEXT) | instid1(VALU_DEP_1)
	v_fma_f64 v[4:5], v[13:14], v[4:5], v[6:7]
	v_add_f64_e32 v[6:7], v[19:20], v[4:5]
	s_delay_alu instid0(VALU_DEP_1) | instskip(SKIP_1) | instid1(VALU_DEP_2)
	v_add_f64_e64 v[17:18], v[15:16], -v[6:7]
	v_add_f64_e64 v[19:20], v[6:7], -v[19:20]
	;; [unrolled: 1-line block ×3, first 2 shown]
	s_delay_alu instid0(VALU_DEP_2) | instskip(NEXT) | instid1(VALU_DEP_2)
	v_add_f64_e64 v[4:5], v[19:20], -v[4:5]
	v_add_f64_e64 v[6:7], v[15:16], -v[6:7]
	s_delay_alu instid0(VALU_DEP_1) | instskip(NEXT) | instid1(VALU_DEP_1)
	v_add_f64_e32 v[4:5], v[4:5], v[6:7]
	v_add_f64_e32 v[4:5], v[17:18], v[4:5]
	s_delay_alu instid0(VALU_DEP_1) | instskip(NEXT) | instid1(VALU_DEP_1)
	v_mul_f64_e32 v[4:5], v[11:12], v[4:5]
	v_add_f64_e32 v[6:7], v[13:14], v[4:5]
	s_delay_alu instid0(VALU_DEP_1) | instskip(NEXT) | instid1(VALU_DEP_1)
	v_mul_f64_e32 v[11:12], v[6:7], v[6:7]
	v_fma_f64 v[15:16], v[11:12], s[6:7], s[4:5]
	s_mov_b32 s4, 0xd7f4df2e
	s_mov_b32 s5, 0x3fc7474d
	v_mul_f64_e32 v[17:18], v[6:7], v[11:12]
	s_mov_b32 s7, 0x3c7abc9e
	s_mov_b32 s6, 0x3b39803f
	s_wait_alu 0xfffe
	s_delay_alu instid0(VALU_DEP_2) | instskip(SKIP_3) | instid1(VALU_DEP_1)
	v_fma_f64 v[15:16], v[11:12], v[15:16], s[4:5]
	s_mov_b32 s4, 0x16291751
	s_mov_b32 s5, 0x3fcc71c0
	s_wait_alu 0xfffe
	v_fma_f64 v[15:16], v[11:12], v[15:16], s[4:5]
	s_mov_b32 s4, 0x9b27acf1
	s_mov_b32 s5, 0x3fd24924
	s_wait_alu 0xfffe
	s_delay_alu instid0(VALU_DEP_1) | instskip(SKIP_3) | instid1(VALU_DEP_1)
	v_fma_f64 v[15:16], v[11:12], v[15:16], s[4:5]
	s_mov_b32 s4, 0x998ef7b6
	s_mov_b32 s5, 0x3fd99999
	s_wait_alu 0xfffe
	v_fma_f64 v[15:16], v[11:12], v[15:16], s[4:5]
	s_delay_alu instid0(VALU_DEP_1) | instskip(SKIP_3) | instid1(VALU_DEP_4)
	v_fma_f64 v[11:12], v[11:12], v[15:16], s[0:1]
	v_ldexp_f64 v[15:16], v[6:7], 1
	v_add_f64_e64 v[6:7], v[6:7], -v[13:14]
	v_cmp_class_f64_e64 s0, v[2:3], 0x204
	v_mul_f64_e32 v[11:12], v[17:18], v[11:12]
	v_cvt_f64_i32_e32 v[17:18], v8
	s_delay_alu instid0(VALU_DEP_4) | instskip(SKIP_1) | instid1(VALU_DEP_4)
	v_add_f64_e64 v[4:5], v[4:5], -v[6:7]
	v_add_nc_u32_e32 v8, s33, v0
	v_add_f64_e32 v[13:14], v[15:16], v[11:12]
	s_delay_alu instid0(VALU_DEP_4) | instskip(NEXT) | instid1(VALU_DEP_4)
	v_mul_f64_e32 v[19:20], s[8:9], v[17:18]
	v_ldexp_f64 v[4:5], v[4:5], 1
	s_delay_alu instid0(VALU_DEP_3) | instskip(NEXT) | instid1(VALU_DEP_3)
	v_add_f64_e64 v[6:7], v[13:14], -v[15:16]
	v_fma_f64 v[15:16], v[17:18], s[8:9], -v[19:20]
	s_delay_alu instid0(VALU_DEP_2) | instskip(NEXT) | instid1(VALU_DEP_2)
	v_add_f64_e64 v[6:7], v[11:12], -v[6:7]
	v_fma_f64 v[11:12], v[17:18], s[6:7], v[15:16]
	s_delay_alu instid0(VALU_DEP_2) | instskip(NEXT) | instid1(VALU_DEP_2)
	v_add_f64_e32 v[4:5], v[4:5], v[6:7]
	v_add_f64_e32 v[6:7], v[19:20], v[11:12]
	s_delay_alu instid0(VALU_DEP_2) | instskip(NEXT) | instid1(VALU_DEP_2)
	v_add_f64_e32 v[15:16], v[13:14], v[4:5]
	v_add_f64_e64 v[19:20], v[6:7], -v[19:20]
	s_delay_alu instid0(VALU_DEP_2) | instskip(SKIP_1) | instid1(VALU_DEP_3)
	v_add_f64_e32 v[17:18], v[6:7], v[15:16]
	v_add_f64_e64 v[13:14], v[15:16], -v[13:14]
	v_add_f64_e64 v[11:12], v[11:12], -v[19:20]
	s_delay_alu instid0(VALU_DEP_3) | instskip(NEXT) | instid1(VALU_DEP_3)
	v_add_f64_e64 v[21:22], v[17:18], -v[6:7]
	v_add_f64_e64 v[4:5], v[4:5], -v[13:14]
	s_delay_alu instid0(VALU_DEP_2) | instskip(SKIP_2) | instid1(VALU_DEP_3)
	v_add_f64_e64 v[23:24], v[17:18], -v[21:22]
	v_add_f64_e64 v[13:14], v[15:16], -v[21:22]
	v_rcp_f64_e32 v[15:16], v[25:26]
	v_add_f64_e32 v[19:20], v[11:12], v[4:5]
	s_delay_alu instid0(VALU_DEP_3) | instskip(NEXT) | instid1(VALU_DEP_2)
	v_add_f64_e64 v[6:7], v[6:7], -v[23:24]
	v_add_f64_e64 v[21:22], v[19:20], -v[11:12]
	s_delay_alu instid0(VALU_DEP_2) | instskip(NEXT) | instid1(TRANS32_DEP_1)
	v_add_f64_e32 v[6:7], v[13:14], v[6:7]
	v_fma_f64 v[13:14], -v[25:26], v[15:16], 1.0
	s_delay_alu instid0(VALU_DEP_3) | instskip(NEXT) | instid1(VALU_DEP_3)
	v_add_f64_e64 v[4:5], v[4:5], -v[21:22]
	v_add_f64_e32 v[6:7], v[19:20], v[6:7]
	s_delay_alu instid0(VALU_DEP_3) | instskip(SKIP_1) | instid1(VALU_DEP_3)
	v_fma_f64 v[13:14], v[15:16], v[13:14], v[15:16]
	v_add_f64_e64 v[15:16], v[19:20], -v[21:22]
	v_add_f64_e32 v[19:20], v[17:18], v[6:7]
	s_delay_alu instid0(VALU_DEP_3) | instskip(NEXT) | instid1(VALU_DEP_3)
	v_fma_f64 v[23:24], -v[25:26], v[13:14], 1.0
	v_add_f64_e64 v[11:12], v[11:12], -v[15:16]
	s_delay_alu instid0(VALU_DEP_3) | instskip(SKIP_1) | instid1(VALU_DEP_3)
	v_add_f64_e64 v[15:16], v[19:20], -v[17:18]
	v_div_scale_f64 v[17:18], vcc_lo, 1.0, v[2:3], 1.0
	v_add_f64_e32 v[4:5], v[4:5], v[11:12]
	v_fma_f64 v[13:14], v[13:14], v[23:24], v[13:14]
	s_delay_alu instid0(VALU_DEP_4) | instskip(NEXT) | instid1(VALU_DEP_2)
	v_add_f64_e64 v[6:7], v[6:7], -v[15:16]
	v_mul_f64_e32 v[11:12], v[17:18], v[13:14]
	s_delay_alu instid0(VALU_DEP_2) | instskip(NEXT) | instid1(VALU_DEP_2)
	v_add_f64_e32 v[4:5], v[4:5], v[6:7]
	v_fma_f64 v[6:7], -v[25:26], v[11:12], v[17:18]
	s_delay_alu instid0(VALU_DEP_2) | instskip(SKIP_1) | instid1(VALU_DEP_2)
	v_add_f64_e32 v[4:5], v[19:20], v[4:5]
	s_wait_alu 0xfffd
	v_div_fmas_f64 v[6:7], v[6:7], v[13:14], v[11:12]
                                        ; implicit-def: $vgpr11_vgpr12
                                        ; implicit-def: $vgpr13_vgpr14
	s_wait_alu 0xf1ff
	s_delay_alu instid0(VALU_DEP_2) | instskip(NEXT) | instid1(VALU_DEP_3)
	v_cndmask_b32_e64 v5, v5, v3, s0
	v_cndmask_b32_e64 v4, v4, v2, s0
	v_cmp_ngt_f64_e64 s0, 0, v[2:3]
	s_delay_alu instid0(VALU_DEP_4) | instskip(NEXT) | instid1(VALU_DEP_3)
	v_div_fixup_f64 v[6:7], v[6:7], v[2:3], 1.0
	v_add_f64_e32 v[4:5], -1.0, v[4:5]
	s_wait_alu 0xf1ff
	s_delay_alu instid0(VALU_DEP_1) | instskip(SKIP_2) | instid1(VALU_DEP_1)
	v_cndmask_b32_e64 v5, 0x7ff80000, v5, s0
	v_cmp_nge_f64_e64 s0, 0, v[2:3]
	s_wait_alu 0xf1ff
	v_cndmask_b32_e64 v4, 0, v4, s0
	v_cmp_neq_f64_e64 s0, 0, v[2:3]
	s_wait_alu 0xf1ff
	s_delay_alu instid0(VALU_DEP_1)
	v_cndmask_b32_e64 v5, 0xfff00000, v5, s0
	s_mov_b32 s0, exec_lo
	v_cmpx_nlt_f64_e32 0x408f4000, v[2:3]
	s_wait_alu 0xfffe
	s_xor_b32 s72, exec_lo, s0
	s_cbranch_execz .LBB28_2
; %bb.1:
	s_mov_b32 s0, 0x3f5fda7
	s_mov_b32 s2, 0xecc7a7b5
	s_mov_b32 s1, 0x3e1cdbb2
	s_mov_b32 s3, 0xbd59f3d0
	s_mov_b32 s4, 0x759749d1
	s_wait_alu 0xfffe
	v_fma_f64 v[11:12], v[2:3], s[2:3], s[0:1]
	s_mov_b32 s0, 0x496161b4
	s_mov_b32 s2, 0x3bfb58d1
	s_mov_b32 s1, 0x3fe5db38
	s_mov_b32 s3, 0x408caf7b
	s_mov_b32 s5, 0xbecb3b80
	s_wait_alu 0xfffe
	v_fma_f64 v[13:14], v[6:7], s[2:3], s[0:1]
	;; [unrolled: 7-line block ×3, first 2 shown]
	s_mov_b32 s0, 0xac9b2911
	s_mov_b32 s2, 0x5caab342
	;; [unrolled: 1-line block ×9, first 2 shown]
	v_fma_f64 v[17:18], v[2:3], s[16:17], s[14:15]
	s_mov_b32 s14, 0x3497b741
	s_mov_b32 s16, 0x2cda255f
	;; [unrolled: 1-line block ×15, first 2 shown]
	v_fma_f64 v[11:12], v[2:3], v[11:12], s[4:5]
	s_mov_b32 s4, 0xdfaaca22
	s_mov_b32 s5, 0xbe0bb876
	;; [unrolled: 1-line block ×3, first 2 shown]
	s_wait_alu 0xfffe
	v_fma_f64 v[19:20], v[2:3], s[12:13], s[4:5]
	s_mov_b32 s4, 0xaab581f1
	v_fma_f64 v[13:14], v[4:5], s[0:1], v[13:14]
	s_mov_b32 s0, 0xad546a18
	s_mov_b32 s1, 0xbfdc9673
	;; [unrolled: 1-line block ×5, first 2 shown]
	s_wait_alu 0xfffe
	v_fma_f64 v[15:16], v[2:3], v[15:16], s[4:5]
	s_mov_b32 s4, 0x592d2311
	s_mov_b32 s5, 0x3eb2934a
	v_fma_f64 v[27:28], v[6:7], s[14:15], s[12:13]
	s_mov_b32 s12, 0x652b82fe
	s_mov_b32 s14, 0x66c8c0df
	;; [unrolled: 1-line block ×6, first 2 shown]
	s_wait_alu 0xfffe
	v_fma_f64 v[25:26], v[2:3], v[17:18], s[4:5]
	s_mov_b32 s4, 0xbce74b0f
	s_mov_b32 s5, 0x3d3332bd
	;; [unrolled: 1-line block ×13, first 2 shown]
	v_fma_f64 v[61:62], v[2:3], s[60:61], s[58:59]
	s_mov_b32 s56, 0xbe1b8171
	v_fma_f64 v[11:12], v[2:3], v[11:12], s[2:3]
	s_mov_b32 s2, 0x3bcd35a8
	s_mov_b32 s3, 0xc0d8e06a
	;; [unrolled: 1-line block ×3, first 2 shown]
	s_wait_alu 0xfffe
	v_fma_f64 v[21:22], v[6:7], s[2:3], s[0:1]
	s_mov_b32 s0, 0x1702251e
	s_mov_b32 s2, 0x96bb98c8
	;; [unrolled: 1-line block ×4, first 2 shown]
	v_fma_f64 v[19:20], v[2:3], v[19:20], s[16:17]
	s_wait_alu 0xfffe
	v_fma_f64 v[23:24], v[6:7], s[2:3], s[0:1]
	s_mov_b32 s2, 0x38718345
	s_mov_b32 s3, 0xbdf639cd
	;; [unrolled: 1-line block ×5, first 2 shown]
	s_wait_alu 0xfffe
	v_fma_f64 v[15:16], v[2:3], v[15:16], s[0:1]
	s_mov_b32 s0, 0x6bdbf12d
	s_mov_b32 s1, 0x4009589c
	s_mov_b32 s24, 0x11122322
	s_mov_b32 s42, 0xe1e3346d
	s_mov_b32 s44, 0x41205bc0
	s_mov_b32 s40, 0x932e9587
	s_mov_b32 s46, 0x48d028
	s_mov_b32 s48, 0xb1c432ca
	s_mov_b32 s58, 0x3d9fc7e3
	s_mov_b32 s68, 0xfa14af60
	s_mov_b32 s70, 0xa708a0d3
	s_mov_b32 s64, 0x15bab05d
	s_mov_b32 s66, 0x1c91768b
	s_mov_b32 s60, 0xbdaf257e
	s_mov_b32 s62, 0x21fd8e05
	s_mov_b32 s25, 0x3f811111
	s_mov_b32 s43, 0x400b7afb
	s_mov_b32 s45, 0x40d149a5
	s_mov_b32 s41, 0x3ec7652d
	s_mov_b32 s47, 0x4000ac0e
	s_mov_b32 s49, 0xc0f148d4
	v_fma_f64 v[17:18], v[2:3], v[11:12], v[13:14]
	v_fma_f64 v[11:12], v[2:3], s[4:5], s[2:3]
	s_mov_b32 s2, 0xe5787a18
	s_mov_b32 s4, 0x7ae5fa45
	v_fma_f64 v[13:14], 0x40040000, v[4:5], v[21:22]
	s_mov_b32 s3, 0xbf5add3a
	s_mov_b32 s5, 0x400e4278
	;; [unrolled: 1-line block ×5, first 2 shown]
	s_wait_alu 0xfffe
	v_fma_f64 v[21:22], v[4:5], s[0:1], v[23:24]
	v_fma_f64 v[23:24], v[2:3], v[25:26], s[2:3]
	;; [unrolled: 1-line block ×4, first 2 shown]
	s_mov_b32 s0, 0xdb54f242
	s_mov_b32 s2, 0x3f290abb
	;; [unrolled: 1-line block ×6, first 2 shown]
	s_wait_alu 0xfffe
	v_fma_f64 v[35:36], v[6:7], s[2:3], s[0:1]
	s_mov_b32 s0, 0xc927d1ab
	s_mov_b32 s2, 0x86e71c7d
	;; [unrolled: 1-line block ×8, first 2 shown]
	v_fma_f64 v[67:68], v[2:3], s[70:71], s[68:69]
	v_fma_f64 v[69:70], v[6:7], s[44:45], s[42:43]
	;; [unrolled: 1-line block ×4, first 2 shown]
	s_wait_alu 0xfffe
	v_fma_f64 v[75:76], v[2:3], s[62:63], s[60:61]
	v_fma_f64 v[61:62], v[2:3], v[61:62], s[58:59]
	s_mov_b32 s38, 0x53b75995
	s_mov_b32 s39, 0xbf6373d0
	;; [unrolled: 1-line block ×3, first 2 shown]
	v_mul_f64_e32 v[31:32], s[12:13], v[17:18]
	v_fma_f64 v[11:12], v[2:3], v[11:12], s[4:5]
	s_mov_b32 s4, 0x54155c03
	s_mov_b32 s5, 0x3eb23b7c
	v_fma_f64 v[29:30], v[2:3], v[15:16], v[13:14]
	s_mov_b32 s42, 0x339e18d3
	s_mov_b32 s44, 0x613ff21a
	;; [unrolled: 1-line block ×6, first 2 shown]
	v_fma_f64 v[19:20], v[2:3], v[23:24], v[21:22]
	s_mov_b32 s62, 0xa80c32ff
	v_fma_f64 v[15:16], v[2:3], v[27:28], v[25:26]
	s_mov_b32 s21, 0x3fa55555
	s_mov_b32 s43, 0x3e9f42aa
	;; [unrolled: 1-line block ×6, first 2 shown]
	v_fma_f64 v[13:14], v[4:5], s[0:1], v[35:36]
	s_mov_b32 s0, 0x340991cc
	s_mov_b32 s1, 0xbdff6d73
	;; [unrolled: 1-line block ×4, first 2 shown]
	s_wait_alu 0xfffe
	v_fma_f64 v[79:80], v[6:7], s[46:47], s[44:45]
	v_fma_f64 v[81:82], v[6:7], s[60:61], s[58:59]
	s_mov_b32 s16, 0x55555511
	s_mov_b32 s44, 0x81608816
	v_fma_f64 v[67:68], v[2:3], v[67:68], s[42:43]
	s_mov_b32 s42, 0x5d17324c
	s_mov_b32 s46, 0x5fda8f8
	v_fma_f64 v[73:74], v[2:3], v[73:74], s[48:49]
	v_fma_f64 v[75:76], v[2:3], v[75:76], s[62:63]
	s_mov_b32 s48, 0x83a1a924
	s_mov_b32 s17, 0x3fc55555
	;; [unrolled: 1-line block ×4, first 2 shown]
	v_rndne_f64_e32 v[33:34], v[31:32]
	v_fma_f64 v[11:12], v[2:3], v[11:12], s[2:3]
	s_mov_b32 s2, 0x63eb52f4
	s_mov_b32 s3, 0x3d38f039
	v_mul_f64_e32 v[21:22], s[12:13], v[29:30]
	s_mov_b32 s47, 0x3dec2a6c
	s_mov_b32 s49, 0xbd002ddb
	;; [unrolled: 1-line block ×3, first 2 shown]
	s_wait_alu 0xfffe
	v_fma_f64 v[89:90], v[2:3], s[48:49], s[46:47]
	s_mov_b32 s15, 0x3fe00000
	s_mov_b32 s46, 0xf1cd550
	v_mul_f64_e32 v[23:24], s[12:13], v[19:20]
	s_mov_b32 s47, 0x3d69e316
	v_mul_f64_e32 v[25:26], s[12:13], v[15:16]
	s_mov_b32 s48, 0xbc2922ba
	s_mov_b32 s49, 0xbe38c0bf
	v_fma_f64 v[81:82], v[4:5], s[42:43], v[81:82]
	s_mov_b32 s42, 0xad97a807
	s_mov_b32 s43, 0x3ed21ebb
	v_fma_f64 v[75:76], v[2:3], v[75:76], s[44:45]
	;; [unrolled: 3-line block ×3, first 2 shown]
	v_fma_f64 v[11:12], v[2:3], v[11:12], v[13:14]
	v_fma_f64 v[13:14], v[2:3], s[2:3], s[0:1]
	s_mov_b32 s0, 0x97d38a9b
	v_rndne_f64_e32 v[45:46], v[21:22]
	s_mov_b32 s2, 0x8240b780
	s_mov_b32 s1, 0xbfeb2b45
	s_mov_b32 s3, 0x40dd956e
	v_rndne_f64_e32 v[43:44], v[23:24]
	v_rndne_f64_e32 v[41:42], v[25:26]
	s_wait_alu 0xfffe
	v_fma_f64 v[25:26], v[6:7], s[2:3], s[0:1]
	s_mov_b32 s0, 0x6e536fbf
	s_mov_b32 s2, 0x3b84c925
	;; [unrolled: 1-line block ×4, first 2 shown]
	v_fma_f64 v[49:50], v[33:34], s[6:7], v[27:28]
	v_mul_f64_e32 v[21:22], s[12:13], v[11:12]
	v_fma_f64 v[13:14], v[2:3], v[13:14], s[4:5]
	s_mov_b32 s4, 0x603eb53
	v_fma_f64 v[23:24], v[45:46], s[8:9], v[29:30]
	s_mov_b32 s5, 0xbe2160b2
	s_wait_alu 0xfffe
	v_fma_f64 v[55:56], v[2:3], s[36:37], s[4:5]
	s_mov_b32 s36, 0x48f63e0a
	s_mov_b32 s4, 0x431acf9e
	;; [unrolled: 1-line block ×3, first 2 shown]
	v_fma_f64 v[27:28], v[43:44], s[8:9], v[19:20]
	s_mov_b32 s5, 0xbf31c986
	v_fma_f64 v[35:36], v[41:42], s[8:9], v[15:16]
	s_wait_alu 0xfffe
	v_fma_f64 v[69:70], v[4:5], s[36:37], v[69:70]
	s_mov_b32 s36, 0x7731d0ca
	s_mov_b32 s37, 0x3d6d533a
	v_fma_f64 v[37:38], v[49:50], s[22:23], s[18:19]
	v_rndne_f64_e32 v[31:32], v[21:22]
	v_fma_f64 v[21:22], v[4:5], s[0:1], v[25:26]
	v_fma_f64 v[13:14], v[2:3], v[13:14], s[2:3]
	;; [unrolled: 1-line block ×3, first 2 shown]
	s_mov_b32 s0, 0x85c82b7d
	s_mov_b32 s1, 0x400dbbb9
	v_fma_f64 v[55:56], v[2:3], v[55:56], s[56:57]
	s_wait_alu 0xfffe
	v_fma_f64 v[63:64], v[6:7], s[54:55], s[0:1]
	s_mov_b32 s2, 0x899bcaa1
	s_mov_b32 s3, 0x4011350a
	v_fma_f64 v[57:58], v[43:44], s[6:7], v[27:28]
	s_mov_b32 s54, 0x65ab5584
	v_fma_f64 v[59:60], v[41:42], s[6:7], v[35:36]
	s_mov_b32 s56, 0x487fcb92
	s_mov_b32 s55, 0x3ff90021
	;; [unrolled: 1-line block ×4, first 2 shown]
	s_wait_alu 0xfffe
	v_fma_f64 v[77:78], v[6:7], s[56:57], s[54:55]
	s_mov_b32 s1, 0x400e19f7
	v_fma_f64 v[23:24], v[49:50], v[37:38], s[28:29]
	v_fma_f64 v[25:26], v[31:32], s[8:9], v[11:12]
	v_add_co_u32 v37, vcc_lo, s10, v9
	v_fma_f64 v[27:28], v[51:52], s[22:23], s[18:19]
	v_fma_f64 v[13:14], v[2:3], v[13:14], v[21:22]
	v_mov_b32_e32 v9, v1
	v_fma_f64 v[55:56], v[2:3], v[55:56], s[38:39]
	v_fma_f64 v[63:64], v[4:5], s[2:3], v[63:64]
	s_mov_b32 s2, 0xe035346a
	s_mov_b32 s38, 0x52eb8373
	v_fma_f64 v[21:22], v[57:58], s[22:23], s[18:19]
	s_mov_b32 s3, 0x4010cb5e
	v_fma_f64 v[35:36], v[59:60], s[22:23], s[18:19]
	s_mov_b32 s39, 0xbf536326
	s_wait_alu 0xfffe
	v_fma_f64 v[79:80], v[4:5], s[2:3], v[79:80]
	v_fma_f64 v[73:74], v[2:3], v[73:74], s[38:39]
	s_mov_b32 s2, 0xe274a9cb
	v_fma_f64 v[77:78], v[4:5], s[0:1], v[77:78]
	s_mov_b32 s0, 0xa9253b9f
	s_mov_b32 s1, 0x3ee1308e
	;; [unrolled: 1-line block ×5, first 2 shown]
	s_wait_alu 0xfffd
	v_add_co_ci_u32_e64 v38, null, s11, v10, vcc_lo
	v_lshlrev_b64_e32 v[9:10], 3, v[8:9]
	s_delay_alu instid0(VALU_DEP_1) | instskip(SKIP_1) | instid1(VALU_DEP_2)
	v_add_co_u32 v9, vcc_lo, s10, v9
	s_wait_alu 0xfffd
	v_add_co_ci_u32_e64 v10, null, s11, v10, vcc_lo
	v_cmp_nlt_f64_e32 vcc_lo, 0x40900000, v[17:18]
	v_fma_f64 v[23:24], v[49:50], v[23:24], s[30:31]
	v_fma_f64 v[53:54], v[31:32], s[6:7], v[25:26]
	;; [unrolled: 1-line block ×3, first 2 shown]
	v_mul_f64_e32 v[27:28], s[12:13], v[13:14]
	v_fma_f64 v[55:56], v[2:3], v[55:56], v[63:64]
	v_fma_f64 v[21:22], v[57:58], v[21:22], s[28:29]
	;; [unrolled: 1-line block ×6, first 2 shown]
	v_rndne_f64_e32 v[47:48], v[27:28]
	v_mul_f64_e32 v[93:94], s[12:13], v[55:56]
	v_fma_f64 v[21:22], v[57:58], v[21:22], s[30:31]
	v_fma_f64 v[27:28], v[59:60], v[35:36], s[30:31]
	;; [unrolled: 1-line block ×3, first 2 shown]
	s_mov_b32 s52, 0xfde64a4c
	s_mov_b32 s50, 0xfea885d
	;; [unrolled: 1-line block ×4, first 2 shown]
	s_wait_alu 0xfffe
	v_fma_f64 v[71:72], v[4:5], s[52:53], v[71:72]
	v_fma_f64 v[61:62], v[2:3], v[61:62], s[50:51]
	s_mov_b32 s50, 0x1efa0089
	s_mov_b32 s52, 0xb9906b82
	;; [unrolled: 1-line block ×4, first 2 shown]
	s_wait_alu 0xfffe
	v_fma_f64 v[87:88], v[2:3], s[52:53], s[50:51]
	v_fma_f64 v[23:24], v[49:50], v[23:24], s[26:27]
	;; [unrolled: 1-line block ×8, first 2 shown]
	s_mov_b32 s40, 0x1614006e
	s_mov_b32 s41, 0x3f3fbf7d
	s_wait_alu 0xfffe
	v_fma_f64 v[67:68], v[2:3], v[67:68], s[40:41]
	s_mov_b32 s40, 0xab83633c
	v_fma_f64 v[61:62], v[2:3], v[61:62], v[71:72]
	s_mov_b32 s41, 0xbeb3eb3e
	v_fma_f64 v[23:24], v[49:50], v[23:24], s[24:25]
	v_fma_f64 v[39:40], v[53:54], v[39:40], s[30:31]
	;; [unrolled: 1-line block ×7, first 2 shown]
	s_mov_b32 s4, 0x4468a2a1
	s_mov_b32 s5, 0xbe315981
	s_wait_alu 0xfffe
	v_fma_f64 v[83:84], v[2:3], s[36:37], s[4:5]
	s_mov_b32 s4, 0xeed001e0
	s_mov_b32 s36, 0xe48e8a72
	;; [unrolled: 1-line block ×4, first 2 shown]
	s_wait_alu 0xfffe
	v_fma_f64 v[71:72], v[6:7], s[36:37], s[4:5]
	s_mov_b32 s4, 0x92797344
	s_mov_b32 s36, 0xb771c6c2
	;; [unrolled: 1-line block ×4, first 2 shown]
	v_fma_f64 v[23:24], v[49:50], v[23:24], s[20:21]
	v_fma_f64 v[39:40], v[53:54], v[39:40], s[34:35]
	;; [unrolled: 1-line block ×8, first 2 shown]
	v_mul_f64_e32 v[79:80], s[12:13], v[61:62]
	v_rndne_f64_e32 v[73:74], v[93:94]
	v_fma_f64 v[83:84], v[2:3], v[83:84], s[0:1]
	s_mov_b32 s0, 0x20c49ba
	s_mov_b32 s1, 0x40cc040b
	s_wait_alu 0xfffe
	v_fma_f64 v[95:96], v[6:7], s[0:1], s[2:3]
	s_mov_b32 s0, 0x20d33445
	s_mov_b32 s2, 0xb6cd6efa
	;; [unrolled: 1-line block ×4, first 2 shown]
	s_wait_alu 0xfffe
	v_fma_f64 v[71:72], v[4:5], s[0:1], v[71:72]
	s_mov_b32 s0, 0x71a4b2fd
	s_mov_b32 s1, 0x400ca2e2
	v_fma_f64 v[69:70], v[49:50], v[23:24], s[16:17]
	v_fma_f64 v[91:92], v[53:54], v[39:40], s[26:27]
	;; [unrolled: 1-line block ×9, first 2 shown]
	s_mov_b32 s4, 0x1343d496
	s_mov_b32 s36, 0x2ab3e914
	v_fma_f64 v[21:22], v[57:58], v[21:22], s[20:21]
	s_mov_b32 s5, 0x4002daac
	v_fma_f64 v[27:28], v[59:60], v[27:28], s[20:21]
	v_mul_f64_e32 v[75:76], s[12:13], v[63:64]
	s_mov_b32 s37, 0x3f726684
	s_mov_b32 s38, 0xd08716ee
	;; [unrolled: 1-line block ×3, first 2 shown]
	v_fma_f64 v[81:82], v[2:3], v[83:84], s[2:3]
	s_mov_b32 s2, 0x8c1ba1b0
	s_mov_b32 s3, 0xbf340004
	;; [unrolled: 1-line block ×3, first 2 shown]
	s_wait_alu 0xfffe
	v_fma_f64 v[89:90], v[4:5], s[0:1], v[95:96]
	v_cmp_nlt_f64_e64 s1, 0x40900000, v[29:30]
	v_cmp_ngt_f64_e64 s0, 0xc090cc00, v[17:18]
	s_mov_b32 s41, 0xc0b3e1c6
	v_fma_f64 v[69:70], v[49:50], v[69:70], s[14:15]
	v_fma_f64 v[83:84], v[53:54], v[91:92], s[24:25]
	;; [unrolled: 1-line block ×7, first 2 shown]
	v_cmp_ngt_f64_e64 s2, 0xc090cc00, v[29:30]
	v_cmp_nlt_f64_e64 s3, 0x40900000, v[19:20]
	v_cmp_ngt_f64_e64 s4, 0xc090cc00, v[19:20]
	v_fma_f64 v[91:92], v[57:58], v[21:22], s[16:17]
	s_mov_b32 s36, 0x59e0e268
	v_fma_f64 v[93:94], v[59:60], v[27:28], s[16:17]
	v_rndne_f64_e32 v[75:76], v[75:76]
	s_mov_b32 s37, 0xbe130fc8
	v_fma_f64 v[27:28], v[2:3], v[81:82], v[71:72]
	v_fma_f64 v[81:82], v[73:74], s[8:9], v[55:56]
	v_fma_f64 v[95:96], v[49:50], v[69:70], 1.0
	v_rndne_f64_e32 v[69:70], v[79:80]
	v_fma_f64 v[71:72], v[53:54], v[83:84], s[20:21]
	v_fma_f64 v[79:80], v[51:52], v[25:26], s[14:15]
	;; [unrolled: 1-line block ×5, first 2 shown]
	v_mul_f64_e32 v[77:78], s[12:13], v[39:40]
	v_fma_f64 v[67:68], v[57:58], v[91:92], s[14:15]
	v_fma_f64 v[85:86], v[59:60], v[93:94], s[14:15]
	;; [unrolled: 1-line block ×4, first 2 shown]
	v_fma_f64 v[89:90], v[49:50], v[95:96], 1.0
	v_fma_f64 v[91:92], v[69:70], s[8:9], v[61:62]
	v_fma_f64 v[71:72], v[53:54], v[71:72], s[16:17]
	v_cvt_i32_f64_e32 v97, v[69:70]
	v_fma_f64 v[93:94], v[51:52], v[79:80], 1.0
	v_fma_f64 v[83:84], v[65:66], v[83:84], s[26:27]
	v_rndne_f64_e32 v[49:50], v[77:78]
	v_fma_f64 v[67:68], v[57:58], v[67:68], 1.0
	v_fma_f64 v[85:86], v[59:60], v[85:86], 1.0
	v_fma_f64 v[79:80], v[75:76], s[6:7], v[87:88]
	v_cvt_i32_f64_e32 v87, v[33:34]
	v_mul_f64_e32 v[33:34], s[12:13], v[35:36]
	v_fma_f64 v[77:78], v[69:70], s[6:7], v[91:92]
	v_cvt_i32_f64_e32 v91, v[45:46]
	v_fma_f64 v[45:46], v[53:54], v[71:72], s[14:15]
	v_fma_f64 v[71:72], v[81:82], s[22:23], s[18:19]
	;; [unrolled: 1-line block ×3, first 2 shown]
	v_cvt_i32_f64_e32 v92, v[43:44]
	v_fma_f64 v[51:52], v[51:52], v[93:94], 1.0
	v_fma_f64 v[43:44], v[49:50], s[8:9], v[39:40]
	v_fma_f64 v[57:58], v[57:58], v[67:68], 1.0
	v_fma_f64 v[59:60], v[59:60], v[85:86], 1.0
	v_fma_f64 v[67:68], v[79:80], s[22:23], s[18:19]
	v_ldexp_f64 v[85:86], v[89:90], v87
	v_rndne_f64_e32 v[33:34], v[33:34]
	v_mul_f64_e32 v[89:90], s[12:13], v[23:24]
	v_fma_f64 v[87:88], v[77:78], s[22:23], s[18:19]
	v_fma_f64 v[45:46], v[53:54], v[45:46], 1.0
	v_fma_f64 v[71:72], v[81:82], v[71:72], s[28:29]
	v_fma_f64 v[83:84], v[65:66], v[83:84], s[20:21]
	v_ldexp_f64 v[51:52], v[51:52], v91
	v_fma_f64 v[43:44], v[49:50], s[6:7], v[43:44]
	v_ldexp_f64 v[57:58], v[57:58], v92
	v_fma_f64 v[67:68], v[79:80], v[67:68], s[28:29]
	s_wait_alu 0xfffd
	v_cndmask_b32_e32 v91, 0x7ff00000, v86, vcc_lo
	s_and_b32 vcc_lo, s0, vcc_lo
	s_wait_alu 0xfffe
	v_cndmask_b32_e32 v85, 0, v85, vcc_lo
	s_and_b32 vcc_lo, s2, s1
	v_fma_f64 v[87:88], v[77:78], v[87:88], s[28:29]
	v_fma_f64 v[45:46], v[53:54], v[45:46], 1.0
	v_fma_f64 v[53:54], v[33:34], s[8:9], v[35:36]
	v_fma_f64 v[71:72], v[81:82], v[71:72], s[30:31]
	;; [unrolled: 1-line block ×3, first 2 shown]
	v_cndmask_b32_e64 v92, 0x7ff00000, v52, s1
	v_fma_f64 v[29:30], v[43:44], s[22:23], s[18:19]
	v_cndmask_b32_e64 v93, 0x7ff00000, v58, s3
	v_mov_b32_e32 v58, v1
	v_fma_f64 v[67:68], v[79:80], v[67:68], s[30:31]
	s_delay_alu instid0(VALU_DEP_3)
	v_cndmask_b32_e64 v94, 0, v93, s4
	v_fma_f64 v[86:87], v[77:78], v[87:88], s[30:31]
	v_fma_f64 v[17:18], v[33:34], s[6:7], v[53:54]
	;; [unrolled: 1-line block ×4, first 2 shown]
	v_cvt_i32_f64_e32 v54, v[41:42]
	v_rndne_f64_e32 v[41:42], v[89:90]
	v_fma_f64 v[29:30], v[43:44], v[29:30], s[28:29]
	v_cndmask_b32_e64 v90, 0, v92, s2
	s_wait_alu 0xfffe
	v_dual_cndmask_b32 v89, 0, v51 :: v_dual_mov_b32 v92, v1
	v_fma_f64 v[67:68], v[79:80], v[67:68], s[34:35]
	v_fma_f64 v[83:84], v[77:78], v[86:87], s[34:35]
	;; [unrolled: 1-line block ×3, first 2 shown]
	v_cndmask_b32_e64 v86, 0, v91, s0
	v_fma_f64 v[19:20], v[17:18], s[22:23], s[18:19]
	v_fma_f64 v[52:53], v[81:82], v[52:53], s[26:27]
	v_fma_f64 v[71:72], v[65:66], v[71:72], 1.0
	v_ldexp_f64 v[59:60], v[59:60], v54
	v_cvt_i32_f64_e32 v54, v[31:32]
	v_add_nc_u32_e32 v31, s33, v8
	global_store_b64 v[37:38], v[85:86], off
	v_mul_f64_e32 v[37:38], s[12:13], v[27:28]
	v_mul_f64_e32 v[85:86], s[12:13], v[25:26]
	global_store_b64 v[9:10], v[89:90], off
	v_fma_f64 v[8:9], v[41:42], s[8:9], v[23:24]
	v_fma_f64 v[89:90], v[43:44], v[29:30], s[30:31]
	;; [unrolled: 1-line block ×3, first 2 shown]
	v_dual_mov_b32 v32, v1 :: v_dual_add_nc_u32 v91, s33, v31
	s_mov_b32 s0, 0xbb8a5a37
	s_mov_b32 s36, 0x426fe719
	s_mov_b32 s38, 0xc64f90c1
	s_delay_alu instid0(VALU_DEP_1)
	v_lshlrev_b64_e32 v[31:32], 3, v[31:32]
	s_mov_b32 s1, 0x400b27ac
	s_mov_b32 s37, 0xc0adff21
	;; [unrolled: 1-line block ×3, first 2 shown]
	v_cvt_i32_f64_e32 v10, v[47:48]
	v_fma_f64 v[67:68], v[77:78], v[83:84], s[26:27]
	v_add_co_u32 v83, vcc_lo, s10, v31
	v_fma_f64 v[19:20], v[17:18], v[19:20], s[28:29]
	v_fma_f64 v[51:52], v[81:82], v[52:53], s[24:25]
	s_wait_alu 0xfffd
	v_add_co_ci_u32_e64 v84, null, s11, v32, vcc_lo
	v_cmp_nlt_f64_e32 vcc_lo, 0x40900000, v[15:16]
	v_fma_f64 v[65:66], v[65:66], v[71:72], 1.0
	s_wait_alu 0xfffe
	v_fma_f64 v[71:72], v[6:7], s[36:37], s[0:1]
	v_fma_f64 v[87:88], v[2:3], v[87:88], s[38:39]
	v_cmp_ngt_f64_e64 s0, 0xc090cc00, v[15:16]
	v_mul_f64_e32 v[15:16], s[12:13], v[21:22]
	v_ldexp_f64 v[47:48], v[45:46], v54
	v_rndne_f64_e32 v[45:46], v[37:38]
	v_rndne_f64_e32 v[53:54], v[85:86]
	v_fma_f64 v[37:38], v[79:80], v[29:30], s[24:25]
	v_fma_f64 v[29:30], v[41:42], s[6:7], v[8:9]
	v_fma_f64 v[8:9], v[43:44], v[89:90], s[34:35]
	s_and_b32 s1, s4, s3
	v_lshlrev_b64_e32 v[85:86], 3, v[91:92]
	s_wait_alu 0xfffe
	v_cndmask_b32_e64 v93, 0, v57, s1
	v_add_nc_u32_e32 v57, s33, v91
	s_mov_b32 s2, 0x8a748d9c
	s_mov_b32 s4, 0x251f436f
	;; [unrolled: 1-line block ×4, first 2 shown]
	v_lshlrev_b64_e32 v[89:90], 3, v[57:58]
	v_add_co_u32 v85, s1, s10, v85
	s_wait_alu 0xf1ff
	v_add_co_ci_u32_e64 v86, null, s11, v86, s1
	global_store_b64 v[83:84], v[93:94], off
	v_add_co_u32 v89, s1, s10, v89
	s_wait_alu 0xf1ff
	v_add_co_ci_u32_e64 v90, null, s11, v90, s1
	v_cmp_nlt_f64_e64 s1, 0x40900000, v[11:12]
	v_fma_f64 v[67:68], v[77:78], v[67:68], s[24:25]
	s_mov_b32 s36, 0xd59a1ba5
	s_mov_b32 s38, 0x3dfa2eee
	v_fma_f64 v[19:20], v[17:18], v[19:20], s[30:31]
	v_fma_f64 v[51:52], v[81:82], v[51:52], s[20:21]
	s_mov_b32 s37, 0xbe2b2679
	s_mov_b32 s39, 0x3d672e83
	s_wait_alu 0xfffd
	v_cndmask_b32_e32 v60, 0x7ff00000, v60, vcc_lo
	v_ldexp_f64 v[93:94], v[65:66], v10
	s_wait_alu 0xfffe
	v_fma_f64 v[71:72], v[4:5], s[2:3], v[71:72]
	v_fma_f64 v[87:88], v[2:3], v[87:88], s[4:5]
	s_and_b32 vcc_lo, s0, vcc_lo
	s_wait_alu 0xfffe
	v_dual_cndmask_b32 v10, 0, v59 :: v_dual_add_nc_u32 v31, s33, v57
	v_rndne_f64_e32 v[57:58], v[15:16]
	v_cmp_ngt_f64_e64 s2, 0xc090cc00, v[11:12]
	v_cndmask_b32_e64 v11, 0, v60, s0
	v_fma_f64 v[83:84], v[2:3], s[38:39], s[36:37]
	v_fma_f64 v[59:60], v[45:46], s[8:9], v[27:28]
	;; [unrolled: 1-line block ×4, first 2 shown]
	global_store_b64 v[85:86], v[10:11], off
	v_fma_f64 v[10:11], v[53:54], s[8:9], v[25:26]
	v_fma_f64 v[85:86], v[29:30], s[22:23], s[18:19]
	v_mov_b32_e32 v32, v1
	s_mov_b32 s4, 0x47636be0
	s_mov_b32 s36, 0x7525460b
	;; [unrolled: 1-line block ×4, first 2 shown]
	v_lshlrev_b64_e32 v[91:92], 3, v[31:32]
	s_mov_b32 s37, 0x40cbf27a
	s_mov_b32 s39, 0x3eda1708
	v_cmp_ngt_f64_e64 s0, 0xc090cc00, v[13:14]
	v_add_nc_u32_e32 v31, s33, v31
	s_delay_alu instid0(VALU_DEP_3)
	v_add_co_u32 v91, vcc_lo, s10, v91
	v_cndmask_b32_e64 v32, 0x7ff00000, v48, s1
	v_fma_f64 v[67:68], v[77:78], v[67:68], s[20:21]
	s_wait_alu 0xfffd
	v_add_co_ci_u32_e64 v92, null, s11, v92, vcc_lo
	v_fma_f64 v[19:20], v[17:18], v[19:20], s[34:35]
	v_fma_f64 v[51:52], v[81:82], v[51:52], s[16:17]
	v_cmp_nlt_f64_e32 vcc_lo, 0x40900000, v[13:14]
	v_cvt_i32_f64_e32 v14, v[73:74]
	v_fma_f64 v[15:16], v[2:3], v[87:88], v[71:72]
	v_fma_f64 v[71:72], v[57:58], s[8:9], v[21:22]
	s_and_b32 s1, s2, s1
	v_cndmask_b32_e64 v13, 0, v32, s2
	s_wait_alu 0xfffe
	v_cndmask_b32_e64 v12, 0, v47, s1
	v_fma_f64 v[47:48], v[6:7], s[36:37], s[4:5]
	v_fma_f64 v[83:84], v[2:3], v[83:84], s[38:39]
	v_fma_f64 v[59:60], v[45:46], s[6:7], v[59:60]
	v_fma_f64 v[8:9], v[43:44], v[8:9], s[24:25]
	v_fma_f64 v[65:66], v[53:54], s[6:7], v[10:11]
	v_fma_f64 v[10:11], v[79:80], v[37:38], s[16:17]
	v_fma_f64 v[37:38], v[29:30], v[85:86], s[28:29]
	s_mov_b32 s2, 0xc2ed4ffa
	s_mov_b32 s4, 0x9984744
	;; [unrolled: 1-line block ×4, first 2 shown]
	global_store_b64 v[89:90], v[12:13], off
	v_cvt_i32_f64_e32 v32, v[75:76]
	s_mov_b32 s36, 0x6846b667
	s_mov_b32 s37, 0x3d2ba34d
	;; [unrolled: 1-line block ×4, first 2 shown]
	v_fma_f64 v[85:86], v[77:78], v[67:68], s[16:17]
	v_fma_f64 v[19:20], v[17:18], v[19:20], s[26:27]
	v_fma_f64 v[51:52], v[81:82], v[51:52], s[14:15]
	s_wait_alu 0xfffd
	v_cndmask_b32_e32 v94, 0x7ff00000, v94, vcc_lo
	s_and_b32 vcc_lo, s0, vcc_lo
	v_mul_f64_e32 v[89:90], s[12:13], v[15:16]
	v_fma_f64 v[67:68], v[57:58], s[6:7], v[71:72]
	s_wait_alu 0xfffe
	v_fma_f64 v[47:48], v[4:5], s[2:3], v[47:48]
	v_fma_f64 v[71:72], v[2:3], v[83:84], s[4:5]
	;; [unrolled: 1-line block ×4, first 2 shown]
	v_cndmask_b32_e64 v9, 0, v94, s0
	v_fma_f64 v[10:11], v[79:80], v[10:11], s[14:15]
	v_cndmask_b32_e32 v8, 0, v93, vcc_lo
	v_fma_f64 v[83:84], v[65:66], s[22:23], s[18:19]
	v_fma_f64 v[37:38], v[29:30], v[37:38], s[30:31]
	s_mov_b32 s0, 0x47e5fda7
	s_mov_b32 s2, 0x52c6841a
	;; [unrolled: 1-line block ×4, first 2 shown]
	global_store_b64 v[91:92], v[8:9], off
	s_wait_alu 0xfffe
	v_fma_f64 v[91:92], v[2:3], s[2:3], s[0:1]
	s_mov_b32 s0, 0x2a942f1
	s_mov_b32 s2, 0xd30d2640
	;; [unrolled: 1-line block ×5, first 2 shown]
	v_fma_f64 v[85:86], v[77:78], v[85:86], s[14:15]
	s_mov_b32 s5, 0x3eaddada
	v_cmp_nlt_f64_e32 vcc_lo, 0x40900000, v[55:56]
	v_fma_f64 v[19:20], v[17:18], v[19:20], s[24:25]
	v_fma_f64 v[51:52], v[81:82], v[51:52], 1.0
	v_fma_f64 v[93:94], v[67:68], s[22:23], s[18:19]
	v_fma_f64 v[8:9], v[2:3], v[71:72], v[47:48]
	s_wait_alu 0xfffe
	v_fma_f64 v[47:48], v[2:3], s[2:3], s[0:1]
	v_fma_f64 v[12:13], v[59:60], v[12:13], s[28:29]
	;; [unrolled: 1-line block ×3, first 2 shown]
	v_fma_f64 v[10:11], v[79:80], v[10:11], 1.0
	v_rndne_f64_e32 v[71:72], v[89:90]
	v_fma_f64 v[83:84], v[65:66], v[83:84], s[28:29]
	v_fma_f64 v[37:38], v[29:30], v[37:38], s[34:35]
	s_mov_b32 s0, 0x24cc6823
	s_mov_b32 s2, 0xd844d01
	;; [unrolled: 1-line block ×4, first 2 shown]
	v_fma_f64 v[89:90], v[2:3], v[91:92], s[4:5]
	s_mov_b32 s4, 0x15d06efb
	s_mov_b32 s5, 0xbed8d40c
	v_fma_f64 v[85:86], v[77:78], v[85:86], 1.0
	v_fma_f64 v[19:20], v[17:18], v[19:20], s[20:21]
	v_fma_f64 v[51:52], v[81:82], v[51:52], 1.0
	s_wait_alu 0xfffe
	v_fma_f64 v[81:82], v[6:7], s[2:3], s[0:1]
	s_mov_b32 s0, 0x6e0c4d1
	s_mov_b32 s2, 0xc3c9eecc
	;; [unrolled: 1-line block ×4, first 2 shown]
	s_wait_alu 0xfffe
	v_fma_f64 v[75:76], v[6:7], s[2:3], s[0:1]
	s_mov_b32 s0, 0x7b95a294
	s_mov_b32 s2, 0xf83733c9
	v_fma_f64 v[73:74], v[67:68], v[93:94], s[28:29]
	s_mov_b32 s1, 0x4000d981
	s_mov_b32 s3, 0x3f6d8f25
	v_fma_f64 v[47:48], v[2:3], v[47:48], s[4:5]
	v_fma_f64 v[12:13], v[59:60], v[12:13], s[30:31]
	;; [unrolled: 1-line block ×3, first 2 shown]
	v_fma_f64 v[79:80], v[79:80], v[10:11], 1.0
	v_mul_f64_e32 v[10:11], s[12:13], v[8:9]
	v_fma_f64 v[83:84], v[65:66], v[83:84], s[30:31]
	v_fma_f64 v[37:38], v[29:30], v[37:38], s[26:27]
	s_mov_b32 s4, 0x2fffba5f
	s_mov_b32 s5, 0xbddbba1d
	s_wait_alu 0xfffe
	v_fma_f64 v[93:94], v[2:3], s[36:37], s[4:5]
	s_mov_b32 s4, 0xe09f2e5b
	v_fma_f64 v[89:90], v[2:3], v[89:90], s[2:3]
	s_mov_b32 s2, 0xf4461617
	s_mov_b32 s3, 0x3f87ec17
	;; [unrolled: 1-line block ×5, first 2 shown]
	v_fma_f64 v[77:78], v[77:78], v[85:86], 1.0
	v_fma_f64 v[85:86], v[71:72], s[8:9], v[15:16]
	v_fma_f64 v[91:92], v[17:18], v[19:20], s[16:17]
	v_ldexp_f64 v[51:52], v[51:52], v14
	v_fma_f64 v[81:82], v[4:5], s[0:1], v[81:82]
	s_mov_b32 s0, 0x2c73f3ba
	s_mov_b32 s1, 0x3fe9e0b7
	s_wait_alu 0xfffe
	v_fma_f64 v[75:76], v[4:5], s[0:1], v[75:76]
	s_mov_b32 s0, 0xfa722186
	s_mov_b32 s1, 0x4017ae7a
	v_fma_f64 v[73:74], v[67:68], v[73:74], s[30:31]
	v_fma_f64 v[47:48], v[2:3], v[47:48], s[2:3]
	;; [unrolled: 1-line block ×3, first 2 shown]
	v_fma_f64 v[87:88], v[43:44], v[87:88], 1.0
	s_mov_b32 s2, 0x6872b021
	v_rndne_f64_e32 v[19:20], v[10:11]
	v_fma_f64 v[83:84], v[65:66], v[83:84], s[34:35]
	v_fma_f64 v[37:38], v[29:30], v[37:38], s[24:25]
	s_mov_b32 s3, 0xc0e7bdb9
	v_ldexp_f64 v[79:80], v[79:80], v32
	v_mov_b32_e32 v32, v1
	v_ldexp_f64 v[77:78], v[77:78], v97
	v_fma_f64 v[69:70], v[71:72], s[6:7], v[85:86]
	v_fma_f64 v[85:86], v[17:18], v[91:92], s[14:15]
	s_wait_alu 0xfffd
	v_cndmask_b32_e32 v14, 0x7ff00000, v52, vcc_lo
	v_fma_f64 v[10:11], v[2:3], v[89:90], v[81:82]
	s_wait_alu 0xfffe
	v_fma_f64 v[81:82], v[6:7], s[2:3], s[0:1]
	v_fma_f64 v[89:90], v[2:3], v[93:94], s[4:5]
	s_mov_b32 s2, 0x6525f486
	s_mov_b32 s4, 0x59362e0e
	;; [unrolled: 1-line block ×4, first 2 shown]
	v_cmp_ngt_f64_e64 s0, 0xc090cc00, v[55:56]
	v_cvt_i32_f64_e32 v52, v[49:50]
	v_fma_f64 v[73:74], v[67:68], v[73:74], s[34:35]
	v_cmp_nlt_f64_e64 s1, 0x40900000, v[63:64]
	v_cvt_i32_f64_e32 v93, v[33:34]
	v_dual_mov_b32 v56, v1 :: v_dual_add_nc_u32 v55, s33, v31
	v_mov_b32_e32 v91, v1
	v_fma_f64 v[12:13], v[2:3], v[47:48], v[75:76]
	v_fma_f64 v[75:76], v[59:60], v[95:96], s[26:27]
	v_fma_f64 v[43:44], v[43:44], v[87:88], 1.0
	v_fma_f64 v[47:48], v[19:20], s[8:9], v[8:9]
	v_fma_f64 v[83:84], v[65:66], v[83:84], s[26:27]
	;; [unrolled: 1-line block ×4, first 2 shown]
	v_fma_f64 v[85:86], v[17:18], v[85:86], 1.0
	s_wait_alu 0xfffe
	v_fma_f64 v[81:82], v[4:5], s[2:3], v[81:82]
	v_fma_f64 v[89:90], v[2:3], v[89:90], s[4:5]
	v_cmp_ngt_f64_e64 s2, 0xc090cc00, v[63:64]
	s_mov_b32 s4, 0x3ca2348d
	s_mov_b32 s5, 0xbe299a26
	v_cmp_nlt_f64_e64 s3, 0x40900000, v[61:62]
	s_wait_alu 0xfffe
	v_fma_f64 v[33:34], v[2:3], s[46:47], s[4:5]
	s_mov_b32 s46, 0x7e223a7d
	v_fma_f64 v[73:74], v[67:68], v[73:74], s[26:27]
	s_mov_b32 s47, 0x3d77bd41
	v_cmp_ngt_f64_e64 s4, 0xc090cc00, v[61:62]
	v_lshlrev_b64_e32 v[61:62], 3, v[31:32]
	s_wait_alu 0xfffe
	v_fma_f64 v[31:32], v[2:3], s[46:47], s[48:49]
	s_and_b32 vcc_lo, s0, vcc_lo
	v_cndmask_b32_e64 v92, 0x7ff00000, v80, s1
	s_delay_alu instid0(VALU_DEP_3)
	v_add_co_u32 v61, s5, s10, v61
	v_fma_f64 v[63:64], v[19:20], s[6:7], v[47:48]
	v_fma_f64 v[47:48], v[59:60], v[75:76], s[24:25]
	;; [unrolled: 1-line block ×4, first 2 shown]
	s_wait_alu 0xf1ff
	v_add_co_ci_u32_e64 v62, null, s11, v62, s5
	v_fma_f64 v[75:76], v[69:70], v[87:88], s[28:29]
	v_fma_f64 v[83:84], v[17:18], v[85:86], 1.0
	v_ldexp_f64 v[85:86], v[43:44], v52
	v_cndmask_b32_e64 v44, 0, v14, s0
	s_wait_alu 0xfffe
	v_cndmask_b32_e32 v43, 0, v51, vcc_lo
	v_fma_f64 v[17:18], v[2:3], v[89:90], v[81:82]
	v_add_nc_u32_e32 v90, s33, v55
	v_lshlrev_b64_e32 v[55:56], 3, v[55:56]
	v_cndmask_b32_e64 v88, 0, v92, s2
	global_store_b64 v[61:62], v[43:44], off
	v_fma_f64 v[80:81], v[6:7], s[44:45], s[36:37]
	v_mul_f64_e32 v[43:44], s[12:13], v[12:13]
	v_fma_f64 v[73:74], v[67:68], v[73:74], s[24:25]
	v_add_co_u32 v51, vcc_lo, s10, v55
	s_wait_alu 0xfffd
	v_add_co_ci_u32_e64 v52, null, s11, v56, vcc_lo
	s_and_b32 vcc_lo, s2, s1
	v_mul_f64_e32 v[55:56], s[12:13], v[10:11]
	s_wait_alu 0xfffe
	v_cndmask_b32_e32 v87, 0, v79, vcc_lo
	v_fma_f64 v[33:34], v[2:3], v[33:34], s[42:43]
	s_mov_b32 s0, 0x7854cd93
	s_mov_b32 s1, 0x3ee3f522
	v_fma_f64 v[61:62], v[63:64], s[22:23], s[18:19]
	v_fma_f64 v[47:48], v[59:60], v[47:48], s[20:21]
	;; [unrolled: 1-line block ×4, first 2 shown]
	global_store_b64 v[51:52], v[87:88], off
	v_fma_f64 v[51:52], v[6:7], s[40:41], s[38:39]
	s_wait_alu 0xfffe
	v_fma_f64 v[31:32], v[2:3], v[31:32], s[0:1]
	v_cndmask_b32_e64 v94, 0x7ff00000, v78, s3
	s_and_b32 vcc_lo, s4, s3
	s_mov_b32 s2, 0x3ad81749
	s_mov_b32 s3, 0xbe35718e
	v_lshlrev_b64_e32 v[78:79], 3, v[90:91]
	v_cndmask_b32_e64 v92, 0, v94, s4
	s_mov_b32 s4, 0xf0472426
	v_fma_f64 v[75:76], v[69:70], v[75:76], s[30:31]
	s_mov_b32 s5, 0x3d744699
	v_ldexp_f64 v[82:83], v[83:84], v93
	s_wait_alu 0xfffe
	v_fma_f64 v[93:94], v[2:3], s[4:5], s[2:3]
	s_mov_b32 s2, 0x9c31fa4e
	s_mov_b32 s4, 0x1df63fcd
	v_mul_f64_e32 v[87:88], s[12:13], v[17:18]
	v_cndmask_b32_e32 v91, 0, v77, vcc_lo
	v_add_co_u32 v77, vcc_lo, s10, v78
	s_mov_b32 s3, 0x4009b321
	s_mov_b32 s5, 0x3f48d17f
	s_wait_alu 0xfffd
	v_add_co_ci_u32_e64 v78, null, s11, v79, vcc_lo
	v_fma_f64 v[73:74], v[67:68], v[73:74], s[20:21]
	v_cmp_nlt_f64_e32 vcc_lo, 0x40900000, v[39:40]
	v_cmp_ngt_f64_e64 s0, 0xc090cc00, v[39:40]
	v_cmp_nlt_f64_e64 s1, 0x40900000, v[35:36]
	s_mov_b32 s38, 0xc90bd661
	v_rndne_f64_e32 v[39:40], v[55:56]
	s_wait_alu 0xfffe
	v_fma_f64 v[55:56], v[4:5], s[2:3], v[80:81]
	v_fma_f64 v[33:34], v[2:3], v[33:34], s[4:5]
	s_mov_b32 s2, 0xd356ff96
	s_mov_b32 s4, 0xa77197f7
	v_fma_f64 v[61:62], v[63:64], v[61:62], s[28:29]
	s_mov_b32 s3, 0x400fac71
	v_fma_f64 v[95:96], v[29:30], v[37:38], 1.0
	v_fma_f64 v[49:50], v[65:66], v[49:50], s[16:17]
	v_rndne_f64_e32 v[37:38], v[43:44]
	s_mov_b32 s5, 0xbf6f0244
	v_fma_f64 v[47:48], v[59:60], v[47:48], s[16:17]
	s_wait_alu 0xfffe
	v_fma_f64 v[51:52], v[4:5], s[2:3], v[51:52]
	v_fma_f64 v[31:32], v[2:3], v[31:32], s[4:5]
	s_mov_b32 s4, 0xa8b4ea83
	s_mov_b32 s5, 0x4012d42e
	;; [unrolled: 1-line block ×5, first 2 shown]
	v_fma_f64 v[75:76], v[69:70], v[75:76], s[34:35]
	v_cmp_ngt_f64_e64 s2, 0xc090cc00, v[35:36]
	global_store_b64 v[77:78], v[91:92], off
	s_wait_alu 0xfffe
	v_fma_f64 v[79:80], v[2:3], v[93:94], s[38:39]
	s_mov_b32 s38, 0xe7e42173
	s_mov_b32 s39, 0xbf6125f4
	v_rndne_f64_e32 v[43:44], v[87:88]
	v_cvt_i32_f64_e32 v93, v[41:42]
	s_mov_b32 s40, 0x8609475f
	s_mov_b32 s41, 0xbd3c5a46
	;; [unrolled: 1-line block ×4, first 2 shown]
	v_fma_f64 v[35:36], v[67:68], v[73:74], s[16:17]
	v_fma_f64 v[73:74], v[6:7], s[36:37], s[4:5]
	s_mov_b32 s4, 0x23a3c91d
	s_wait_alu 0xf1ff
	v_cndmask_b32_e64 v81, 0x7ff00000, v83, s1
	s_mov_b32 s5, 0x401139d2
	s_wait_alu 0xfffd
	v_cndmask_b32_e32 v14, 0x7ff00000, v86, vcc_lo
	v_fma_f64 v[86:87], v[39:40], s[8:9], v[10:11]
	v_fma_f64 v[33:34], v[2:3], v[33:34], v[55:56]
	s_and_b32 vcc_lo, s0, vcc_lo
	s_mov_b32 s37, 0x40d51138
	v_fma_f64 v[61:62], v[63:64], v[61:62], s[30:31]
	s_wait_alu 0xfffe
	v_cndmask_b32_e32 v77, 0, v85, vcc_lo
	v_fma_f64 v[83:84], v[29:30], v[95:96], 1.0
	v_fma_f64 v[49:50], v[65:66], v[49:50], s[14:15]
	v_fma_f64 v[55:56], v[37:38], s[8:9], v[12:13]
	v_cmp_nlt_f64_e32 vcc_lo, 0x40900000, v[23:24]
	v_fma_f64 v[47:48], v[59:60], v[47:48], s[14:15]
	v_cndmask_b32_e64 v78, 0, v14, s0
	v_fma_f64 v[29:30], v[2:3], v[31:32], v[51:52]
	v_cmp_ngt_f64_e64 s0, 0xc090cc00, v[23:24]
	v_fma_f64 v[75:76], v[69:70], v[75:76], s[26:27]
	s_and_b32 s1, s2, s1
	v_fma_f64 v[79:80], v[2:3], v[79:80], s[38:39]
	s_mov_b32 s38, 0xe42a9e11
	s_mov_b32 s39, 0x3e0ac134
	v_fma_f64 v[31:32], v[43:44], s[8:9], v[17:18]
	v_fma_f64 v[35:36], v[67:68], v[35:36], s[14:15]
	;; [unrolled: 1-line block ×3, first 2 shown]
	v_cmp_ngt_f64_e64 s4, 0xc090cc00, v[27:28]
	v_fma_f64 v[51:52], v[39:40], s[6:7], v[86:87]
	v_cvt_i32_f64_e32 v86, v[45:46]
	v_cvt_i32_f64_e32 v87, v[53:54]
	v_fma_f64 v[41:42], v[63:64], v[61:62], s[34:35]
	v_fma_f64 v[88:89], v[65:66], v[49:50], 1.0
	v_fma_f64 v[49:50], v[37:38], s[6:7], v[55:56]
	v_mul_f64_e32 v[55:56], s[12:13], v[33:34]
	v_fma_f64 v[61:62], v[59:60], v[47:48], 1.0
	v_mul_f64_e32 v[45:46], s[12:13], v[29:30]
	v_fma_f64 v[75:76], v[69:70], v[75:76], s[24:25]
	v_fma_f64 v[47:48], v[43:44], s[6:7], v[31:32]
	v_fma_f64 v[35:36], v[67:68], v[35:36], 1.0
	v_fma_f64 v[31:32], v[2:3], v[79:80], v[73:74]
	v_fma_f64 v[41:42], v[63:64], v[41:42], s[26:27]
	;; [unrolled: 1-line block ×3, first 2 shown]
	v_fma_f64 v[59:60], v[59:60], v[61:62], 1.0
	v_fma_f64 v[61:62], v[65:66], v[88:89], 1.0
	v_fma_f64 v[65:66], v[51:52], s[22:23], s[18:19]
	v_cvt_i32_f64_e32 v89, v[57:58]
	v_fma_f64 v[73:74], v[69:70], v[75:76], s[20:21]
	v_ldexp_f64 v[75:76], v[83:84], v93
	v_fma_f64 v[83:84], v[47:48], s[22:23], s[18:19]
	v_fma_f64 v[53:54], v[67:68], v[35:36], 1.0
	v_rndne_f64_e32 v[35:36], v[55:56]
	v_mul_f64_e32 v[55:56], s[12:13], v[31:32]
	v_fma_f64 v[79:80], v[49:50], v[79:80], s[28:29]
	v_ldexp_f64 v[59:60], v[59:60], v86
	v_ldexp_f64 v[61:62], v[61:62], v87
	v_fma_f64 v[65:66], v[51:52], v[65:66], s[28:29]
	v_fma_f64 v[67:68], v[69:70], v[73:74], s[16:17]
	;; [unrolled: 1-line block ×3, first 2 shown]
	v_rndne_f64_e32 v[41:42], v[45:46]
	s_wait_alu 0xfffd
	v_cndmask_b32_e32 v14, 0x7ff00000, v76, vcc_lo
	s_wait_alu 0xfffe
	v_cndmask_b32_e64 v76, 0, v82, s1
	v_cmp_nlt_f64_e64 s1, 0x40900000, v[25:26]
	v_fma_f64 v[83:84], v[47:48], v[83:84], s[28:29]
	s_and_b32 vcc_lo, s0, vcc_lo
	v_fma_f64 v[57:58], v[35:36], s[8:9], v[33:34]
	v_rndne_f64_e32 v[45:46], v[55:56]
	v_fma_f64 v[79:80], v[49:50], v[79:80], s[30:31]
	v_fma_f64 v[65:66], v[51:52], v[65:66], s[30:31]
	;; [unrolled: 1-line block ×4, first 2 shown]
	v_dual_mov_b32 v74, v1 :: v_dual_add_nc_u32 v73, s33, v90
	v_cndmask_b32_e64 v62, 0x7ff00000, v62, s1
	v_fma_f64 v[83:84], v[47:48], v[83:84], s[30:31]
	s_delay_alu instid0(VALU_DEP_3) | instskip(SKIP_1) | instid1(VALU_DEP_2)
	v_lshlrev_b64_e32 v[86:87], 3, v[73:74]
	v_add_nc_u32_e32 v73, s33, v73
	v_add_co_u32 v85, s3, s10, v86
	s_wait_alu 0xf1ff
	s_delay_alu instid0(VALU_DEP_3)
	v_add_co_ci_u32_e64 v86, null, s11, v87, s3
	v_fma_f64 v[87:88], v[45:46], s[8:9], v[31:32]
	v_fma_f64 v[23:24], v[35:36], s[6:7], v[57:58]
	v_fma_f64 v[57:58], v[41:42], s[8:9], v[29:30]
	v_cmp_nlt_f64_e64 s3, 0x40900000, v[27:28]
	global_store_b64 v[85:86], v[77:78], off
	v_cndmask_b32_e64 v77, 0, v81, s2
	v_ldexp_f64 v[81:82], v[53:54], v89
	v_lshlrev_b64_e32 v[27:28], 3, v[73:74]
	v_cmp_ngt_f64_e64 s2, 0xc090cc00, v[25:26]
	s_wait_alu 0xfffe
	v_cndmask_b32_e32 v85, 0, v75, vcc_lo
	v_cndmask_b32_e64 v86, 0, v14, s0
	v_cvt_i32_f64_e32 v14, v[71:72]
	v_cmp_ngt_f64_e64 s0, 0xc090cc00, v[21:22]
	v_fma_f64 v[65:66], v[51:52], v[65:66], s[34:35]
	v_fma_f64 v[55:56], v[69:70], v[55:56], 1.0
	v_fma_f64 v[53:54], v[63:64], v[67:68], s[16:17]
	v_add_nc_u32_e32 v67, s33, v73
	v_fma_f64 v[73:74], v[49:50], v[79:80], s[34:35]
	v_mov_b32_e32 v68, v1
	v_fma_f64 v[78:79], v[47:48], v[83:84], s[34:35]
	v_add_co_u32 v83, s5, s10, v27
	s_delay_alu instid0(VALU_DEP_3) | instskip(SKIP_4) | instid1(VALU_DEP_3)
	v_lshlrev_b64_e32 v[89:90], 3, v[67:68]
	v_add_nc_u32_e32 v67, s33, v67
	s_wait_alu 0xf1ff
	v_add_co_ci_u32_e64 v84, null, s11, v28, s5
	v_fma_f64 v[25:26], v[45:46], s[6:7], v[87:88]
	v_lshlrev_b64_e32 v[87:88], 3, v[67:68]
	v_fma_f64 v[27:28], v[41:42], s[6:7], v[57:58]
	v_add_co_u32 v57, vcc_lo, s10, v89
	s_wait_alu 0xfffd
	v_add_co_ci_u32_e64 v58, null, s11, v90, vcc_lo
	s_and_b32 vcc_lo, s4, s3
	v_cndmask_b32_e64 v60, 0x7ff00000, v60, s3
	s_wait_alu 0xfffe
	v_cndmask_b32_e32 v59, 0, v59, vcc_lo
	v_add_co_u32 v68, vcc_lo, s10, v87
	v_cndmask_b32_e64 v62, 0, v62, s2
	v_cndmask_b32_e64 v60, 0, v60, s4
	s_and_b32 s1, s2, s1
	s_mov_b32 s2, 0x17bccd0f
	s_mov_b32 s4, 0x5c95727
	;; [unrolled: 1-line block ×4, first 2 shown]
	v_fma_f64 v[91:92], v[23:24], s[22:23], s[18:19]
	v_fma_f64 v[55:56], v[69:70], v[55:56], 1.0
	s_wait_alu 0xfffd
	v_add_co_ci_u32_e64 v69, null, s11, v88, vcc_lo
	v_cmp_nlt_f64_e32 vcc_lo, 0x40900000, v[21:22]
	v_fma_f64 v[70:71], v[63:64], v[53:54], s[14:15]
	v_fma_f64 v[72:73], v[49:50], v[73:74], s[26:27]
	;; [unrolled: 1-line block ×3, first 2 shown]
	s_wait_alu 0xfffe
	v_fma_f64 v[87:88], v[2:3], s[4:5], s[2:3]
	v_dual_mov_b32 v54, v1 :: v_dual_add_nc_u32 v53, s33, v67
	v_cndmask_b32_e64 v61, 0, v61, s1
	s_mov_b32 s2, 0xf34767a7
	s_mov_b32 s4, 0xa8be7d
	s_mov_b32 s3, 0x3e18bba1
	v_lshlrev_b64_e32 v[21:22], 3, v[53:54]
	s_mov_b32 s5, 0xbd51d37b
	s_clause 0x2
	global_store_b64 v[83:84], v[76:77], off
	global_store_b64 v[57:58], v[85:86], off
	;; [unrolled: 1-line block ×3, first 2 shown]
	s_wait_alu 0xfffe
	v_fma_f64 v[59:60], v[2:3], s[4:5], s[2:3]
	s_mov_b32 s2, 0x4dd2f1aa
	s_mov_b32 s4, 0xd95eec46
	v_add_co_u32 v78, s1, s10, v21
	s_wait_alu 0xf1ff
	v_add_co_ci_u32_e64 v79, null, s11, v22, s1
	s_mov_b32 s3, 0x40c6811a
	s_mov_b32 s5, 0x3ee4f3ae
	v_fma_f64 v[65:66], v[51:52], v[65:66], s[26:27]
	global_store_b64 v[78:79], v[61:62], off
	v_add_nc_u32_e32 v53, s33, v53
	v_fma_f64 v[93:94], v[25:26], s[22:23], s[18:19]
	s_delay_alu instid0(VALU_DEP_2)
	v_lshlrev_b64_e32 v[57:58], 3, v[53:54]
	v_cvt_i32_f64_e32 v54, v[39:40]
	v_add_nc_u32_e32 v53, s33, v53
	v_fma_f64 v[89:90], v[23:24], v[91:92], s[28:29]
	v_ldexp_f64 v[21:22], v[55:56], v14
	v_fma_f64 v[91:92], v[27:28], s[22:23], s[18:19]
	s_wait_alu 0xfffd
	v_cndmask_b32_e32 v80, 0x7ff00000, v82, vcc_lo
	v_fma_f64 v[61:62], v[63:64], v[70:71], 1.0
	s_and_b32 vcc_lo, s0, vcc_lo
	v_fma_f64 v[67:68], v[49:50], v[72:73], s[24:25]
	v_fma_f64 v[71:72], v[2:3], s[40:41], s[38:39]
	v_cndmask_b32_e64 v56, 0, v80, s0
	s_mov_b32 s0, 0x618352b0
	s_mov_b32 s1, 0x400555a7
	v_fma_f64 v[69:70], v[47:48], v[74:75], s[24:25]
	s_wait_alu 0xfffe
	v_fma_f64 v[73:74], v[6:7], s[2:3], s[0:1]
	v_fma_f64 v[75:76], v[2:3], v[87:88], s[4:5]
	s_mov_b32 s0, 0xefe0ce0c
	s_mov_b32 s2, 0xbc6a7efa
	;; [unrolled: 1-line block ×6, first 2 shown]
	s_wait_alu 0xfffe
	v_fma_f64 v[83:84], v[6:7], s[2:3], s[0:1]
	v_fma_f64 v[59:60], v[2:3], v[59:60], s[4:5]
	s_mov_b32 s4, 0x2213f08
	s_mov_b32 s38, 0xfa3e34f6
	v_cndmask_b32_e32 v55, 0, v81, vcc_lo
	v_add_co_u32 v57, vcc_lo, s10, v57
	s_mov_b32 s5, 0x3e047f4c
	s_mov_b32 s39, 0x3d442d6b
	s_wait_alu 0xfffd
	v_add_co_ci_u32_e64 v58, null, s11, v58, vcc_lo
	v_cmp_nlt_f64_e32 vcc_lo, 0x40900000, v[15:16]
	v_cmp_ngt_f64_e64 s0, 0xc090cc00, v[15:16]
	s_mov_b32 s2, 0x4b528ec3
	s_mov_b32 s40, 0x4ab606b
	;; [unrolled: 1-line block ×4, first 2 shown]
	v_fma_f64 v[65:66], v[51:52], v[65:66], s[24:25]
	v_fma_f64 v[77:78], v[23:24], v[89:90], s[30:31]
	;; [unrolled: 1-line block ×3, first 2 shown]
	v_cvt_i32_f64_e32 v16, v[19:20]
	v_fma_f64 v[81:82], v[25:26], v[93:94], s[28:29]
	v_fma_f64 v[14:15], v[63:64], v[61:62], 1.0
	s_wait_alu 0xfffe
	v_fma_f64 v[61:62], v[2:3], s[38:39], s[4:5]
	s_mov_b32 s4, 0x1f95b2df
	s_mov_b32 s38, 0x6a26e547
	v_fma_f64 v[71:72], v[2:3], v[71:72], s[42:43]
	s_mov_b32 s5, 0xbf6688c9
	s_mov_b32 s39, 0x40286e69
	v_fma_f64 v[69:70], v[47:48], v[69:70], s[20:21]
	s_wait_alu 0xfffe
	v_fma_f64 v[63:64], v[6:7], s[40:41], s[38:39]
	v_fma_f64 v[73:74], v[4:5], s[2:3], v[73:74]
	;; [unrolled: 1-line block ×3, first 2 shown]
	s_mov_b32 s2, 0x6e8b7f34
	s_mov_b32 s4, 0x8840b02f
	;; [unrolled: 1-line block ×5, first 2 shown]
	s_wait_alu 0xfffe
	v_fma_f64 v[85:86], v[2:3], s[4:5], s[2:3]
	s_mov_b32 s39, 0x40020386
	s_mov_b32 s2, 0x67388492
	s_wait_alu 0xfffe
	v_fma_f64 v[83:84], v[4:5], s[38:39], v[83:84]
	s_mov_b32 s4, 0x8d9b5e96
	s_mov_b32 s38, 0x9d49518
	;; [unrolled: 1-line block ×7, first 2 shown]
	s_wait_alu 0xfffe
	v_fma_f64 v[59:60], v[2:3], v[59:60], s[2:3]
	v_fma_f64 v[87:88], v[6:7], s[38:39], s[4:5]
	s_mov_b32 s4, 0xec708b6b
	s_mov_b32 s38, 0x57b3f20f
	s_mov_b32 s5, 0x3f828dc0
	s_mov_b32 s39, 0xbe27e078
	s_mov_b32 s2, 0x5790e08d
	s_mov_b32 s3, 0x40011631
	v_fma_f64 v[65:66], v[51:52], v[65:66], s[20:21]
	v_fma_f64 v[79:80], v[27:28], v[79:80], s[30:31]
	;; [unrolled: 1-line block ×5, first 2 shown]
	s_mov_b32 s40, 0x3f7e1a43
	s_mov_b32 s41, 0x3d6be0a9
	s_wait_alu 0xfffe
	v_fma_f64 v[71:72], v[2:3], v[71:72], s[4:5]
	v_fma_f64 v[89:90], v[2:3], s[40:41], s[38:39]
	s_mov_b32 s4, 0x8defcf27
	s_mov_b32 s38, 0x175fa3c6
	;; [unrolled: 1-line block ×4, first 2 shown]
	v_fma_f64 v[63:64], v[4:5], s[2:3], v[63:64]
	v_fma_f64 v[19:20], v[2:3], v[75:76], v[73:74]
	s_wait_alu 0xfffe
	v_fma_f64 v[73:74], v[2:3], s[38:39], s[4:5]
	s_mov_b32 s2, 0x5df3d
	s_mov_b32 s4, 0x4c7edf0f
	;; [unrolled: 1-line block ×4, first 2 shown]
	s_wait_alu 0xfffe
	v_fma_f64 v[75:76], v[6:7], s[36:37], s[2:3]
	v_fma_f64 v[85:86], v[2:3], v[85:86], s[4:5]
	s_mov_b32 s2, 0x81f02fa8
	s_mov_b32 s4, 0x115dd40
	;; [unrolled: 1-line block ×8, first 2 shown]
	v_fma_f64 v[59:60], v[2:3], v[59:60], v[83:84]
	s_wait_alu 0xfffe
	v_fma_f64 v[83:84], v[4:5], s[2:3], v[87:88]
	s_mov_b32 s2, 0xc0b13598
	s_mov_b32 s3, 0x40312c57
	v_fma_f64 v[69:70], v[47:48], v[69:70], s[16:17]
	v_fma_f64 v[81:82], v[25:26], v[81:82], s[30:31]
	v_ldexp_f64 v[14:15], v[14:15], v16
	v_cvt_i32_f64_e32 v92, v[43:44]
	v_fma_f64 v[65:66], v[51:52], v[65:66], s[16:17]
	v_fma_f64 v[79:80], v[27:28], v[79:80], s[34:35]
	;; [unrolled: 1-line block ×5, first 2 shown]
	s_mov_b32 s4, 0x4189374c
	s_mov_b32 s5, 0xc0d2cb68
	v_cmp_nlt_f64_e64 s1, 0x40900000, v[8:9]
	s_wait_alu 0xfffe
	v_fma_f64 v[87:88], v[6:7], s[4:5], s[2:3]
	v_fma_f64 v[89:90], v[2:3], v[89:90], s[36:37]
	s_mov_b32 s4, 0x92ccf7
	s_mov_b32 s36, 0xd2f1a9fc
	;; [unrolled: 1-line block ×4, first 2 shown]
	v_fma_f64 v[63:64], v[2:3], v[71:72], v[63:64]
	s_wait_alu 0xfffe
	v_fma_f64 v[71:72], v[6:7], s[36:37], s[4:5]
	v_fma_f64 v[73:74], v[2:3], v[73:74], s[38:39]
	s_mov_b32 s2, 0x6e6106ab
	s_mov_b32 s4, 0x427d2efe
	;; [unrolled: 1-line block ×4, first 2 shown]
	s_wait_alu 0xfffe
	v_fma_f64 v[75:76], v[4:5], s[2:3], v[75:76]
	v_fma_f64 v[85:86], v[2:3], v[85:86], s[4:5]
	s_mov_b32 s2, 0x806f2629
	s_mov_b32 s4, 0x4d0b06d
	;; [unrolled: 1-line block ×4, first 2 shown]
	v_cvt_i32_f64_e32 v91, v[37:38]
	global_store_b64 v[57:58], v[55:56], off
	s_wait_alu 0xfffd
	v_cndmask_b32_e32 v22, 0x7ff00000, v22, vcc_lo
	s_and_b32 vcc_lo, s0, vcc_lo
	s_wait_alu 0xfffe
	v_cndmask_b32_e32 v21, 0, v21, vcc_lo
	v_fma_f64 v[69:70], v[47:48], v[69:70], s[14:15]
	v_fma_f64 v[81:82], v[25:26], v[81:82], s[34:35]
	v_cndmask_b32_e64 v22, 0, v22, s0
	v_cmp_ngt_f64_e64 s0, 0xc090cc00, v[10:11]
	v_fma_f64 v[65:66], v[51:52], v[65:66], s[14:15]
	v_fma_f64 v[79:80], v[27:28], v[79:80], s[26:27]
	;; [unrolled: 1-line block ×5, first 2 shown]
	v_mul_f64_e32 v[83:84], s[12:13], v[19:20]
	v_cndmask_b32_e64 v93, 0x7ff00000, v15, s1
	v_fma_f64 v[87:88], v[4:5], s[2:3], v[87:88]
	v_fma_f64 v[89:90], v[2:3], v[89:90], s[4:5]
	s_mov_b32 s2, 0xe17e34b9
	s_mov_b32 s4, 0xf0d3924
	;; [unrolled: 1-line block ×4, first 2 shown]
	s_wait_alu 0xfffe
	v_fma_f64 v[71:72], v[4:5], s[2:3], v[71:72]
	v_fma_f64 v[73:74], v[2:3], v[73:74], s[4:5]
	v_cmp_ngt_f64_e64 s2, 0xc090cc00, v[8:9]
	v_cmp_nlt_f64_e64 s3, 0x40900000, v[17:18]
	v_cmp_ngt_f64_e64 s4, 0xc090cc00, v[17:18]
	v_fma_f64 v[75:76], v[2:3], v[85:86], v[75:76]
	v_mul_f64_e32 v[85:86], s[12:13], v[59:60]
	v_fma_f64 v[69:70], v[47:48], v[69:70], 1.0
	v_fma_f64 v[81:82], v[25:26], v[81:82], s[26:27]
	v_fma_f64 v[65:66], v[51:52], v[65:66], 1.0
	v_fma_f64 v[79:80], v[27:28], v[79:80], s[24:25]
	v_fma_f64 v[77:78], v[23:24], v[77:78], s[20:21]
	v_fma_f64 v[67:68], v[49:50], v[67:68], 1.0
	v_rndne_f64_e32 v[83:84], v[83:84]
	v_fma_f64 v[87:88], v[2:3], v[89:90], v[87:88]
	v_mul_f64_e32 v[89:90], s[12:13], v[63:64]
	v_fma_f64 v[71:72], v[2:3], v[73:74], v[71:72]
	v_mul_f64_e32 v[73:74], s[12:13], v[61:62]
	v_rndne_f64_e32 v[85:86], v[85:86]
	v_fma_f64 v[37:38], v[47:48], v[69:70], 1.0
	v_fma_f64 v[81:82], v[25:26], v[81:82], s[24:25]
	v_fma_f64 v[51:52], v[51:52], v[65:66], 1.0
	v_fma_f64 v[65:66], v[27:28], v[79:80], s[20:21]
	v_mul_f64_e32 v[79:80], s[12:13], v[75:76]
	v_fma_f64 v[77:78], v[23:24], v[77:78], s[16:17]
	v_fma_f64 v[49:50], v[49:50], v[67:68], 1.0
	v_fma_f64 v[39:40], v[83:84], s[8:9], v[19:20]
	v_rndne_f64_e32 v[89:90], v[89:90]
	v_mul_f64_e32 v[47:48], s[12:13], v[71:72]
	v_rndne_f64_e32 v[43:44], v[73:74]
	v_fma_f64 v[8:9], v[85:86], s[8:9], v[59:60]
	v_ldexp_f64 v[37:38], v[37:38], v92
	v_fma_f64 v[67:68], v[25:26], v[81:82], s[20:21]
	v_mul_f64_e32 v[81:82], s[12:13], v[87:88]
	s_mov_b32 s12, 0x6bb0b46f
	v_ldexp_f64 v[51:52], v[51:52], v54
	v_fma_f64 v[15:16], v[27:28], v[65:66], s[16:17]
	v_rndne_f64_e32 v[65:66], v[79:80]
	v_fma_f64 v[69:70], v[23:24], v[77:78], s[14:15]
	v_mov_b32_e32 v54, v1
	v_fma_f64 v[39:40], v[83:84], s[6:7], v[39:40]
	v_ldexp_f64 v[49:50], v[49:50], v91
	v_cvt_i32_f64_e32 v83, v[83:84]
	s_mov_b32 s13, 0x3d607cc8
	v_lshlrev_b64_e32 v[54:55], 3, v[53:54]
	v_fma_f64 v[73:74], v[89:90], s[8:9], v[63:64]
	s_delay_alu instid0(VALU_DEP_2) | instskip(SKIP_2) | instid1(VALU_DEP_4)
	v_add_co_u32 v54, vcc_lo, s10, v54
	v_fma_f64 v[79:80], v[43:44], s[8:9], v[61:62]
	s_wait_alu 0xfffd
	v_add_co_ci_u32_e64 v55, null, s11, v55, vcc_lo
	s_and_b32 vcc_lo, s2, s1
	v_rndne_f64_e32 v[47:48], v[47:48]
	v_cmp_nlt_f64_e64 s1, 0x40900000, v[12:13]
	v_fma_f64 v[8:9], v[85:86], s[6:7], v[8:9]
	global_store_b64 v[54:55], v[21:22], off
	s_wait_alu 0xfffe
	v_cndmask_b32_e32 v21, 0, v14, vcc_lo
	v_cmp_nlt_f64_e32 vcc_lo, 0x40900000, v[10:11]
	v_cndmask_b32_e64 v22, 0, v93, s2
	v_cmp_ngt_f64_e64 s2, 0xc090cc00, v[12:13]
	v_cvt_i32_f64_e32 v93, v[45:46]
	v_cndmask_b32_e64 v92, 0x7ff00000, v38, s3
	v_cvt_i32_f64_e32 v38, v[35:36]
	v_fma_f64 v[67:68], v[25:26], v[67:68], s[16:17]
	v_rndne_f64_e32 v[77:78], v[81:82]
	v_fma_f64 v[15:16], v[27:28], v[15:16], s[14:15]
	v_fma_f64 v[56:57], v[65:66], s[8:9], v[75:76]
	v_fma_f64 v[69:70], v[23:24], v[69:70], 1.0
	v_fma_f64 v[54:55], v[39:40], s[22:23], s[18:19]
	v_fma_f64 v[73:74], v[89:90], s[6:7], v[73:74]
	;; [unrolled: 1-line block ×3, first 2 shown]
	v_cvt_i32_f64_e32 v43, v[43:44]
	v_fma_f64 v[12:13], v[47:48], s[8:9], v[71:72]
	s_wait_alu 0xf1ff
	v_cndmask_b32_e64 v91, 0x7ff00000, v50, s1
	v_fma_f64 v[17:18], v[8:9], s[22:23], s[18:19]
	s_wait_alu 0xfffd
	v_cndmask_b32_e32 v58, 0x7ff00000, v52, vcc_lo
	v_dual_mov_b32 v53, v1 :: v_dual_add_nc_u32 v52, s33, v53
	s_and_b32 vcc_lo, s0, vcc_lo
	v_fma_f64 v[67:68], v[25:26], v[67:68], s[14:15]
	v_fma_f64 v[81:82], v[77:78], s[8:9], v[87:88]
	s_mov_b32 s8, 0x49ba5e35
	v_fma_f64 v[14:15], v[27:28], v[15:16], 1.0
	v_fma_f64 v[56:57], v[65:66], s[6:7], v[56:57]
	v_fma_f64 v[23:24], v[23:24], v[69:70], 1.0
	s_mov_b32 s9, 0xc0c4242c
	v_fma_f64 v[54:55], v[39:40], v[54:55], s[28:29]
	v_fma_f64 v[69:70], v[73:74], s[22:23], s[18:19]
	v_fma_f64 v[35:36], v[10:11], s[22:23], s[18:19]
	v_fma_f64 v[12:13], v[47:48], s[6:7], v[12:13]
	v_fma_f64 v[16:17], v[8:9], v[17:18], s[28:29]
	v_cvt_i32_f64_e32 v18, v[41:42]
	v_fma_f64 v[67:68], v[25:26], v[67:68], 1.0
	v_fma_f64 v[79:80], v[77:78], s[6:7], v[81:82]
	s_mov_b32 s6, 0x1fcd24e1
	v_fma_f64 v[14:15], v[27:28], v[14:15], 1.0
	v_fma_f64 v[27:28], v[56:57], s[22:23], s[18:19]
	v_ldexp_f64 v[23:24], v[23:24], v38
	s_mov_b32 s7, 0x403522d3
	v_fma_f64 v[54:55], v[39:40], v[54:55], s[30:31]
	s_wait_alu 0xfffe
	v_fma_f64 v[6:7], v[6:7], s[8:9], s[6:7]
	s_mov_b32 s6, 0x38d2af65
	s_mov_b32 s7, 0x3ff0c92f
	;; [unrolled: 1-line block ×3, first 2 shown]
	v_fma_f64 v[69:70], v[73:74], v[69:70], s[28:29]
	s_mov_b32 s9, 0xbe1c0db1
	v_fma_f64 v[35:36], v[10:11], v[35:36], s[28:29]
	v_fma_f64 v[41:42], v[12:13], s[22:23], s[18:19]
	;; [unrolled: 1-line block ×3, first 2 shown]
	v_fma_f64 v[25:26], v[25:26], v[67:68], 1.0
	v_fma_f64 v[67:68], v[79:80], s[22:23], s[18:19]
	v_ldexp_f64 v[14:15], v[14:15], v18
	v_fma_f64 v[27:28], v[56:57], v[27:28], s[28:29]
	v_cvt_i32_f64_e32 v18, v[85:86]
	v_fma_f64 v[45:46], v[39:40], v[54:55], s[34:35]
	v_fma_f64 v[54:55], v[73:74], v[69:70], s[30:31]
	v_cndmask_b32_e32 v69, 0, v51, vcc_lo
	v_mov_b32_e32 v51, v1
	v_cndmask_b32_e64 v70, 0, v58, s0
	v_cmp_ngt_f64_e64 s0, 0xc090cc00, v[33:34]
	v_fma_f64 v[35:36], v[10:11], v[35:36], s[30:31]
	v_fma_f64 v[41:42], v[12:13], v[41:42], s[28:29]
	;; [unrolled: 1-line block ×3, first 2 shown]
	v_ldexp_f64 v[25:26], v[25:26], v93
	v_fma_f64 v[67:68], v[79:80], v[67:68], s[28:29]
	v_fma_f64 v[27:28], v[56:57], v[27:28], s[30:31]
	;; [unrolled: 1-line block ×37, first 2 shown]
	v_fma_f64 v[45:46], v[39:40], v[45:46], 1.0
	v_fma_f64 v[54:55], v[73:74], v[54:55], s[14:15]
	v_fma_f64 v[35:36], v[10:11], v[35:36], s[14:15]
	;; [unrolled: 1-line block ×3, first 2 shown]
	v_fma_f64 v[16:17], v[8:9], v[16:17], 1.0
	v_fma_f64 v[67:68], v[79:80], v[67:68], s[16:17]
	v_fma_f64 v[27:28], v[56:57], v[27:28], s[14:15]
	v_fma_f64 v[38:39], v[39:40], v[45:46], 1.0
	v_lshlrev_b64_e32 v[45:46], 3, v[52:53]
	v_add_nc_u32_e32 v52, s33, v52
	v_fma_f64 v[54:55], v[73:74], v[54:55], 1.0
	s_delay_alu instid0(VALU_DEP_2)
	v_lshlrev_b64_e32 v[81:82], 3, v[52:53]
	v_add_nc_u32_e32 v50, s33, v52
	v_add_co_u32 v45, s5, s10, v45
	s_wait_alu 0xf1ff
	v_add_co_ci_u32_e64 v46, null, s11, v46, s5
	v_fma_f64 v[35:36], v[10:11], v[35:36], 1.0
	v_cndmask_b32_e64 v53, 0, v91, s2
	v_fma_f64 v[40:41], v[12:13], v[41:42], s[14:15]
	global_store_b64 v[45:46], v[21:22], off
	v_fma_f64 v[8:9], v[8:9], v[16:17], 1.0
	v_add_co_u32 v16, vcc_lo, s10, v81
	s_wait_alu 0xfffd
	v_add_co_ci_u32_e64 v17, null, s11, v82, vcc_lo
	v_lshlrev_b64_e32 v[81:82], 3, v[50:51]
	s_and_b32 vcc_lo, s2, s1
	v_cndmask_b32_e64 v51, 0, v92, s4
	s_wait_alu 0xfffe
	v_cndmask_b32_e32 v52, 0, v49, vcc_lo
	v_cmp_nlt_f64_e32 vcc_lo, 0x40900000, v[33:34]
	v_cmp_ngt_f64_e64 s2, 0xc090cc00, v[29:30]
	v_add_co_u32 v33, s1, s10, v81
	s_wait_alu 0xf1ff
	v_add_co_ci_u32_e64 v34, null, s11, v82, s1
	s_and_b32 s1, s4, s3
	v_add_nc_u32_e32 v81, s33, v50
	s_wait_alu 0xfffe
	v_cndmask_b32_e64 v50, 0, v37, s1
	v_cmp_nlt_f64_e64 s1, 0x40900000, v[29:30]
	v_mov_b32_e32 v82, v1
	v_fma_f64 v[27:28], v[56:57], v[27:28], 1.0
	v_cmp_ngt_f64_e64 s4, 0xc090cc00, v[31:32]
	v_ldexp_f64 v[38:39], v[38:39], v83
	v_fma_f64 v[67:68], v[79:80], v[67:68], s[14:15]
	v_cvt_i32_f64_e32 v42, v[89:90]
	v_fma_f64 v[54:55], v[73:74], v[54:55], 1.0
	v_lshlrev_b64_e32 v[73:74], 3, v[81:82]
	v_fma_f64 v[10:11], v[10:11], v[35:36], 1.0
	s_delay_alu instid0(VALU_DEP_2) | instskip(SKIP_1) | instid1(VALU_DEP_3)
	v_add_co_u32 v35, s3, s10, v73
	s_wait_alu 0xf1ff
	v_add_co_ci_u32_e64 v36, null, s11, v74, s3
	v_cmp_nlt_f64_e64 s3, 0x40900000, v[31:32]
	s_clause 0x2
	global_store_b64 v[16:17], v[69:70], off
	global_store_b64 v[33:34], v[52:53], off
	;; [unrolled: 1-line block ×3, first 2 shown]
	v_mov_b32_e32 v16, v1
	v_fma_f64 v[29:30], v[12:13], v[40:41], 1.0
	v_ldexp_f64 v[8:9], v[8:9], v18
	v_cvt_i32_f64_e32 v35, v[77:78]
	s_wait_alu 0xfffd
	v_cndmask_b32_e32 v24, 0x7ff00000, v24, vcc_lo
	s_and_b32 vcc_lo, s0, vcc_lo
	s_delay_alu instid0(VALU_DEP_1)
	v_cndmask_b32_e64 v17, 0, v24, s0
	v_cmp_ngt_f64_e64 s0, 0xc090cc00, v[19:20]
	v_cndmask_b32_e64 v37, 0x7ff00000, v15, s1
	s_and_b32 s1, s2, s1
	s_wait_alu 0xfffe
	v_cndmask_b32_e64 v14, 0, v14, s1
	v_cmp_nlt_f64_e64 s1, 0x40900000, v[59:60]
	v_fma_f64 v[67:68], v[79:80], v[67:68], 1.0
	v_ldexp_f64 v[31:32], v[54:55], v42
	v_ldexp_f64 v[10:11], v[10:11], v43
	v_add_nc_u32_e32 v15, s33, v81
	v_cndmask_b32_e64 v33, 0x7ff00000, v26, s3
	s_delay_alu instid0(VALU_DEP_2)
	v_lshlrev_b64_e32 v[21:22], 3, v[15:16]
	v_cndmask_b32_e32 v16, 0, v23, vcc_lo
	v_fma_f64 v[23:24], v[56:57], v[27:28], 1.0
	v_dual_mov_b32 v27, v1 :: v_dual_add_nc_u32 v26, s33, v15
	v_cvt_i32_f64_e32 v28, v[65:66]
	v_add_co_u32 v21, vcc_lo, s10, v21
	s_wait_alu 0xfffd
	v_add_co_ci_u32_e64 v22, null, s11, v22, vcc_lo
	v_cmp_nlt_f64_e32 vcc_lo, 0x40900000, v[19:20]
	v_add_nc_u32_e32 v20, s33, v26
	v_cndmask_b32_e64 v15, 0, v37, s2
	global_store_b64 v[21:22], v[16:17], off
	v_lshlrev_b64_e32 v[16:17], 3, v[26:27]
	v_mov_b32_e32 v21, v1
	s_and_b32 s3, s4, s3
	v_cndmask_b32_e64 v26, 0, v33, s4
	s_wait_alu 0xfffe
	v_cndmask_b32_e64 v25, 0, v25, s3
	v_fma_f64 v[12:13], v[12:13], v[29:30], 1.0
	v_lshlrev_b64_e32 v[21:22], 3, v[20:21]
	v_add_co_u32 v16, s5, s10, v16
	s_wait_alu 0xf1ff
	v_add_co_ci_u32_e64 v17, null, s11, v17, s5
	v_cvt_i32_f64_e32 v27, v[47:48]
	s_delay_alu instid0(VALU_DEP_4)
	v_add_co_u32 v21, s3, s10, v21
	s_wait_alu 0xf1ff
	v_add_co_ci_u32_e64 v22, null, s11, v22, s3
	global_store_b64 v[16:17], v[14:15], off
	v_dual_mov_b32 v15, v1 :: v_dual_add_nc_u32 v14, s33, v20
	global_store_b64 v[21:22], v[25:26], off
	v_cmp_ngt_f64_e64 s2, 0xc090cc00, v[59:60]
	v_cndmask_b32_e64 v9, 0x7ff00000, v9, s1
	v_cmp_nlt_f64_e64 s3, 0x40900000, v[63:64]
	v_lshlrev_b64_e32 v[20:21], 3, v[14:15]
	v_add_nc_u32_e32 v14, s33, v14
	v_cmp_ngt_f64_e64 s4, 0xc090cc00, v[63:64]
	v_fma_f64 v[18:19], v[79:80], v[67:68], 1.0
	v_ldexp_f64 v[16:17], v[23:24], v28
	s_wait_alu 0xfffd
	v_cndmask_b32_e32 v34, 0x7ff00000, v39, vcc_lo
	s_and_b32 vcc_lo, s0, vcc_lo
	s_wait_alu 0xfffe
	v_cndmask_b32_e32 v22, 0, v38, vcc_lo
	v_add_co_u32 v20, vcc_lo, s10, v20
	s_wait_alu 0xfffd
	v_add_co_ci_u32_e64 v21, null, s11, v21, vcc_lo
	v_cmp_nlt_f64_e32 vcc_lo, 0x40900000, v[61:62]
	v_cndmask_b32_e64 v23, 0, v34, s0
	v_cmp_ngt_f64_e64 s0, 0xc090cc00, v[61:62]
	global_store_b64 v[20:21], v[22:23], off
	v_ldexp_f64 v[24:25], v[12:13], v27
	v_add_nc_u32_e32 v13, s33, v14
	s_and_b32 s1, s2, s1
	v_cndmask_b32_e64 v9, 0, v9, s2
	s_wait_alu 0xfffe
	v_cndmask_b32_e64 v8, 0, v8, s1
	v_cmp_ngt_f64_e64 s2, 0xc090cc00, v[75:76]
	v_cndmask_b32_e64 v26, 0x7ff00000, v32, s3
	s_and_b32 s3, s4, s3
	v_ldexp_f64 v[18:19], v[18:19], v35
	s_wait_alu 0xfffd
	v_cndmask_b32_e32 v28, 0x7ff00000, v11, vcc_lo
	v_lshlrev_b64_e32 v[11:12], 3, v[14:15]
	s_and_b32 vcc_lo, s0, vcc_lo
	v_mov_b32_e32 v14, v1
	s_wait_alu 0xfffe
	v_cndmask_b32_e32 v22, 0, v10, vcc_lo
	v_cmp_nlt_f64_e32 vcc_lo, 0x40900000, v[71:72]
	v_cndmask_b32_e64 v23, 0, v28, s0
	v_add_co_u32 v11, s1, s10, v11
	s_wait_alu 0xf1ff
	v_add_co_ci_u32_e64 v12, null, s11, v12, s1
	v_cmp_nlt_f64_e64 s1, 0x40900000, v[75:76]
	v_cmp_ngt_f64_e64 s0, 0xc090cc00, v[71:72]
	v_mov_b32_e32 v28, v1
	global_store_b64 v[11:12], v[8:9], off
	v_dual_mov_b32 v12, v1 :: v_dual_add_nc_u32 v11, s33, v13
	v_cndmask_b32_e64 v9, 0, v26, s4
	v_cndmask_b32_e64 v8, 0, v31, s3
	v_cmp_ngt_f64_e64 s4, 0xc090cc00, v[87:88]
	s_delay_alu instid0(VALU_DEP_4)
	v_add_nc_u32_e32 v27, s33, v11
	s_wait_alu 0xfffd
	v_cndmask_b32_e32 v10, 0x7ff00000, v25, vcc_lo
	v_lshlrev_b64_e32 v[25:26], 3, v[11:12]
	v_fma_f64 v[11:12], v[4:5], s[6:7], v[6:7]
	s_wait_alu 0xf1ff
	v_cndmask_b32_e64 v17, 0x7ff00000, v17, s1
	s_and_b32 s1, s2, s1
	s_delay_alu instid0(VALU_DEP_3)
	v_add_co_u32 v4, s5, s10, v25
	s_wait_alu 0xfffe
	v_cndmask_b32_e64 v6, 0, v16, s1
	v_mov_b32_e32 v16, v1
	v_lshlrev_b64_e32 v[14:15], 3, v[13:14]
	s_wait_alu 0xf1ff
	v_add_co_ci_u32_e64 v5, null, s11, v26, s5
	v_lshlrev_b64_e32 v[25:26], 3, v[27:28]
	s_and_b32 vcc_lo, s0, vcc_lo
	v_cndmask_b32_e64 v7, 0, v17, s2
	v_add_co_u32 v20, s3, s10, v14
	s_wait_alu 0xf1ff
	v_add_co_ci_u32_e64 v21, null, s11, v15, s3
	v_cmp_nlt_f64_e64 s3, 0x40900000, v[87:88]
	v_add_nc_u32_e32 v15, s33, v27
	v_add_co_u32 v25, s1, s10, v25
	s_wait_alu 0xf1ff
	v_add_co_ci_u32_e64 v26, null, s11, v26, s1
	s_delay_alu instid0(VALU_DEP_3)
	v_add_nc_u32_e32 v27, s33, v15
	v_lshlrev_b64_e32 v[15:16], 3, v[15:16]
	s_wait_alu 0xfffe
	v_cndmask_b32_e32 v29, 0, v24, vcc_lo
	v_cndmask_b32_e64 v30, 0, v10, s0
	v_fma_f64 v[13:14], v[2:3], s[12:13], s[8:9]
	v_lshlrev_b64_e32 v[27:28], 3, v[27:28]
	s_delay_alu instid0(VALU_DEP_1) | instskip(SKIP_1) | instid1(VALU_DEP_2)
	v_add_co_u32 v27, vcc_lo, s10, v27
	s_wait_alu 0xfffd
	v_add_co_ci_u32_e64 v28, null, s11, v28, vcc_lo
	v_cndmask_b32_e64 v19, 0x7ff00000, v19, s3
	s_and_b32 s1, s4, s3
	s_wait_alu 0xfffe
	v_cndmask_b32_e64 v18, 0, v18, s1
	v_add_co_u32 v15, s1, s10, v15
	v_cndmask_b32_e64 v19, 0, v19, s4
	s_wait_alu 0xf1ff
	v_add_co_ci_u32_e64 v16, null, s11, v16, s1
	s_clause 0x4
	global_store_b64 v[20:21], v[8:9], off
	global_store_b64 v[4:5], v[22:23], off
	;; [unrolled: 1-line block ×5, first 2 shown]
                                        ; implicit-def: $vgpr6_vgpr7
                                        ; implicit-def: $vgpr4_vgpr5
                                        ; implicit-def: $vgpr9_vgpr10
                                        ; implicit-def: $vgpr8
.LBB28_2:
	s_or_saveexec_b32 s42, s72
	v_mov_b32_e32 v15, 0xa1c00c53
	v_dual_mov_b32 v16, 0x3f8aa218 :: v_dual_mov_b32 v1, s33
	v_mov_b32_e32 v17, 0xac9009d0
	v_mov_b32_e32 v18, 0x3e9a54f4
	s_wait_alu 0xfffe
	s_xor_b32 exec_lo, exec_lo, s42
	s_cbranch_execz .LBB28_4
; %bb.3:
	s_mov_b32 s0, 0x322506a6
	s_mov_b32 s2, 0x18342be3
	;; [unrolled: 1-line block ×5, first 2 shown]
	s_wait_alu 0xfffe
	v_fma_f64 v[11:12], v[2:3], s[2:3], s[0:1]
	s_mov_b32 s0, 0x42daf0fd
	s_mov_b32 s2, 0x78e5c4eb
	;; [unrolled: 1-line block ×5, first 2 shown]
	s_wait_alu 0xfffe
	v_fma_f64 v[13:14], v[6:7], s[2:3], s[0:1]
	s_mov_b32 s0, 0x6fecf7e5
	s_mov_b32 s2, 0xc08fd91
	s_mov_b32 s1, 0x400ab2bf
	s_mov_b32 s3, 0xbef9e6b0
	s_mov_b32 s6, 0x652b82fe
	s_mov_b32 s7, 0x3ff71547
	s_mov_b32 s8, 0xfefa39ef
	s_mov_b32 s9, 0xbfe62e42
	s_mov_b32 s12, 0x3b39803f
	s_mov_b32 s13, 0xbc7abc9e
	s_mov_b32 s14, 0xfca7ab0c
	s_mov_b32 s16, 0x6a5dcb37
	s_mov_b32 s18, 0xd148b330
	s_mov_b32 s20, 0x5be85e2
	s_mov_b32 s15, 0x3e928af3
	s_mov_b32 s17, 0x3e5ade15
	s_mov_b32 s19, 0x3cce4ce6
	s_mov_b32 s21, 0x4011e823
	s_mov_b32 s22, 0x14761f6e
	s_mov_b32 s23, 0x3f2a01a0
	s_mov_b32 s24, 0x1852b7b0
	s_mov_b32 s25, 0x3f56c16c
	s_mov_b32 s26, 0x11122322
	s_mov_b32 s28, 0x17557031
	s_mov_b32 s30, 0x1f4bb474
	s_mov_b32 s27, 0x3f811111
	s_mov_b32 s29, 0x3da4ef95
	s_mov_b32 s31, 0xbcc37067
	s_mov_b32 s40, 0x71bd9e5
	s_mov_b32 s44, 0xf67fea4f
	s_mov_b32 s41, 0x3db7d6d6
	v_fma_f64 v[11:12], v[2:3], v[11:12], s[4:5]
	s_mov_b32 s4, 0x3d6bf46
	s_mov_b32 s5, 0x3ce840f1
	;; [unrolled: 1-line block ×4, first 2 shown]
	s_wait_alu 0xfffe
	v_fma_f64 v[56:57], v[2:3], s[44:45], s[40:41]
	v_fma_f64 v[13:14], v[4:5], s[0:1], v[13:14]
	s_mov_b32 s0, 0x4fa461a7
	s_mov_b32 s1, 0xbc1d1db5
	;; [unrolled: 1-line block ×10, first 2 shown]
	s_wait_alu 0xfffe
	v_fma_f64 v[70:71], v[6:7], s[46:47], s[38:39]
	s_mov_b32 s38, 0x47dc6297
	s_mov_b32 s44, 0xa20a06a0
	;; [unrolled: 1-line block ×7, first 2 shown]
	s_delay_alu instid0(VALU_DEP_4)
	v_fma_f64 v[11:12], v[2:3], v[11:12], s[2:3]
	s_mov_b32 s2, 0xfebb003
	s_mov_b32 s3, 0x3b3e1d3b
	s_wait_alu 0xfffe
	v_fma_f64 v[15:16], v[2:3], s[2:3], s[0:1]
	s_mov_b32 s0, 0xeed3f77d
	s_mov_b32 s2, 0x3bcd35a8
	;; [unrolled: 1-line block ×4, first 2 shown]
	v_fma_f64 v[56:57], v[2:3], v[56:57], s[44:45]
	s_mov_b32 s44, 0x97ad9a01
	s_mov_b32 s45, 0xbcf6ed3f
	s_delay_alu instid0(VALU_DEP_3) | instskip(SKIP_4) | instid1(VALU_DEP_4)
	v_fma_f64 v[20:21], v[2:3], v[11:12], v[13:14]
	s_wait_alu 0xfffe
	v_fma_f64 v[11:12], v[6:7], s[2:3], s[0:1]
	s_mov_b32 s0, 0x15798ee
	s_mov_b32 s2, 0xea91e1b0
	v_fma_f64 v[13:14], v[2:3], v[15:16], s[4:5]
	s_mov_b32 s1, 0x40040000
	s_mov_b32 s3, 0xbda961a6
	;; [unrolled: 1-line block ×4, first 2 shown]
	s_delay_alu instid0(VALU_DEP_3) | instskip(SKIP_1) | instid1(VALU_DEP_3)
	v_mul_f64_e32 v[15:16], s[6:7], v[20:21]
	s_wait_alu 0xfffe
	v_fma_f64 v[11:12], v[4:5], s[0:1], v[11:12]
	s_mov_b32 s0, 0x5033c5c3
	s_mov_b32 s1, 0xbd6d5f58
	s_delay_alu instid0(VALU_DEP_3) | instskip(SKIP_3) | instid1(VALU_DEP_4)
	v_fma_f64 v[13:14], v[2:3], v[13:14], s[2:3]
	s_mov_b32 s2, 0x69230ddc
	s_mov_b32 s3, 0x3c91b3c3
	v_cmp_nlt_f64_e32 vcc_lo, 0x40900000, v[20:21]
	v_rndne_f64_e32 v[22:23], v[15:16]
	s_wait_alu 0xfffe
	v_fma_f64 v[15:16], v[2:3], s[2:3], s[0:1]
	s_mov_b32 s0, 0xaf900c49
	s_mov_b32 s2, 0xeebb013
	s_mov_b32 s1, 0x3db33164
	s_mov_b32 s3, 0xbcd3852c
	s_delay_alu instid0(VALU_DEP_4)
	v_fma_f64 v[24:25], v[2:3], v[13:14], v[11:12]
	s_wait_alu 0xfffe
	v_fma_f64 v[17:18], v[2:3], s[2:3], s[0:1]
	s_mov_b32 s0, 0xab1f280e
	s_mov_b32 s2, 0xff97247
	s_mov_b32 s1, 0x40132329
	s_mov_b32 s3, 0xc0dc8865
	s_wait_alu 0xfffe
	v_fma_f64 v[13:14], v[6:7], s[2:3], s[0:1]
	s_mov_b32 s0, 0xdd004baa
	s_mov_b32 s2, 0xb48d3ae7
	s_mov_b32 s1, 0x4015d01b
	s_mov_b32 s3, 0x409101d4
	;; [unrolled: 6-line block ×3, first 2 shown]
	v_fma_f64 v[11:12], v[22:23], s[8:9], v[20:21]
	v_fma_f64 v[15:16], v[2:3], v[15:16], s[4:5]
	s_mov_b32 s4, 0xe2f6b32b
	s_mov_b32 s5, 0xbe80f496
	v_cvt_i32_f64_e32 v1, v[22:23]
	v_mul_f64_e32 v[28:29], s[6:7], v[24:25]
	s_wait_alu 0xfffe
	v_fma_f64 v[17:18], v[2:3], v[17:18], s[4:5]
	s_mov_b32 s4, 0x59c3fa88
	s_mov_b32 s5, 0xbda1c87b
	s_wait_alu 0xfffe
	v_fma_f64 v[30:31], v[2:3], s[18:19], s[4:5]
	s_mov_b32 s18, 0x623fde64
	s_mov_b32 s4, 0xd7e284d4
	s_mov_b32 s19, 0x3ec71dee
	s_mov_b32 s5, 0xbe5d5ca6
	v_fma_f64 v[40:41], v[22:23], s[12:13], v[11:12]
	v_fma_f64 v[11:12], v[2:3], s[2:3], s[0:1]
	s_mov_b32 s0, 0x7b5e1a3d
	s_mov_b32 s2, 0x73e4c12
	;; [unrolled: 1-line block ×4, first 2 shown]
	s_wait_alu 0xfffe
	v_fma_f64 v[13:14], v[4:5], s[0:1], v[13:14]
	v_fma_f64 v[15:16], v[2:3], v[15:16], s[2:3]
	s_mov_b32 s0, 0x32f575b8
	s_mov_b32 s2, 0x1ecf574d
	;; [unrolled: 1-line block ×4, first 2 shown]
	s_wait_alu 0xfffe
	v_fma_f64 v[26:27], v[4:5], s[0:1], v[26:27]
	v_fma_f64 v[17:18], v[2:3], v[17:18], s[2:3]
	s_mov_b32 s0, 0x624dd2f2
	s_mov_b32 s2, 0x1b8a6a9
	;; [unrolled: 1-line block ×4, first 2 shown]
	v_rndne_f64_e32 v[34:35], v[28:29]
	s_wait_alu 0xfffe
	v_fma_f64 v[36:37], v[6:7], s[0:1], s[20:21]
	s_mov_b32 s0, 0xfb2900aa
	s_mov_b32 s1, 0x4013ddf8
	;; [unrolled: 1-line block ×4, first 2 shown]
	v_fma_f64 v[32:33], v[40:41], s[16:17], s[14:15]
	v_fma_f64 v[11:12], v[2:3], v[11:12], s[2:3]
	s_mov_b32 s2, 0x3afb7e9
	s_mov_b32 s3, 0x40dd4d13
	v_fma_f64 v[28:29], v[2:3], v[15:16], v[13:14]
	s_wait_alu 0xfffe
	v_fma_f64 v[13:14], v[6:7], s[2:3], s[0:1]
	s_mov_b32 s0, 0xe406d029
	s_mov_b32 s2, 0xd8e1440e
	;; [unrolled: 1-line block ×4, first 2 shown]
	v_fma_f64 v[15:16], v[2:3], v[30:31], s[4:5]
	v_fma_f64 v[26:27], v[2:3], v[17:18], v[26:27]
	s_mov_b32 s4, 0xab01922f
	s_mov_b32 s5, 0xbcd9eeb6
	v_fma_f64 v[17:18], v[34:35], s[8:9], v[24:25]
	v_fma_f64 v[30:31], v[40:41], v[32:33], s[18:19]
	s_wait_alu 0xfffe
	v_fma_f64 v[32:33], v[4:5], s[0:1], v[36:37]
	v_fma_f64 v[11:12], v[2:3], v[11:12], s[2:3]
	s_mov_b32 s0, 0xdac6e07a
	s_mov_b32 s2, 0xf9364039
	;; [unrolled: 1-line block ×4, first 2 shown]
	v_mul_f64_e32 v[36:37], s[6:7], v[28:29]
	s_wait_alu 0xfffe
	v_fma_f64 v[13:14], v[4:5], s[0:1], v[13:14]
	s_mov_b32 s0, 0xa9f4bbd8
	s_mov_b32 s1, 0xbda7f2e4
	v_fma_f64 v[15:16], v[2:3], v[15:16], s[2:3]
	v_mul_f64_e32 v[38:39], s[6:7], v[26:27]
	s_mov_b32 s2, 0xb64fe36e
	s_mov_b32 s3, 0x3dc10150
	v_fma_f64 v[50:51], v[34:35], s[12:13], v[17:18]
	v_fma_f64 v[30:31], v[40:41], v[30:31], s[20:21]
	;; [unrolled: 1-line block ×3, first 2 shown]
	v_rndne_f64_e32 v[52:53], v[36:37]
	v_fma_f64 v[12:13], v[2:3], v[15:16], v[13:14]
	v_rndne_f64_e32 v[38:39], v[38:39]
	v_fma_f64 v[14:15], v[50:51], s[16:17], s[14:15]
	v_fma_f64 v[16:17], v[40:41], v[30:31], s[22:23]
	v_mul_f64_e32 v[30:31], s[6:7], v[18:19]
	v_fma_f64 v[32:33], v[52:53], s[8:9], v[28:29]
	v_mul_f64_e32 v[42:43], s[6:7], v[12:13]
	v_fma_f64 v[44:45], v[38:39], s[8:9], v[26:27]
	v_fma_f64 v[14:15], v[50:51], v[14:15], s[18:19]
	;; [unrolled: 1-line block ×3, first 2 shown]
	v_rndne_f64_e32 v[36:37], v[30:31]
	v_fma_f64 v[30:31], v[2:3], s[30:31], s[28:29]
	s_mov_b32 s28, 0x555502a1
	s_mov_b32 s30, 0xec074fab
	;; [unrolled: 1-line block ×3, first 2 shown]
	v_fma_f64 v[54:55], v[52:53], s[12:13], v[32:33]
	s_wait_alu 0xfffe
	v_fma_f64 v[32:33], v[2:3], s[4:5], s[2:3]
	s_mov_b32 s2, 0x7106ba7c
	s_mov_b32 s3, 0x3ccfb83a
	;; [unrolled: 1-line block ×4, first 2 shown]
	v_rndne_f64_e32 v[48:49], v[42:43]
	v_fma_f64 v[66:67], v[38:39], s[12:13], v[44:45]
	s_wait_alu 0xfffe
	v_fma_f64 v[42:43], v[2:3], s[2:3], s[0:1]
	s_mov_b32 s0, 0xa2d22780
	s_mov_b32 s2, 0x62c343b7
	v_fma_f64 v[14:15], v[50:51], v[14:15], s[20:21]
	s_mov_b32 s1, 0x400e47e3
	s_mov_b32 s3, 0xc05bf6d4
	;; [unrolled: 1-line block ×3, first 2 shown]
	s_wait_alu 0xfffe
	v_fma_f64 v[58:59], v[6:7], s[2:3], s[0:1]
	s_mov_b32 s0, 0x8e169ff4
	s_mov_b32 s1, 0x3e59d97c
	v_fma_f64 v[60:61], v[6:7], s[34:35], s[30:31]
	s_mov_b32 s30, 0x55555511
	s_mov_b32 s2, 0x4801d1dd
	;; [unrolled: 1-line block ×6, first 2 shown]
	v_fma_f64 v[16:17], v[40:41], v[16:17], s[26:27]
	v_fma_f64 v[44:45], v[36:37], s[8:9], v[18:19]
	;; [unrolled: 1-line block ×3, first 2 shown]
	s_mov_b32 s4, 0x81d1fcb7
	s_mov_b32 s5, 0x4010a8f6
	v_fma_f64 v[46:47], v[54:55], s[16:17], s[14:15]
	v_fma_f64 v[32:33], v[2:3], v[32:33], s[36:37]
	s_mov_b32 s36, 0x843050d6
	s_mov_b32 s37, 0x40070718
	s_wait_alu 0xfffe
	v_fma_f64 v[70:71], v[4:5], s[36:37], v[70:71]
	v_fma_f64 v[64:65], v[48:49], s[8:9], v[12:13]
	;; [unrolled: 1-line block ×4, first 2 shown]
	s_mov_b32 s0, 0xbbf289f6
	s_mov_b32 s1, 0x4010119f
	v_fma_f64 v[14:15], v[50:51], v[14:15], s[22:23]
	s_mov_b32 s36, 0x6d5abd31
	s_mov_b32 s37, 0x3dcb4a43
	s_wait_alu 0xfffe
	v_fma_f64 v[58:59], v[4:5], s[0:1], v[58:59]
	s_mov_b32 s0, 0x417680ee
	s_mov_b32 s1, 0x3f3fd09d
	v_fma_f64 v[60:61], v[4:5], s[4:5], v[60:61]
	s_mov_b32 s4, 0x91aeeb3c
	s_mov_b32 s5, 0xbe9680c0
	v_fma_f64 v[16:17], v[40:41], v[16:17], s[28:29]
	v_fma_f64 v[62:63], v[36:37], s[12:13], v[44:45]
	;; [unrolled: 1-line block ×3, first 2 shown]
	s_mov_b32 s2, 0x68403d
	s_mov_b32 s3, 0x3f5df403
	v_fma_f64 v[44:45], v[54:55], v[46:47], s[18:19]
	v_fma_f64 v[46:47], v[6:7], s[40:41], s[38:39]
	;; [unrolled: 1-line block ×3, first 2 shown]
	s_wait_alu 0xfffe
	v_fma_f64 v[56:57], v[2:3], v[56:57], s[2:3]
	s_mov_b32 s34, 11
	s_mov_b32 s35, 0x3fe00000
	v_fma_f64 v[64:65], v[48:49], s[12:13], v[64:65]
	v_fma_f64 v[68:69], v[66:67], v[68:69], s[18:19]
	v_fma_f64 v[42:43], v[2:3], v[42:43], s[0:1]
	s_mov_b32 s0, 0xbbb5f921
	s_mov_b32 s1, 0x4006fe28
	v_fma_f64 v[14:15], v[50:51], v[14:15], s[24:25]
	s_mov_b32 s2, 0x79c0fa21
	s_mov_b32 s3, 0xbcde9953
	;; [unrolled: 1-line block ×6, first 2 shown]
	s_wait_alu 0xfffe
	v_fma_f64 v[88:89], v[2:3], s[44:45], s[40:41]
	s_mov_b32 s44, 0x3029e0e7
	s_mov_b32 s45, 0x3db5142e
	;; [unrolled: 1-line block ×4, first 2 shown]
	v_fma_f64 v[16:17], v[40:41], v[16:17], s[30:31]
	v_fma_f64 v[74:75], v[62:63], s[16:17], s[14:15]
	;; [unrolled: 1-line block ×6, first 2 shown]
	s_mov_b32 s0, 0xdede96a2
	s_mov_b32 s1, 0x3dc32540
	v_fma_f64 v[58:59], v[64:65], s[16:17], s[14:15]
	v_fma_f64 v[68:69], v[66:67], v[68:69], s[20:21]
	s_wait_alu 0xfffe
	v_fma_f64 v[80:81], v[2:3], s[2:3], s[0:1]
	s_mov_b32 s0, 0xd45ae0a1
	s_mov_b32 s2, 0xfd8adaba
	v_fma_f64 v[76:77], v[50:51], v[14:15], s[26:27]
	s_mov_b32 s1, 0x402140c4
	s_mov_b32 s3, 0xc0e8ddbf
	;; [unrolled: 3-line block ×3, first 2 shown]
	v_fma_f64 v[60:61], v[40:41], v[16:17], s[34:35]
	v_fma_f64 v[16:17], v[2:3], v[42:43], v[70:71]
	v_fma_f64 v[42:43], v[62:63], v[74:75], s[18:19]
	v_fma_f64 v[44:45], v[54:55], v[44:45], s[22:23]
	v_fma_f64 v[14:15], v[2:3], v[56:57], v[46:47]
	v_mul_f64_e32 v[46:47], s[6:7], v[32:33]
	v_mul_f64_e32 v[70:71], s[6:7], v[30:31]
	v_fma_f64 v[56:57], v[64:65], v[58:59], s[18:19]
	v_fma_f64 v[58:59], v[66:67], v[68:69], s[22:23]
	;; [unrolled: 1-line block ×3, first 2 shown]
	v_fma_f64 v[60:61], v[40:41], v[60:61], 1.0
	v_mul_f64_e32 v[72:73], s[6:7], v[16:17]
	v_fma_f64 v[74:75], v[62:63], v[42:43], s[20:21]
	v_fma_f64 v[76:77], v[54:55], v[44:45], s[24:25]
	v_mul_f64_e32 v[78:79], s[6:7], v[14:15]
	v_rndne_f64_e32 v[44:45], v[46:47]
	v_rndne_f64_e32 v[46:47], v[70:71]
	v_fma_f64 v[56:57], v[64:65], v[56:57], s[20:21]
	v_fma_f64 v[58:59], v[66:67], v[58:59], s[24:25]
	;; [unrolled: 1-line block ×3, first 2 shown]
	v_fma_f64 v[22:23], v[40:41], v[60:61], 1.0
	v_rndne_f64_e32 v[42:43], v[72:73]
	v_fma_f64 v[60:61], v[62:63], v[74:75], s[22:23]
	s_wait_alu 0xfffe
	v_fma_f64 v[72:73], v[6:7], s[2:3], s[0:1]
	v_fma_f64 v[74:75], v[2:3], s[38:39], s[36:37]
	s_mov_b32 s0, 0x3d389aa6
	s_mov_b32 s2, 0xfbc69f5e
	v_fma_f64 v[70:71], v[54:55], v[76:77], s[26:27]
	v_rndne_f64_e32 v[40:41], v[78:79]
	v_fma_f64 v[76:77], v[2:3], v[80:81], s[4:5]
	v_fma_f64 v[78:79], v[44:45], s[8:9], v[32:33]
	;; [unrolled: 1-line block ×3, first 2 shown]
	s_mov_b32 s4, 0xf83b907a
	v_fma_f64 v[56:57], v[64:65], v[56:57], s[22:23]
	v_fma_f64 v[58:59], v[66:67], v[58:59], s[26:27]
	s_mov_b32 s36, 0x652bd3c3
	s_mov_b32 s38, 0xaa025534
	;; [unrolled: 1-line block ×3, first 2 shown]
	v_fma_f64 v[68:69], v[50:51], v[68:69], s[34:35]
	s_mov_b32 s3, 0x3f63120c
	s_mov_b32 s5, 0x4020f5cb
	;; [unrolled: 1-line block ×4, first 2 shown]
	s_wait_alu 0xfffe
	v_fma_f64 v[86:87], v[6:7], s[36:37], s[4:5]
	s_mov_b32 s36, 0x128bf3bf
	s_mov_b32 s37, 0x40326ff4
	;; [unrolled: 1-line block ×4, first 2 shown]
	v_ldexp_f64 v[22:23], v[22:23], v1
	v_fma_f64 v[82:83], v[42:43], s[8:9], v[16:17]
	v_fma_f64 v[84:85], v[62:63], v[60:61], s[24:25]
	;; [unrolled: 1-line block ×4, first 2 shown]
	v_cmp_ngt_f64_e64 s0, 0xc090cc00, v[20:21]
	s_mov_b32 s38, 0x1b866e44
	v_fma_f64 v[70:71], v[54:55], v[70:71], s[28:29]
	v_fma_f64 v[90:91], v[40:41], s[8:9], v[14:15]
	;; [unrolled: 1-line block ×4, first 2 shown]
	s_mov_b32 s39, 0x40c27e2c
	s_mov_b32 s2, 0x5f3a4d2e
	v_fma_f64 v[78:79], v[64:65], v[56:57], s[24:25]
	v_fma_f64 v[92:93], v[66:67], v[58:59], s[28:29]
	;; [unrolled: 1-line block ×3, first 2 shown]
	s_mov_b32 s3, 0x40024926
	v_add_co_u32 v9, s1, s10, v9
	v_fma_f64 v[94:95], v[50:51], v[68:69], 1.0
	s_wait_alu 0xf1ff
	v_add_co_ci_u32_e64 v10, null, s11, v10, s1
	s_wait_alu 0xfffe
	v_fma_f64 v[86:87], v[4:5], s[2:3], v[86:87]
	s_mov_b32 s2, 0x711ca116
	s_mov_b32 s3, 0x3f7b6cb6
	s_wait_alu 0xfffe
	v_fma_f64 v[88:89], v[2:3], v[88:89], s[2:3]
	s_mov_b32 s2, 0xfcdc62d9
	s_mov_b32 s3, 0x3f50e56e
	s_wait_alu 0xfffd
	v_cndmask_b32_e32 v1, 0x7ff00000, v23, vcc_lo
	v_fma_f64 v[58:59], v[42:43], s[12:13], v[82:83]
	v_fma_f64 v[80:81], v[62:63], v[84:85], s[26:27]
	v_fma_f64 v[82:83], v[6:7], s[38:39], s[36:37]
	v_fma_f64 v[84:85], v[2:3], s[46:47], s[44:45]
	v_fma_f64 v[74:75], v[2:3], v[74:75], s[4:5]
	v_cndmask_b32_e64 v23, 0, v1, s0
	v_fma_f64 v[70:71], v[54:55], v[70:71], s[30:31]
	v_fma_f64 v[68:69], v[40:41], s[12:13], v[90:91]
	;; [unrolled: 1-line block ×4, first 2 shown]
	s_and_b32 vcc_lo, s0, vcc_lo
	s_mov_b32 s0, 0xb314eac9
	v_fma_f64 v[76:77], v[64:65], v[78:79], s[26:27]
	v_fma_f64 v[78:79], v[66:67], v[92:93], s[30:31]
	;; [unrolled: 1-line block ×3, first 2 shown]
	s_mov_b32 s38, 0x113731d3
	s_mov_b32 s1, 0x3fb32977
	;; [unrolled: 1-line block ×3, first 2 shown]
	s_wait_alu 0xfffe
	v_cndmask_b32_e32 v22, 0, v22, vcc_lo
	v_cvt_i32_f64_e32 v1, v[34:35]
	s_mov_b32 s4, 0x12dc25b0
	s_mov_b32 s36, 0xaacd9e84
	v_fma_f64 v[50:51], v[50:51], v[94:95], 1.0
	s_mov_b32 s5, 0x401f4656
	s_mov_b32 s37, 0x40cba3ef
	global_store_b64 v[9:10], v[22:23], off
	s_wait_alu 0xfffe
	v_fma_f64 v[9:10], v[6:7], s[36:37], s[4:5]
	s_mov_b32 s4, 0xcf280ec0
	s_mov_b32 s36, 0x854e86a3
	s_mov_b32 s5, 0x3dc7fb8e
	s_mov_b32 s37, 0xbce542c2
	v_cmp_nlt_f64_e32 vcc_lo, 0x40900000, v[24:25]
	s_wait_alu 0xfffe
	v_fma_f64 v[94:95], v[2:3], s[36:37], s[4:5]
	s_mov_b32 s4, 0x4fdf3b64
	s_mov_b32 s36, 0xdbd7ce26
	;; [unrolled: 1-line block ×5, first 2 shown]
	v_fma_f64 v[92:93], v[58:59], s[16:17], s[14:15]
	v_fma_f64 v[80:81], v[62:63], v[80:81], s[28:29]
	;; [unrolled: 1-line block ×5, first 2 shown]
	s_mov_b32 s0, 0x3bac2892
	v_fma_f64 v[70:71], v[54:55], v[70:71], s[34:35]
	v_fma_f64 v[84:85], v[68:69], s[16:17], s[14:15]
	s_mov_b32 s1, 0x4005b8b3
	v_fma_f64 v[72:73], v[60:61], v[72:73], s[18:19]
	s_mov_b32 s38, 0xc9942ee8
	s_mov_b32 s39, 0xbce806ef
	v_fma_f64 v[74:75], v[64:65], v[76:77], s[28:29]
	v_fma_f64 v[76:77], v[66:67], v[78:79], s[34:35]
	v_mul_f64_e32 v[78:79], s[6:7], v[20:21]
	v_fma_f64 v[86:87], v[56:57], v[90:91], s[18:19]
	s_mov_b32 s45, 0xbcf36c97
	s_mov_b32 s46, 0x2ac75602
	;; [unrolled: 1-line block ×3, first 2 shown]
	s_wait_alu 0xfffe
	v_fma_f64 v[10:11], v[4:5], s[0:1], v[9:10]
	v_cmp_ngt_f64_e64 s0, 0xc090cc00, v[24:25]
	v_mov_b32_e32 v9, 0
	v_fma_f64 v[90:91], v[58:59], v[92:93], s[18:19]
	v_fma_f64 v[80:81], v[62:63], v[80:81], s[30:31]
	v_ldexp_f64 v[92:93], v[50:51], v1
	v_fma_f64 v[82:83], v[2:3], v[82:83], s[2:3]
	v_fma_f64 v[34:35], v[2:3], v[88:89], v[34:35]
	v_cvt_i32_f64_e32 v1, v[52:53]
	v_fma_f64 v[70:71], v[54:55], v[70:71], 1.0
	v_fma_f64 v[84:85], v[68:69], v[84:85], s[18:19]
	v_mul_f64_e32 v[88:89], s[6:7], v[22:23]
	v_fma_f64 v[72:73], v[60:61], v[72:73], s[20:21]
	s_mov_b32 s2, 0x9340641e
	s_mov_b32 s3, 0x40022c50
	v_fma_f64 v[74:75], v[64:65], v[74:75], s[30:31]
	v_fma_f64 v[76:77], v[66:67], v[76:77], 1.0
	v_rndne_f64_e32 v[50:51], v[78:79]
	v_fma_f64 v[78:79], v[56:57], v[86:87], s[20:21]
	s_wait_alu 0xfffe
	v_fma_f64 v[52:53], v[6:7], s[4:5], s[2:3]
	s_mov_b32 s2, 0x23f95973
	s_mov_b32 s4, 0x7e62db66
	;; [unrolled: 1-line block ×4, first 2 shown]
	v_fma_f64 v[86:87], v[58:59], v[90:91], s[20:21]
	v_fma_f64 v[80:81], v[62:63], v[80:81], s[34:35]
	;; [unrolled: 1-line block ×3, first 2 shown]
	s_wait_alu 0xfffd
	v_cndmask_b32_e32 v93, 0x7ff00000, v93, vcc_lo
	v_fma_f64 v[24:25], v[2:3], v[82:83], v[10:11]
	v_mul_f64_e32 v[10:11], s[6:7], v[34:35]
	v_fma_f64 v[54:55], v[54:55], v[70:71], 1.0
	v_lshlrev_b64_e32 v[70:71], 3, v[8:9]
	v_fma_f64 v[84:85], v[68:69], v[84:85], s[20:21]
	s_and_b32 vcc_lo, s0, vcc_lo
	v_fma_f64 v[72:73], v[60:61], v[72:73], s[22:23]
	v_add_nc_u32_e32 v8, s33, v8
	v_fma_f64 v[74:75], v[64:65], v[74:75], s[34:35]
	v_add_co_u32 v70, s1, s10, v70
	s_wait_alu 0xf1ff
	v_add_co_ci_u32_e64 v71, null, s11, v71, s1
	v_fma_f64 v[76:77], v[66:67], v[76:77], 1.0
	v_fma_f64 v[66:67], v[50:51], s[8:9], v[20:21]
	v_fma_f64 v[78:79], v[56:57], v[78:79], s[22:23]
	s_mov_b32 s36, 0x2cb996d4
	s_mov_b32 s37, 0x3dcafdc3
	v_cvt_i32_f64_e32 v94, v[38:39]
	v_rndne_f64_e32 v[38:39], v[88:89]
	s_wait_alu 0xfffe
	v_fma_f64 v[88:89], v[2:3], s[38:39], s[36:37]
	s_mov_b32 s36, 0xb400a419
	s_mov_b32 s37, 0xbcf3e714
	;; [unrolled: 1-line block ×4, first 2 shown]
	v_cvt_i32_f64_e32 v95, v[48:49]
	v_fma_f64 v[82:83], v[58:59], v[86:87], s[22:23]
	v_fma_f64 v[80:81], v[62:63], v[80:81], 1.0
	v_fma_f64 v[90:91], v[2:3], v[90:91], s[4:5]
	s_mov_b32 s4, 0x17c1bda5
	s_mov_b32 s5, 0xc0af57d6
	v_ldexp_f64 v[86:87], v[54:55], v1
	v_cndmask_b32_e64 v55, 0, v93, s0
	v_cndmask_b32_e32 v54, 0, v92, vcc_lo
	v_fma_f64 v[92:93], v[4:5], s[2:3], v[52:53]
	v_fma_f64 v[84:85], v[68:69], v[84:85], s[22:23]
	v_rndne_f64_e32 v[52:53], v[10:11]
	v_fma_f64 v[10:11], v[60:61], v[72:73], s[24:25]
	global_store_b64 v[70:71], v[54:55], off
	v_lshlrev_b64_e32 v[70:71], 3, v[8:9]
	v_fma_f64 v[72:73], v[64:65], v[74:75], 1.0
	s_mov_b32 s0, 0xc0090e8f
	s_mov_b32 s1, 0x3dd70da9
	v_fma_f64 v[66:67], v[50:51], s[12:13], v[66:67]
	v_fma_f64 v[74:75], v[56:57], v[78:79], s[24:25]
	v_add_co_u32 v70, vcc_lo, s10, v70
	s_wait_alu 0xfffd
	v_add_co_ci_u32_e64 v71, null, s11, v71, vcc_lo
	v_cmp_nlt_f64_e32 vcc_lo, 0x40900000, v[28:29]
	s_wait_alu 0xfffe
	v_fma_f64 v[54:55], v[2:3], s[36:37], s[0:1]
	s_mov_b32 s2, 0xaa54a7cd
	s_mov_b32 s36, 0x9a9876e7
	;; [unrolled: 1-line block ×4, first 2 shown]
	v_cmp_ngt_f64_e64 s0, 0xc090cc00, v[28:29]
	v_ldexp_f64 v[76:77], v[76:77], v94
	v_mul_f64_e32 v[78:79], s[6:7], v[24:25]
	v_cvt_i32_f64_e32 v1, v[36:37]
	v_cmp_nlt_f64_e64 s1, 0x40900000, v[26:27]
	v_add_nc_u32_e32 v8, s33, v8
	v_cvt_i32_f64_e32 v100, v[38:39]
	v_fma_f64 v[36:37], v[58:59], v[82:83], s[24:25]
	v_fma_f64 v[62:63], v[62:63], v[80:81], 1.0
	v_fma_f64 v[80:81], v[38:39], s[8:9], v[22:23]
	s_wait_alu 0xfffe
	v_fma_f64 v[82:83], v[6:7], s[4:5], s[2:3]
	s_mov_b32 s4, 0x917939a8
	s_mov_b32 s5, 0x402b5009
	v_cmp_ngt_f64_e64 s2, 0xc090cc00, v[26:27]
	v_fma_f64 v[28:29], v[2:3], v[90:91], v[92:93]
	v_fma_f64 v[84:85], v[68:69], v[84:85], s[24:25]
	v_cvt_i32_f64_e32 v101, v[52:53]
	v_fma_f64 v[10:11], v[60:61], v[10:11], s[26:27]
	v_fma_f64 v[64:65], v[64:65], v[72:73], 1.0
	v_fma_f64 v[72:73], v[66:67], s[16:17], s[14:15]
	v_fma_f64 v[74:75], v[56:57], v[74:75], s[26:27]
	s_wait_alu 0xfffd
	v_cndmask_b32_e32 v94, 0x7ff00000, v87, vcc_lo
	v_fma_f64 v[87:88], v[2:3], v[88:89], s[36:37]
	v_fma_f64 v[89:90], v[52:53], s[8:9], v[34:35]
	s_mov_b32 s36, 0x88ce703b
	s_mov_b32 s37, 0x40cb55ea
	v_fma_f64 v[91:92], v[2:3], v[54:55], s[38:39]
	s_wait_alu 0xfffe
	v_fma_f64 v[26:27], v[6:7], s[36:37], s[4:5]
	s_mov_b32 s4, 0xc2e745ca
	s_mov_b32 s36, 0x8babc438
	;; [unrolled: 1-line block ×4, first 2 shown]
	s_and_b32 vcc_lo, s0, vcc_lo
	v_rndne_f64_e32 v[48:49], v[78:79]
	s_wait_alu 0xfffe
	v_cndmask_b32_e32 v86, 0, v86, vcc_lo
	v_fma_f64 v[36:37], v[58:59], v[36:37], s[26:27]
	v_cndmask_b32_e64 v96, 0x7ff00000, v77, s1
	v_fma_f64 v[54:55], v[38:39], s[12:13], v[80:81]
	v_fma_f64 v[79:80], v[4:5], s[4:5], v[82:83]
	v_ldexp_f64 v[77:78], v[62:63], v1
	s_mov_b32 s38, 0x5c7fddb1
	s_mov_b32 s39, 0x3ffc2bc9
	s_and_b32 s1, s2, s1
	s_mov_b32 s4, 0x4816f00
	s_mov_b32 s5, 0x40076fc5
	v_fma_f64 v[83:84], v[68:69], v[84:85], s[26:27]
	v_fma_f64 v[72:73], v[66:67], v[72:73], s[18:19]
	;; [unrolled: 1-line block ×4, first 2 shown]
	v_cndmask_b32_e64 v87, 0, v94, s0
	v_mul_f64_e32 v[93:94], s[6:7], v[28:29]
	v_fma_f64 v[62:63], v[52:53], s[12:13], v[89:90]
	v_fma_f64 v[89:90], v[2:3], v[91:92], s[40:41]
	s_wait_alu 0xfffe
	v_fma_f64 v[26:27], v[4:5], s[38:39], v[26:27]
	global_store_b64 v[70:71], v[86:87], off
	v_lshlrev_b64_e32 v[70:71], 3, v[8:9]
	v_fma_f64 v[85:86], v[60:61], v[10:11], s[28:29]
	v_cmp_ngt_f64_e64 s0, 0xc090cc00, v[18:19]
	v_ldexp_f64 v[87:88], v[64:65], v95
	v_fma_f64 v[91:92], v[48:49], s[8:9], v[24:25]
	s_mov_b32 s38, 0xdd3f9809
	v_add_co_u32 v70, vcc_lo, s10, v70
	s_wait_alu 0xfffd
	v_add_co_ci_u32_e64 v71, null, s11, v71, vcc_lo
	v_cmp_nlt_f64_e32 vcc_lo, 0x40900000, v[18:19]
	v_fma_f64 v[36:37], v[58:59], v[36:37], s[28:29]
	v_fma_f64 v[18:19], v[54:55], s[16:17], s[14:15]
	s_mov_b32 s40, 0x5faa9762
	s_mov_b32 s39, 0x3dc21213
	;; [unrolled: 1-line block ×3, first 2 shown]
	v_add_nc_u32_e32 v8, s33, v8
	s_mov_b32 s36, 0x1f75105
	s_mov_b32 s37, 0xc05ff548
	v_fma_f64 v[72:73], v[66:67], v[72:73], s[20:21]
	v_fma_f64 v[10:11], v[2:3], v[81:82], v[79:80]
	v_cndmask_b32_e64 v79, 0, v96, s2
	s_wait_alu 0xfffe
	v_fma_f64 v[80:81], v[2:3], s[40:41], s[38:39]
	v_fma_f64 v[82:83], v[68:69], v[83:84], s[28:29]
	v_rndne_f64_e32 v[64:65], v[93:94]
	v_cmp_ngt_f64_e64 s2, 0xc090cc00, v[12:13]
	v_fma_f64 v[93:94], v[56:57], v[74:75], s[30:31]
	s_mov_b32 s38, 0x10bb4ee8
	v_fma_f64 v[84:85], v[60:61], v[85:86], s[30:31]
	s_mov_b32 s39, 0xbe9db60e
	s_mov_b32 s40, 0x98334c14
	;; [unrolled: 1-line block ×3, first 2 shown]
	s_wait_alu 0xfffd
	v_cndmask_b32_e32 v1, 0x7ff00000, v78, vcc_lo
	v_cndmask_b32_e64 v78, 0, v76, s1
	v_cmp_nlt_f64_e64 s1, 0x40900000, v[12:13]
	v_fma_f64 v[36:37], v[58:59], v[36:37], s[30:31]
	v_fma_f64 v[12:13], v[2:3], v[89:90], v[26:27]
	;; [unrolled: 1-line block ×3, first 2 shown]
	global_store_b64 v[70:71], v[78:79], off
	v_fma_f64 v[78:79], v[62:63], s[16:17], s[14:15]
	v_lshlrev_b64_e32 v[70:71], 3, v[8:9]
	v_add_nc_u32_e32 v8, s33, v8
	s_and_b32 vcc_lo, s0, vcc_lo
	v_cndmask_b32_e64 v27, 0, v1, s0
	s_wait_alu 0xfffe
	v_cndmask_b32_e32 v26, 0, v77, vcc_lo
	v_fma_f64 v[76:77], v[6:7], s[36:37], s[4:5]
	v_add_co_u32 v74, s3, s10, v70
	s_wait_alu 0xf1ff
	v_add_co_ci_u32_e64 v75, null, s11, v71, s3
	v_fma_f64 v[70:71], v[48:49], s[12:13], v[91:92]
	v_lshlrev_b64_e32 v[95:96], 3, v[8:9]
	v_add_nc_u32_e32 v8, s33, v8
	global_store_b64 v[74:75], v[26:27], off
	s_mov_b32 s4, 0x301a0c52
	v_fma_f64 v[80:81], v[2:3], v[80:81], s[38:39]
	s_mov_b32 s36, 0x2ab960e9
	v_lshlrev_b64_e32 v[26:27], 3, v[8:9]
	s_mov_b32 s5, 0x3dc569de
	v_fma_f64 v[90:91], v[56:57], v[93:94], s[34:35]
	s_mov_b32 s37, 0xbce044c2
	v_fma_f64 v[84:85], v[60:61], v[84:85], s[34:35]
	v_cvt_i32_f64_e32 v1, v[44:45]
	s_mov_b32 s38, 0x4189375
	s_mov_b32 s39, 0xc0e79796
	v_add_nc_u32_e32 v8, s33, v8
	v_cndmask_b32_e64 v86, 0x7ff00000, v88, s1
	v_add_co_u32 v88, vcc_lo, s10, v95
	s_wait_alu 0xfffd
	v_add_co_ci_u32_e64 v89, null, s11, v96, vcc_lo
	v_add_co_u32 v74, vcc_lo, s10, v26
	s_wait_alu 0xfffd
	v_add_co_ci_u32_e64 v75, null, s11, v27, vcc_lo
	v_fma_f64 v[26:27], v[68:69], v[82:83], s[30:31]
	v_fma_f64 v[82:83], v[64:65], s[8:9], v[28:29]
	v_fma_f64 v[78:79], v[62:63], v[78:79], s[18:19]
	s_and_b32 vcc_lo, s2, s1
	v_cndmask_b32_e64 v93, 0, v86, s2
	s_wait_alu 0xfffe
	v_cndmask_b32_e32 v92, 0, v87, vcc_lo
	v_mul_f64_e32 v[86:87], s[6:7], v[10:11]
	v_fma_f64 v[94:95], v[66:67], v[72:73], s[22:23]
	v_fma_f64 v[96:97], v[58:59], v[36:37], s[34:35]
	;; [unrolled: 1-line block ×3, first 2 shown]
	global_store_b64 v[88:89], v[92:93], off
	v_mul_f64_e32 v[88:89], s[6:7], v[12:13]
	v_fma_f64 v[92:93], v[70:71], s[16:17], s[14:15]
	s_mov_b32 s0, 0xaa8650e7
	s_mov_b32 s2, 0x717c07fd
	;; [unrolled: 1-line block ×4, first 2 shown]
	s_wait_alu 0xfffe
	v_fma_f64 v[76:77], v[4:5], s[0:1], v[76:77]
	v_fma_f64 v[80:81], v[2:3], v[80:81], s[2:3]
	s_mov_b32 s0, 0x72bbd7ea
	s_mov_b32 s2, 0x6e577b4c
	s_mov_b32 s1, 0x3db7549e
	s_mov_b32 s3, 0xbccad121
	v_cmp_nlt_f64_e32 vcc_lo, 0x40900000, v[32:33]
	v_fma_f64 v[98:99], v[68:69], v[26:27], s[34:35]
	v_fma_f64 v[72:73], v[64:65], s[12:13], v[82:83]
	;; [unrolled: 1-line block ×3, first 2 shown]
	v_fma_f64 v[82:83], v[60:61], v[84:85], 1.0
	v_fma_f64 v[84:85], v[56:57], v[90:91], 1.0
	v_rndne_f64_e32 v[36:37], v[86:87]
	v_fma_f64 v[86:87], v[66:67], v[94:95], s[24:25]
	v_fma_f64 v[90:91], v[58:59], v[96:97], 1.0
	v_cvt_i32_f64_e32 v96, v[46:47]
	s_wait_alu 0xfffe
	v_fma_f64 v[46:47], v[2:3], s[2:3], s[0:1]
	v_rndne_f64_e32 v[26:27], v[88:89]
	v_fma_f64 v[88:89], v[70:71], v[92:93], s[18:19]
	v_fma_f64 v[92:93], v[54:55], v[18:19], s[22:23]
	s_mov_b32 s0, 0x599d553b
	s_mov_b32 s2, 0xf2e48e8a
	;; [unrolled: 1-line block ×4, first 2 shown]
	v_fma_f64 v[18:19], v[2:3], v[80:81], v[76:77]
	v_cvt_i32_f64_e32 v97, v[40:41]
	v_fma_f64 v[94:95], v[68:69], v[98:99], 1.0
	v_fma_f64 v[76:77], v[72:73], s[16:17], s[14:15]
	v_fma_f64 v[78:79], v[62:63], v[78:79], s[22:23]
	v_fma_f64 v[44:45], v[60:61], v[82:83], 1.0
	v_fma_f64 v[60:61], v[2:3], s[36:37], s[4:5]
	v_fma_f64 v[56:57], v[56:57], v[84:85], 1.0
	v_fma_f64 v[80:81], v[36:37], s[8:9], v[10:11]
	v_fma_f64 v[82:83], v[66:67], v[86:87], s[26:27]
	v_fma_f64 v[58:59], v[58:59], v[90:91], 1.0
	s_wait_alu 0xfffe
	v_fma_f64 v[90:91], v[6:7], s[2:3], s[0:1]
	s_mov_b32 s4, 0xa8ef5fe7
	v_fma_f64 v[84:85], v[26:27], s[8:9], v[12:13]
	v_fma_f64 v[86:87], v[70:71], v[88:89], s[20:21]
	;; [unrolled: 1-line block ×3, first 2 shown]
	s_mov_b32 s5, 0xbe9a8a7d
	v_fma_f64 v[92:93], v[2:3], v[46:47], s[40:41]
	s_mov_b32 s36, 0x53747141
	s_mov_b32 s0, 0x7ee6bae0
	;; [unrolled: 1-line block ×8, first 2 shown]
	v_fma_f64 v[68:69], v[68:69], v[94:95], 1.0
	v_fma_f64 v[76:77], v[72:73], v[76:77], s[18:19]
	v_fma_f64 v[78:79], v[62:63], v[78:79], s[24:25]
	v_cvt_i32_f64_e32 v94, v[42:43]
	s_wait_alu 0xfffe
	v_fma_f64 v[60:61], v[2:3], v[60:61], s[4:5]
	v_ldexp_f64 v[42:43], v[44:45], v1
	v_fma_f64 v[46:47], v[36:37], s[12:13], v[80:81]
	v_fma_f64 v[80:81], v[66:67], v[82:83], s[28:29]
	;; [unrolled: 1-line block ×3, first 2 shown]
	v_ldexp_f64 v[82:83], v[56:57], v96
	s_mov_b32 s4, 0xf1e4b44a
	v_fma_f64 v[56:57], v[26:27], s[12:13], v[84:85]
	v_fma_f64 v[84:85], v[70:71], v[86:87], s[22:23]
	;; [unrolled: 1-line block ×4, first 2 shown]
	v_cmp_nlt_f64_e64 s1, 0x40900000, v[30:31]
	v_cmp_ngt_f64_e64 s0, 0xc090cc00, v[32:33]
	s_mov_b32 s36, 0x4c4c3598
	s_mov_b32 s5, 0x40111cb4
	;; [unrolled: 1-line block ×4, first 2 shown]
	s_wait_alu 0xfffe
	v_fma_f64 v[90:91], v[2:3], v[92:93], s[36:37]
	s_mov_b32 s36, 0x3479da37
	s_mov_b32 s37, 0x401f2638
	;; [unrolled: 1-line block ×3, first 2 shown]
	v_ldexp_f64 v[68:69], v[68:69], v97
	v_fma_f64 v[76:77], v[72:73], v[76:77], s[20:21]
	v_fma_f64 v[78:79], v[62:63], v[78:79], s[26:27]
	v_ldexp_f64 v[58:59], v[58:59], v94
	v_fma_f64 v[60:61], v[2:3], v[60:61], s[2:3]
	v_cmp_nlt_f64_e64 s3, 0x40900000, v[16:17]
	v_fma_f64 v[92:93], v[46:47], s[16:17], s[14:15]
	v_fma_f64 v[80:81], v[66:67], v[80:81], s[30:31]
	;; [unrolled: 1-line block ×3, first 2 shown]
	s_mov_b32 s4, 0x5a61e093
	s_mov_b32 s5, 0x3dd74f76
	v_fma_f64 v[94:95], v[56:57], s[16:17], s[14:15]
	s_wait_alu 0xfffe
	v_fma_f64 v[40:41], v[2:3], s[44:45], s[4:5]
	s_wait_alu 0xfffd
	v_cndmask_b32_e32 v1, 0x7ff00000, v43, vcc_lo
	v_cmp_ngt_f64_e64 s2, 0xc090cc00, v[30:31]
	s_wait_alu 0xf1ff
	v_cndmask_b32_e64 v96, 0x7ff00000, v83, s1
	v_fma_f64 v[83:84], v[70:71], v[84:85], s[24:25]
	v_fma_f64 v[85:86], v[54:55], v[86:87], s[28:29]
	s_and_b32 vcc_lo, s0, vcc_lo
	v_cmp_ngt_f64_e64 s4, 0xc090cc00, v[16:17]
	v_cndmask_b32_e64 v17, 0, v1, s0
	s_wait_alu 0xfffe
	v_cndmask_b32_e32 v16, 0, v42, vcc_lo
	s_mov_b32 s44, 0x753f615
	s_mov_b32 s45, 0xbcfc4e76
	global_store_b64 v[74:75], v[16:17], off
	s_wait_alu 0xfffe
	v_fma_f64 v[74:75], v[2:3], s[44:45], s[46:47]
	v_fma_f64 v[76:77], v[72:73], v[76:77], s[22:23]
	;; [unrolled: 1-line block ×4, first 2 shown]
	v_cndmask_b32_e64 v98, 0x7ff00000, v59, s3
	v_fma_f64 v[60:61], v[66:67], v[80:81], s[34:35]
	v_fma_f64 v[30:31], v[2:3], v[90:91], v[44:45]
	v_mul_f64_e32 v[43:44], s[6:7], v[18:19]
	v_fma_f64 v[80:81], v[46:47], v[92:93], s[18:19]
	v_fma_f64 v[87:88], v[56:57], v[94:95], s[18:19]
	v_lshlrev_b64_e32 v[89:90], 3, v[8:9]
	v_add_nc_u32_e32 v8, s33, v8
	v_fma_f64 v[93:94], v[6:7], s[38:39], s[36:37]
	v_fma_f64 v[40:41], v[2:3], v[40:41], s[40:41]
	;; [unrolled: 1-line block ×4, first 2 shown]
	v_add_co_u32 v16, vcc_lo, s10, v89
	s_wait_alu 0xfffd
	v_add_co_ci_u32_e64 v17, null, s11, v90, vcc_lo
	v_lshlrev_b64_e32 v[89:90], 3, v[8:9]
	v_cndmask_b32_e64 v92, 0, v96, s2
	s_mov_b32 s36, 0x3114b5e5
	s_mov_b32 s37, 0xbeb651c9
	v_add_nc_u32_e32 v8, s33, v8
	s_delay_alu instid0(VALU_DEP_3)
	v_add_co_u32 v89, vcc_lo, s10, v89
	s_wait_alu 0xfffd
	v_add_co_ci_u32_e64 v90, null, s11, v90, vcc_lo
	s_and_b32 vcc_lo, s2, s1
	s_mov_b32 s0, 0x5d6967a3
	s_wait_alu 0xfffe
	v_cndmask_b32_e32 v91, 0, v82, vcc_lo
	s_and_b32 vcc_lo, s4, s3
	s_mov_b32 s2, 0xda122fad
	s_mov_b32 s1, 0x40249c59
	;; [unrolled: 1-line block ×3, first 2 shown]
	v_fma_f64 v[76:77], v[72:73], v[76:77], s[24:25]
	v_fma_f64 v[78:79], v[62:63], v[78:79], s[30:31]
	global_store_b64 v[16:17], v[91:92], off
	v_mul_f64_e32 v[91:92], s[6:7], v[32:33]
	v_fma_f64 v[59:60], v[66:67], v[60:61], 1.0
	v_mul_f64_e32 v[95:96], s[6:7], v[30:31]
	v_rndne_f64_e32 v[16:17], v[43:44]
	v_fma_f64 v[44:45], v[46:47], v[80:81], s[20:21]
	v_fma_f64 v[80:81], v[70:71], v[83:84], s[28:29]
	v_fma_f64 v[42:43], v[54:55], v[85:86], s[34:35]
	v_cndmask_b32_e64 v85, 0, v98, s4
	s_mov_b32 s4, 0x485b62c8
	s_wait_alu 0xfffe
	v_cndmask_b32_e32 v84, 0, v58, vcc_lo
	s_mov_b32 s5, 0xbeb2c3c3
	v_fma_f64 v[82:83], v[56:57], v[87:88], s[20:21]
	v_fma_f64 v[86:87], v[6:7], s[2:3], s[0:1]
	s_wait_alu 0xfffe
	v_fma_f64 v[74:75], v[2:3], v[74:75], s[4:5]
	s_mov_b32 s0, 0xddc6e95a
	s_mov_b32 s2, 0xf12db09f
	;; [unrolled: 1-line block ×4, first 2 shown]
	v_cmp_nlt_f64_e32 vcc_lo, 0x40900000, v[14:15]
	global_store_b64 v[89:90], v[84:85], off
	s_wait_alu 0xfffe
	v_fma_f64 v[84:85], v[2:3], s[2:3], s[0:1]
	s_mov_b32 s2, 0x31487768
	s_mov_b32 s4, 0xe497ede9
	s_mov_b32 s3, 0x40082240
	s_mov_b32 s5, 0x3f752803
	v_cmp_ngt_f64_e64 s0, 0xc090cc00, v[14:15]
	s_wait_alu 0xfffe
	v_fma_f64 v[40:41], v[2:3], v[40:41], s[4:5]
	s_mov_b32 s4, 0xdfc0f594
	v_fma_f64 v[76:77], v[72:73], v[76:77], s[26:27]
	v_fma_f64 v[14:15], v[62:63], v[78:79], s[34:35]
	v_fma_f64 v[78:79], v[4:5], s[2:3], v[93:94]
	s_mov_b32 s2, 0x57ef94a2
	s_mov_b32 s3, 0x3de95bde
	;; [unrolled: 1-line block ×3, first 2 shown]
	v_fma_f64 v[58:59], v[66:67], v[59:60], 1.0
	s_wait_alu 0xfffe
	v_fma_f64 v[60:61], v[2:3], s[4:5], s[2:3]
	s_mov_b32 s2, 0xa5d9c3d6
	s_mov_b32 s4, 0x5720731e
	;; [unrolled: 1-line block ×4, first 2 shown]
	v_fma_f64 v[88:89], v[16:17], s[8:9], v[18:19]
	v_cmp_nlt_f64_e64 s1, 0x40900000, v[22:23]
	v_fma_f64 v[66:67], v[70:71], v[80:81], s[30:31]
	v_fma_f64 v[42:43], v[54:55], v[42:43], 1.0
	v_fma_f64 v[80:81], v[46:47], v[44:45], s[22:23]
	v_rndne_f64_e32 v[44:45], v[95:96]
	v_fma_f64 v[82:83], v[56:57], v[82:83], s[22:23]
	s_wait_alu 0xfffe
	v_fma_f64 v[86:87], v[4:5], s[2:3], v[86:87]
	v_fma_f64 v[74:75], v[2:3], v[74:75], s[4:5]
	s_mov_b32 s2, 0x304618e9
	s_mov_b32 s4, 0x8f5c28f6
	;; [unrolled: 1-line block ×4, first 2 shown]
	s_wait_alu 0xfffd
	v_cndmask_b32_e32 v1, 0x7ff00000, v69, vcc_lo
	v_cvt_i32_f64_e32 v69, v[50:51]
	v_rndne_f64_e32 v[50:51], v[91:92]
	s_wait_alu 0xfffe
	v_fma_f64 v[90:91], v[6:7], s[4:5], s[2:3]
	v_fma_f64 v[84:85], v[2:3], v[84:85], s[36:37]
	s_mov_b32 s2, 0x535f22a5
	s_mov_b32 s4, 0x5460aa65
	;; [unrolled: 1-line block ×5, first 2 shown]
	v_fma_f64 v[76:77], v[72:73], v[76:77], s[28:29]
	s_mov_b32 s37, 0xbebc089b
	v_fma_f64 v[92:93], v[62:63], v[14:15], 1.0
	v_fma_f64 v[14:15], v[2:3], v[40:41], v[78:79]
	s_wait_alu 0xfffe
	v_fma_f64 v[78:79], v[6:7], s[4:5], s[2:3]
	s_mov_b32 s2, 0xcf6d1024
	s_mov_b32 s4, 0x2c8defc6
	v_fma_f64 v[60:61], v[2:3], v[60:61], s[36:37]
	s_mov_b32 s3, 0x3fff4645
	s_mov_b32 s5, 0x3f81d097
	s_and_b32 vcc_lo, s0, vcc_lo
	s_mov_b32 s36, 0xe48a58b4
	s_mov_b32 s37, 0xc00f712b
	v_fma_f64 v[66:67], v[70:71], v[66:67], s[34:35]
	v_fma_f64 v[94:95], v[54:55], v[42:43], 1.0
	v_fma_f64 v[42:43], v[46:47], v[80:81], s[24:25]
	v_fma_f64 v[54:55], v[16:17], s[12:13], v[88:89]
	;; [unrolled: 1-line block ×6, first 2 shown]
	s_wait_alu 0xfffe
	v_fma_f64 v[86:87], v[4:5], s[2:3], v[90:91]
	v_fma_f64 v[84:85], v[2:3], v[84:85], s[4:5]
	s_mov_b32 s2, 0x373affb0
	s_mov_b32 s4, 0xb006255b
	;; [unrolled: 1-line block ×4, first 2 shown]
	v_fma_f64 v[76:77], v[72:73], v[76:77], s[30:31]
	v_fma_f64 v[88:89], v[62:63], v[92:93], 1.0
	v_mul_f64_e32 v[90:91], s[6:7], v[14:15]
	s_wait_alu 0xfffe
	v_fma_f64 v[78:79], v[4:5], s[2:3], v[78:79]
	v_cmp_ngt_f64_e64 s2, 0xc090cc00, v[22:23]
	v_cmp_nlt_f64_e64 s3, 0x40900000, v[34:35]
	v_fma_f64 v[92:93], v[2:3], v[60:61], s[4:5]
	v_cmp_ngt_f64_e64 s4, 0xc090cc00, v[34:35]
	v_fma_f64 v[66:67], v[70:71], v[66:67], 1.0
	v_fma_f64 v[96:97], v[46:47], v[42:43], s[26:27]
	v_fma_f64 v[98:99], v[54:55], s[16:17], s[14:15]
	;; [unrolled: 1-line block ×4, first 2 shown]
	v_mul_f64_e32 v[74:75], s[6:7], v[40:41]
	v_fma_f64 v[62:63], v[50:51], s[12:13], v[82:83]
	v_lshlrev_b64_e32 v[82:83], 3, v[8:9]
	v_fma_f64 v[42:43], v[2:3], v[84:85], v[86:87]
	v_add_nc_u32_e32 v8, s33, v8
	v_fma_f64 v[76:77], v[72:73], v[76:77], s[34:35]
	v_rndne_f64_e32 v[52:53], v[90:91]
	v_fma_f64 v[38:39], v[2:3], v[92:93], v[78:79]
	v_ldexp_f64 v[78:79], v[58:59], v69
	v_cndmask_b32_e32 v58, 0, v68, vcc_lo
	v_add_co_u32 v68, vcc_lo, s10, v82
	s_wait_alu 0xfffd
	v_add_co_ci_u32_e64 v69, null, s11, v83, vcc_lo
	v_cmp_nlt_f64_e32 vcc_lo, 0x40900000, v[20:21]
	v_cndmask_b32_e64 v59, 0, v1, s0
	v_cvt_i32_f64_e32 v1, v[48:49]
	v_fma_f64 v[82:83], v[46:47], v[96:97], s[28:29]
	v_fma_f64 v[84:85], v[54:55], v[98:99], s[18:19]
	v_cmp_ngt_f64_e64 s0, 0xc090cc00, v[20:21]
	v_fma_f64 v[66:67], v[70:71], v[66:67], 1.0
	v_fma_f64 v[80:81], v[56:57], v[80:81], s[28:29]
	global_store_b64 v[68:69], v[58:59], off
	v_ldexp_f64 v[68:69], v[88:89], v101
	v_fma_f64 v[90:91], v[60:61], s[16:17], s[14:15]
	v_rndne_f64_e32 v[48:49], v[74:75]
	v_ldexp_f64 v[70:71], v[94:95], v100
	v_fma_f64 v[86:87], v[62:63], s[16:17], s[14:15]
	v_mul_f64_e32 v[74:75], s[6:7], v[42:43]
	v_fma_f64 v[76:77], v[72:73], v[76:77], 1.0
	v_fma_f64 v[58:59], v[52:53], s[8:9], v[14:15]
	v_mul_f64_e32 v[88:89], s[6:7], v[38:39]
	s_wait_alu 0xfffd
	v_cndmask_b32_e32 v94, 0x7ff00000, v79, vcc_lo
	v_fma_f64 v[82:83], v[46:47], v[82:83], s[30:31]
	v_fma_f64 v[84:85], v[54:55], v[84:85], s[20:21]
	s_and_b32 vcc_lo, s0, vcc_lo
	v_ldexp_f64 v[66:67], v[66:67], v1
	v_fma_f64 v[79:80], v[56:57], v[80:81], s[30:31]
	v_cndmask_b32_e64 v69, 0x7ff00000, v69, s3
	v_fma_f64 v[90:91], v[60:61], v[90:91], s[18:19]
	v_fma_f64 v[92:93], v[48:49], s[8:9], v[40:41]
	v_cndmask_b32_e64 v1, 0x7ff00000, v71, s1
	s_and_b32 s1, s2, s1
	v_cndmask_b32_e64 v69, 0, v69, s4
	s_wait_alu 0xfffe
	v_cndmask_b32_e64 v70, 0, v70, s1
	v_fma_f64 v[86:87], v[62:63], v[86:87], s[18:19]
	v_cndmask_b32_e64 v71, 0, v1, s2
	v_rndne_f64_e32 v[20:21], v[74:75]
	v_cndmask_b32_e64 v74, 0, v94, s0
	v_cmp_ngt_f64_e64 s0, 0xc090cc00, v[24:25]
	v_fma_f64 v[34:35], v[72:73], v[76:77], 1.0
	v_cndmask_b32_e32 v73, 0, v78, vcc_lo
	v_cmp_nlt_f64_e32 vcc_lo, 0x40900000, v[24:25]
	v_fma_f64 v[58:59], v[52:53], s[12:13], v[58:59]
	v_rndne_f64_e32 v[22:23], v[88:89]
	v_cvt_i32_f64_e32 v89, v[64:65]
	v_lshlrev_b64_e32 v[64:65], 3, v[8:9]
	v_add_nc_u32_e32 v8, s33, v8
	s_delay_alu instid0(VALU_DEP_1) | instskip(NEXT) | instid1(VALU_DEP_3)
	v_lshlrev_b64_e32 v[75:76], 3, v[8:9]
	v_add_co_u32 v64, s5, s10, v64
	v_fma_f64 v[77:78], v[46:47], v[82:83], s[34:35]
	v_fma_f64 v[81:82], v[54:55], v[84:85], s[22:23]
	s_wait_alu 0xf1ff
	v_add_co_ci_u32_e64 v65, null, s11, v65, s5
	v_fma_f64 v[79:80], v[56:57], v[79:80], s[34:35]
	v_add_co_u32 v75, s1, s10, v75
	v_fma_f64 v[24:25], v[48:49], s[12:13], v[92:93]
	v_add_nc_u32_e32 v8, s33, v8
	s_wait_alu 0xf1ff
	v_add_co_ci_u32_e64 v76, null, s11, v76, s1
	s_clause 0x1
	global_store_b64 v[64:65], v[73:74], off
	global_store_b64 v[75:76], v[70:71], off
	v_fma_f64 v[83:84], v[62:63], v[86:87], s[20:21]
	v_fma_f64 v[85:86], v[60:61], v[90:91], s[20:21]
	;; [unrolled: 1-line block ×3, first 2 shown]
	v_lshlrev_b64_e32 v[70:71], 3, v[8:9]
	s_and_b32 s1, s4, s3
	s_mov_b32 s2, 0x31182340
	s_wait_alu 0xfffe
	v_cndmask_b32_e64 v68, 0, v68, s1
	s_mov_b32 s3, 0xbcd17b24
	s_wait_alu 0xfffd
	v_cndmask_b32_e32 v67, 0x7ff00000, v67, vcc_lo
	v_add_co_u32 v70, s1, s10, v70
	s_wait_alu 0xf1ff
	v_add_co_ci_u32_e64 v71, null, s11, v71, s1
	s_delay_alu instid0(VALU_DEP_3)
	v_cndmask_b32_e64 v67, 0, v67, s0
	s_and_b32 vcc_lo, s0, vcc_lo
	s_mov_b32 s0, 0x69f52f8
	s_mov_b32 s1, 0x3dba3a99
	v_fma_f64 v[72:73], v[58:59], s[16:17], s[14:15]
	v_fma_f64 v[74:75], v[22:23], s[8:9], v[38:39]
	s_wait_alu 0xfffe
	v_fma_f64 v[91:92], v[2:3], s[2:3], s[0:1]
	v_add_nc_u32_e32 v8, s33, v8
	v_ldexp_f64 v[64:65], v[34:35], v89
	v_cndmask_b32_e32 v66, 0, v66, vcc_lo
	s_mov_b32 s0, 0xb9561d1b
	v_fma_f64 v[76:77], v[46:47], v[77:78], 1.0
	v_lshlrev_b64_e32 v[89:90], 3, v[8:9]
	s_mov_b32 s2, 0x25ffae6b
	s_mov_b32 s1, 0x3dd5268e
	v_fma_f64 v[78:79], v[56:57], v[79:80], 1.0
	v_fma_f64 v[80:81], v[54:55], v[81:82], s[24:25]
	s_mov_b32 s3, 0xbcf1e5ee
	v_fma_f64 v[93:94], v[24:25], s[16:17], s[14:15]
	s_mov_b32 s4, 0xc7039d46
	s_mov_b32 s5, 0xbcd3998d
	v_add_nc_u32_e32 v8, s33, v8
	v_fma_f64 v[82:83], v[62:63], v[83:84], s[22:23]
	v_fma_f64 v[84:85], v[60:61], v[85:86], s[22:23]
	v_add_co_u32 v86, vcc_lo, s10, v89
	v_fma_f64 v[34:35], v[20:21], s[12:13], v[87:88]
	s_wait_alu 0xfffd
	v_add_co_ci_u32_e64 v87, null, s11, v90, vcc_lo
	v_cmp_nlt_f64_e32 vcc_lo, 0x40900000, v[28:29]
	s_clause 0x1
	global_store_b64 v[70:71], v[68:69], off
	global_store_b64 v[86:87], v[66:67], off
	s_wait_alu 0xfffe
	v_fma_f64 v[70:71], v[2:3], s[2:3], s[0:1]
	s_mov_b32 s2, 0x2bd298
	s_mov_b32 s3, 0x3dc2a5b4
	v_cmp_ngt_f64_e64 s0, 0xc090cc00, v[28:29]
	s_wait_alu 0xfffe
	v_fma_f64 v[28:29], v[2:3], s[4:5], s[2:3]
	s_mov_b32 s2, 0xc28f5c29
	s_mov_b32 s4, 0xa556e018
	;; [unrolled: 1-line block ×4, first 2 shown]
	v_fma_f64 v[68:69], v[58:59], v[72:73], s[18:19]
	v_fma_f64 v[66:67], v[22:23], s[12:13], v[74:75]
	s_wait_alu 0xfffe
	v_fma_f64 v[72:73], v[6:7], s[2:3], s[36:37]
	v_fma_f64 v[74:75], v[2:3], v[91:92], s[4:5]
	s_mov_b32 s2, 0x4c898508
	s_mov_b32 s4, 0xa556825f
	;; [unrolled: 1-line block ×4, first 2 shown]
	v_fma_f64 v[46:47], v[46:47], v[76:77], 1.0
	s_mov_b32 s36, 0x7d8ecc0b
	s_mov_b32 s37, 0x3fe43b5e
	v_fma_f64 v[80:81], v[54:55], v[80:81], s[26:27]
	v_fma_f64 v[76:77], v[24:25], v[93:94], s[18:19]
	v_cmp_nlt_f64_e64 s1, 0x40900000, v[10:11]
	v_cvt_i32_f64_e32 v92, v[16:17]
	v_cvt_i32_f64_e32 v93, v[50:51]
	s_wait_alu 0xfffd
	v_cndmask_b32_e32 v1, 0x7ff00000, v65, vcc_lo
	v_cvt_i32_f64_e32 v65, v[36:37]
	v_fma_f64 v[36:37], v[56:57], v[78:79], 1.0
	v_fma_f64 v[56:57], v[62:63], v[82:83], s[24:25]
	v_fma_f64 v[78:79], v[34:35], s[16:17], s[14:15]
	v_fma_f64 v[82:83], v[60:61], v[84:85], s[24:25]
	s_wait_alu 0xfffe
	v_fma_f64 v[84:85], v[2:3], s[4:5], s[2:3]
	s_mov_b32 s2, 0x989df117
	s_mov_b32 s4, 0xec5be0be
	;; [unrolled: 1-line block ×4, first 2 shown]
	s_wait_alu 0xfffe
	v_fma_f64 v[86:87], v[6:7], s[2:3], s[36:37]
	v_fma_f64 v[70:71], v[2:3], v[70:71], s[4:5]
	s_mov_b32 s2, 0xa68463a7
	s_mov_b32 s4, 0x2c9081c
	;; [unrolled: 1-line block ×6, first 2 shown]
	s_wait_alu 0xfffe
	v_fma_f64 v[90:91], v[6:7], s[4:5], s[2:3]
	v_fma_f64 v[28:29], v[2:3], v[28:29], s[36:37]
	s_mov_b32 s2, 0x6198a14c
	s_mov_b32 s4, 0x21f5e9bf
	;; [unrolled: 1-line block ×4, first 2 shown]
	v_fma_f64 v[68:69], v[58:59], v[68:69], s[20:21]
	s_wait_alu 0xfffe
	v_fma_f64 v[72:73], v[4:5], s[2:3], v[72:73]
	v_fma_f64 v[74:75], v[2:3], v[74:75], s[4:5]
	s_mov_b32 s2, 0x519d8186
	s_mov_b32 s4, 0xced91687
	;; [unrolled: 1-line block ×6, first 2 shown]
	v_fma_f64 v[88:89], v[66:67], s[16:17], s[14:15]
	v_fma_f64 v[80:81], v[54:55], v[80:81], s[28:29]
	s_and_b32 vcc_lo, s0, vcc_lo
	v_ldexp_f64 v[46:47], v[46:47], v65
	v_cvt_i32_f64_e32 v65, v[26:27]
	v_fma_f64 v[26:27], v[62:63], v[56:57], s[26:27]
	v_fma_f64 v[56:57], v[24:25], v[76:77], s[20:21]
	v_fma_f64 v[76:77], v[34:35], v[78:79], s[18:19]
	s_wait_alu 0xfffe
	v_fma_f64 v[78:79], v[6:7], s[4:5], s[2:3]
	v_fma_f64 v[84:85], v[2:3], v[84:85], s[36:37]
	s_mov_b32 s2, 0x864fbad3
	s_mov_b32 s4, 0x6468c0fa
	;; [unrolled: 1-line block ×4, first 2 shown]
	s_wait_alu 0xfffe
	v_fma_f64 v[86:87], v[4:5], s[2:3], v[86:87]
	v_fma_f64 v[70:71], v[2:3], v[70:71], s[4:5]
	s_mov_b32 s2, 0x2a0c430
	s_mov_b32 s4, 0x8147f6e1
	;; [unrolled: 1-line block ×4, first 2 shown]
	v_fma_f64 v[82:83], v[60:61], v[82:83], s[26:27]
	s_wait_alu 0xfffe
	v_fma_f64 v[90:91], v[4:5], s[2:3], v[90:91]
	v_fma_f64 v[28:29], v[2:3], v[28:29], s[4:5]
	s_mov_b32 s2, 0xb537f4ca
	s_mov_b32 s4, 0x98fc07ef
	;; [unrolled: 1-line block ×4, first 2 shown]
	v_fma_f64 v[68:69], v[58:59], v[68:69], s[22:23]
	s_mov_b32 s36, 0xd1f8dcba
	v_fma_f64 v[72:73], v[2:3], v[74:75], v[72:73]
	s_wait_alu 0xfffe
	v_fma_f64 v[74:75], v[2:3], s[4:5], s[2:3]
	s_mov_b32 s2, 0x38b7d772
	s_mov_b32 s4, 0x581cd52b
	;; [unrolled: 1-line block ×5, first 2 shown]
	v_fma_f64 v[88:89], v[66:67], v[88:89], s[18:19]
	v_fma_f64 v[80:81], v[54:55], v[80:81], s[30:31]
	v_cndmask_b32_e64 v47, 0x7ff00000, v47, s1
	v_ldexp_f64 v[36:37], v[36:37], v65
	v_fma_f64 v[26:27], v[62:63], v[26:27], s[28:29]
	v_fma_f64 v[56:57], v[24:25], v[56:57], s[22:23]
	;; [unrolled: 1-line block ×3, first 2 shown]
	s_wait_alu 0xfffe
	v_fma_f64 v[78:79], v[4:5], s[2:3], v[78:79]
	v_fma_f64 v[84:85], v[2:3], v[84:85], s[4:5]
	s_mov_b32 s2, 0xa7078f7d
	s_mov_b32 s4, 0x38989306
	;; [unrolled: 1-line block ×4, first 2 shown]
	v_fma_f64 v[70:71], v[2:3], v[70:71], v[86:87]
	s_wait_alu 0xfffe
	v_fma_f64 v[86:87], v[2:3], s[4:5], s[2:3]
	s_mov_b32 s2, 0xcb295ea
	s_mov_b32 s4, 0xbc6a7efa
	;; [unrolled: 1-line block ×4, first 2 shown]
	v_fma_f64 v[82:83], v[60:61], v[82:83], s[28:29]
	v_fma_f64 v[28:29], v[2:3], v[28:29], v[90:91]
	s_wait_alu 0xfffe
	v_fma_f64 v[90:91], v[6:7], s[4:5], s[2:3]
	s_mov_b32 s2, 0x69446738
	s_mov_b32 s4, 0xf9724745
	;; [unrolled: 1-line block ×3, first 2 shown]
	v_fma_f64 v[68:69], v[58:59], v[68:69], s[24:25]
	s_mov_b32 s5, 0x408cdc8f
	v_fma_f64 v[74:75], v[2:3], v[74:75], s[36:37]
	s_mov_b32 s36, 0x2b6f9ec6
	s_mov_b32 s37, 0xbeabae8d
	v_fma_f64 v[88:89], v[66:67], v[88:89], s[20:21]
	v_fma_f64 v[80:81], v[54:55], v[80:81], s[34:35]
	;; [unrolled: 1-line block ×6, first 2 shown]
	s_wait_alu 0xfffe
	v_fma_f64 v[84:85], v[6:7], s[4:5], s[2:3]
	s_mov_b32 s2, 0x7da6f4cc
	s_mov_b32 s4, 0xd95a1b4c
	;; [unrolled: 1-line block ×4, first 2 shown]
	v_fma_f64 v[86:87], v[2:3], v[86:87], s[36:37]
	v_fma_f64 v[82:83], v[60:61], v[82:83], s[30:31]
	s_wait_alu 0xfffe
	v_fma_f64 v[90:91], v[4:5], s[2:3], v[90:91]
	s_mov_b32 s2, 0xc76d117b
	s_mov_b32 s3, 0x401aedd4
	v_fma_f64 v[68:69], v[58:59], v[68:69], s[26:27]
	v_fma_f64 v[74:75], v[2:3], v[74:75], s[4:5]
	s_mov_b32 s4, 0x85e6b455
	s_mov_b32 s5, 0x3f7e8843
	v_fma_f64 v[88:89], v[66:67], v[88:89], s[22:23]
	v_fma_f64 v[80:81], v[54:55], v[80:81], 1.0
	v_fma_f64 v[26:27], v[62:63], v[26:27], s[34:35]
	v_fma_f64 v[56:57], v[24:25], v[56:57], s[26:27]
	;; [unrolled: 1-line block ×3, first 2 shown]
	s_wait_alu 0xfffe
	v_fma_f64 v[84:85], v[4:5], s[2:3], v[84:85]
	v_cmp_ngt_f64_e64 s2, 0xc090cc00, v[10:11]
	v_cndmask_b32_e64 v11, 0, v1, s0
	v_cndmask_b32_e32 v10, 0, v64, vcc_lo
	v_cmp_nlt_f64_e32 vcc_lo, 0x40900000, v[12:13]
	v_cmp_ngt_f64_e64 s0, 0xc090cc00, v[12:13]
	v_fma_f64 v[86:87], v[2:3], v[86:87], s[4:5]
	v_lshlrev_b64_e32 v[12:13], 3, v[8:9]
	v_add_nc_u32_e32 v8, s33, v8
	v_cvt_i32_f64_e32 v1, v[44:45]
	v_cmp_ngt_f64_e64 s4, 0xc090cc00, v[30:31]
	v_fma_f64 v[82:83], v[60:61], v[82:83], s[34:35]
	v_add_co_u32 v12, s3, s10, v12
	s_wait_alu 0xf1ff
	v_add_co_ci_u32_e64 v13, null, s11, v13, s3
	v_fma_f64 v[68:69], v[58:59], v[68:69], s[28:29]
	v_cmp_nlt_f64_e64 s3, 0x40900000, v[30:31]
	v_fma_f64 v[74:75], v[2:3], v[74:75], v[90:91]
	v_mul_f64_e32 v[90:91], s[6:7], v[72:73]
	global_store_b64 v[12:13], v[10:11], off
	v_fma_f64 v[88:89], v[66:67], v[88:89], s[24:25]
	v_fma_f64 v[54:55], v[54:55], v[80:81], 1.0
	v_fma_f64 v[26:27], v[62:63], v[26:27], 1.0
	v_fma_f64 v[56:57], v[24:25], v[56:57], s[28:29]
	v_fma_f64 v[76:77], v[34:35], v[76:77], s[26:27]
	s_and_b32 s1, s2, s1
	v_cndmask_b32_e64 v47, 0, v47, s2
	s_wait_alu 0xfffe
	v_cndmask_b32_e64 v46, 0, v46, s1
	s_wait_alu 0xfffd
	v_cndmask_b32_e32 v37, 0x7ff00000, v37, vcc_lo
	s_and_b32 vcc_lo, s0, vcc_lo
	v_fma_f64 v[84:85], v[2:3], v[86:87], v[84:85]
	v_mul_f64_e32 v[86:87], s[6:7], v[70:71]
	s_wait_alu 0xfffe
	v_cndmask_b32_e32 v36, 0, v36, vcc_lo
	v_cndmask_b32_e64 v37, 0, v37, s0
	v_cmp_ngt_f64_e64 s0, 0xc090cc00, v[18:19]
	v_fma_f64 v[82:83], v[60:61], v[82:83], 1.0
	v_cmp_ngt_f64_e64 s2, 0xc090cc00, v[32:33]
	v_fma_f64 v[68:69], v[58:59], v[68:69], s[30:31]
	v_rndne_f64_e32 v[80:81], v[90:91]
	v_mul_f64_e32 v[90:91], s[6:7], v[28:29]
	v_fma_f64 v[88:89], v[66:67], v[88:89], s[26:27]
	v_ldexp_f64 v[54:55], v[54:55], v92
	v_fma_f64 v[26:27], v[62:63], v[26:27], 1.0
	v_fma_f64 v[56:57], v[24:25], v[56:57], s[30:31]
	v_fma_f64 v[16:17], v[34:35], v[76:77], s[28:29]
	v_mul_f64_e32 v[76:77], s[6:7], v[78:79]
	v_rndne_f64_e32 v[62:63], v[86:87]
	v_mul_f64_e32 v[86:87], s[6:7], v[74:75]
	v_fma_f64 v[60:61], v[60:61], v[82:83], 1.0
	v_fma_f64 v[64:65], v[58:59], v[68:69], s[34:35]
	v_mul_f64_e32 v[68:69], s[6:7], v[84:85]
	s_mov_b32 s6, 0x225742e
	s_mov_b32 s7, 0xc02f07d5
	v_fma_f64 v[44:45], v[80:81], s[8:9], v[72:73]
	v_rndne_f64_e32 v[82:83], v[90:91]
	v_fma_f64 v[50:51], v[66:67], v[88:89], s[28:29]
	v_ldexp_f64 v[26:27], v[26:27], v93
	v_fma_f64 v[10:11], v[24:25], v[56:57], s[34:35]
	v_fma_f64 v[16:17], v[34:35], v[16:17], s[30:31]
	v_rndne_f64_e32 v[76:77], v[76:77]
	v_fma_f64 v[12:13], v[62:63], s[8:9], v[70:71]
	v_rndne_f64_e32 v[56:57], v[86:87]
	v_lshlrev_b64_e32 v[86:87], 3, v[8:9]
	v_add_nc_u32_e32 v8, s33, v8
	v_ldexp_f64 v[60:61], v[60:61], v1
	s_delay_alu instid0(VALU_DEP_2) | instskip(NEXT) | instid1(VALU_DEP_4)
	v_lshlrev_b64_e32 v[88:89], 3, v[8:9]
	v_add_co_u32 v86, s1, s10, v86
	v_fma_f64 v[64:65], v[58:59], v[64:65], 1.0
	v_rndne_f64_e32 v[68:69], v[68:69]
	s_wait_alu 0xf1ff
	v_add_co_ci_u32_e64 v87, null, s11, v87, s1
	v_add_co_u32 v88, vcc_lo, s10, v88
	v_fma_f64 v[90:91], v[82:83], s[8:9], v[28:29]
	s_wait_alu 0xfffd
	v_add_co_ci_u32_e64 v89, null, s11, v89, vcc_lo
	v_cmp_nlt_f64_e32 vcc_lo, 0x40900000, v[18:19]
	v_fma_f64 v[44:45], v[80:81], s[12:13], v[44:45]
	v_fma_f64 v[50:51], v[66:67], v[50:51], s[30:31]
	v_cmp_nlt_f64_e64 s1, 0x40900000, v[32:33]
	v_add_nc_u32_e32 v8, s33, v8
	s_clause 0x1
	global_store_b64 v[86:87], v[46:47], off
	global_store_b64 v[88:89], v[36:37], off
	v_cvt_i32_f64_e32 v47, v[62:63]
	v_fma_f64 v[10:11], v[24:25], v[10:11], 1.0
	v_fma_f64 v[16:17], v[34:35], v[16:17], s[34:35]
	v_fma_f64 v[18:19], v[76:77], s[8:9], v[78:79]
	;; [unrolled: 1-line block ×3, first 2 shown]
	v_cndmask_b32_e64 v61, 0x7ff00000, v61, s3
	s_and_b32 s3, s4, s3
	v_fma_f64 v[58:59], v[58:59], v[64:65], 1.0
	v_fma_f64 v[30:31], v[82:83], s[12:13], v[90:91]
	v_cvt_i32_f64_e32 v91, v[22:23]
	v_cvt_i32_f64_e32 v90, v[20:21]
	s_wait_alu 0xfffd
	v_cndmask_b32_e32 v1, 0x7ff00000, v55, vcc_lo
	v_cvt_i32_f64_e32 v55, v[52:53]
	v_fma_f64 v[64:65], v[44:45], s[16:17], s[14:15]
	v_fma_f64 v[32:33], v[66:67], v[50:51], s[34:35]
	v_fma_f64 v[50:51], v[56:57], s[8:9], v[74:75]
	v_fma_f64 v[52:53], v[68:69], s[8:9], v[84:85]
	v_cndmask_b32_e64 v27, 0x7ff00000, v27, s1
	v_fma_f64 v[10:11], v[24:25], v[10:11], 1.0
	v_fma_f64 v[16:17], v[34:35], v[16:17], 1.0
	v_fma_f64 v[18:19], v[76:77], s[12:13], v[18:19]
	s_and_b32 vcc_lo, s0, vcc_lo
	s_and_b32 s1, s2, s1
	s_wait_alu 0xfffe
	v_cndmask_b32_e32 v54, 0, v54, vcc_lo
	s_mov_b32 s8, 0x3dd97f63
	s_mov_b32 s9, 0xc0bf2839
	s_wait_alu 0xfffe
	v_fma_f64 v[6:7], v[6:7], s[8:9], s[6:7]
	v_cmp_ngt_f64_e64 s6, 0xc090cc00, v[84:85]
	v_fma_f64 v[24:25], v[12:13], s[16:17], s[14:15]
	s_mov_b32 s8, 0x274b9e64
	s_mov_b32 s9, 0x401ed6c8
	v_ldexp_f64 v[58:59], v[58:59], v55
	v_cvt_i32_f64_e32 v55, v[48:49]
	v_fma_f64 v[48:49], v[30:31], s[16:17], s[14:15]
	v_fma_f64 v[64:65], v[44:45], v[64:65], s[18:19]
	v_fma_f64 v[32:33], v[66:67], v[32:33], 1.0
	v_fma_f64 v[50:51], v[56:57], s[12:13], v[50:51]
	v_fma_f64 v[52:53], v[68:69], s[12:13], v[52:53]
	v_fma_f64 v[16:17], v[34:35], v[16:17], 1.0
	v_fma_f64 v[34:35], v[18:19], s[16:17], s[14:15]
	s_mov_b32 s12, 0xd869b103
	s_mov_b32 s13, 0x3dd16223
	v_fma_f64 v[24:25], v[12:13], v[24:25], s[18:19]
	v_ldexp_f64 v[10:11], v[10:11], v55
	v_fma_f64 v[22:23], v[30:31], v[48:49], s[18:19]
	v_fma_f64 v[48:49], v[44:45], v[64:65], s[20:21]
	v_fma_f64 v[32:33], v[66:67], v[32:33], 1.0
	v_fma_f64 v[66:67], v[50:51], s[16:17], s[14:15]
	v_fma_f64 v[20:21], v[52:53], s[16:17], s[14:15]
	v_cndmask_b32_e64 v55, 0, v1, s0
	v_fma_f64 v[34:35], v[18:19], v[34:35], s[18:19]
	v_cmp_ngt_f64_e64 s0, 0xc090cc00, v[14:15]
	v_cvt_i32_f64_e32 v1, v[80:81]
	v_ldexp_f64 v[16:17], v[16:17], v90
	s_mov_b32 s14, 0x29f3eae
	s_mov_b32 s15, 0xbce18091
	v_fma_f64 v[24:25], v[12:13], v[24:25], s[20:21]
	v_fma_f64 v[22:23], v[30:31], v[22:23], s[20:21]
	;; [unrolled: 1-line block ×3, first 2 shown]
	v_ldexp_f64 v[32:33], v[32:33], v91
	v_fma_f64 v[64:65], v[50:51], v[66:67], s[18:19]
	v_fma_f64 v[20:21], v[52:53], v[20:21], s[18:19]
	;; [unrolled: 1-line block ×35, first 2 shown]
	v_fma_f64 v[48:49], v[44:45], v[48:49], 1.0
	v_fma_f64 v[64:65], v[50:51], v[64:65], s[30:31]
	v_fma_f64 v[20:21], v[52:53], v[20:21], s[30:31]
	;; [unrolled: 1-line block ×3, first 2 shown]
	v_fma_f64 v[24:25], v[12:13], v[24:25], 1.0
	v_fma_f64 v[22:23], v[30:31], v[22:23], 1.0
	;; [unrolled: 1-line block ×3, first 2 shown]
	v_lshlrev_b64_e32 v[48:49], 3, v[8:9]
	v_add_nc_u32_e32 v8, s33, v8
	v_fma_f64 v[64:65], v[50:51], v[64:65], s[34:35]
	v_fma_f64 v[20:21], v[52:53], v[20:21], s[34:35]
	v_fma_f64 v[34:35], v[18:19], v[34:35], 1.0
	v_add_co_u32 v48, vcc_lo, s10, v48
	s_wait_alu 0xfffd
	v_add_co_ci_u32_e64 v49, null, s11, v49, vcc_lo
	v_cmp_nlt_f64_e32 vcc_lo, 0x40900000, v[14:15]
	v_cndmask_b32_e64 v15, 0, v27, s2
	v_cndmask_b32_e64 v14, 0, v26, s1
	v_fma_f64 v[12:13], v[12:13], v[24:25], 1.0
	v_lshlrev_b64_e32 v[24:25], 3, v[8:9]
	v_add_nc_u32_e32 v8, s33, v8
	v_cmp_ngt_f64_e64 s2, 0xc090cc00, v[40:41]
	global_store_b64 v[48:49], v[54:55], off
	v_cvt_i32_f64_e32 v49, v[82:83]
	v_lshlrev_b64_e32 v[26:27], 3, v[8:9]
	v_add_co_u32 v24, s1, s10, v24
	s_wait_alu 0xf1ff
	v_add_co_ci_u32_e64 v25, null, s11, v25, s1
	v_cmp_nlt_f64_e64 s1, 0x40900000, v[40:41]
	v_add_nc_u32_e32 v8, s33, v8
	global_store_b64 v[24:25], v[14:15], off
	v_lshlrev_b64_e32 v[24:25], 3, v[8:9]
	v_add_nc_u32_e32 v8, s33, v8
	v_fma_f64 v[22:23], v[30:31], v[22:23], 1.0
	v_cndmask_b32_e64 v30, 0, v60, s3
	v_add_co_u32 v26, s3, s10, v26
	s_wait_alu 0xf1ff
	v_add_co_ci_u32_e64 v27, null, s11, v27, s3
	v_cmp_nlt_f64_e64 s3, 0x40900000, v[42:43]
	v_fma_f64 v[36:37], v[50:51], v[64:65], 1.0
	v_fma_f64 v[20:21], v[52:53], v[20:21], 1.0
	v_ldexp_f64 v[40:41], v[44:45], v1
	v_cndmask_b32_e64 v31, 0, v61, s4
	v_cmp_ngt_f64_e64 s4, 0xc090cc00, v[42:43]
	s_wait_alu 0xfffd
	v_cndmask_b32_e32 v46, 0x7ff00000, v59, vcc_lo
	s_and_b32 vcc_lo, s0, vcc_lo
	v_fma_f64 v[14:15], v[18:19], v[34:35], 1.0
	v_cvt_i32_f64_e32 v42, v[76:77]
	global_store_b64 v[26:27], v[30:31], off
	v_lshlrev_b64_e32 v[30:31], 3, v[8:9]
	v_add_nc_u32_e32 v8, s33, v8
	v_cndmask_b32_e64 v18, 0, v46, s0
	v_cmp_ngt_f64_e64 s0, 0xc090cc00, v[38:39]
	v_cvt_i32_f64_e32 v44, v[68:69]
	v_add_co_u32 v24, s5, s10, v24
	s_wait_alu 0xf1ff
	v_add_co_ci_u32_e64 v25, null, s11, v25, s5
	v_cndmask_b32_e64 v48, 0x7ff00000, v11, s1
	s_and_b32 s1, s2, s1
	v_ldexp_f64 v[11:12], v[12:13], v47
	s_delay_alu instid0(VALU_DEP_2)
	v_cndmask_b32_e64 v34, 0, v48, s2
	v_cmp_ngt_f64_e64 s2, 0xc090cc00, v[72:73]
	v_cndmask_b32_e64 v1, 0x7ff00000, v17, s3
	s_wait_alu 0xfffe
	v_cndmask_b32_e32 v17, 0, v58, vcc_lo
	v_cmp_nlt_f64_e32 vcc_lo, 0x40900000, v[38:39]
	v_fma_f64 v[26:27], v[50:51], v[36:37], 1.0
	v_lshlrev_b64_e32 v[37:38], 3, v[8:9]
	v_fma_f64 v[19:20], v[52:53], v[20:21], 1.0
	s_and_b32 s3, s4, s3
	v_cndmask_b32_e64 v36, 0, v1, s4
	s_wait_alu 0xfffe
	v_cndmask_b32_e64 v35, 0, v16, s3
	v_ldexp_f64 v[15:16], v[14:15], v42
	v_add_co_u32 v13, s3, s10, v37
	s_wait_alu 0xf1ff
	v_add_co_ci_u32_e64 v14, null, s11, v38, s3
	v_cmp_nlt_f64_e64 s3, 0x40900000, v[70:71]
	v_cmp_ngt_f64_e64 s4, 0xc090cc00, v[70:71]
	v_cvt_i32_f64_e32 v39, v[56:57]
	v_add_nc_u32_e32 v8, s33, v8
	v_ldexp_f64 v[21:22], v[22:23], v49
	s_delay_alu instid0(VALU_DEP_2)
	v_lshlrev_b64_e32 v[37:38], 3, v[8:9]
	v_add_nc_u32_e32 v8, s33, v8
	s_wait_alu 0xfffd
	v_cndmask_b32_e32 v43, 0x7ff00000, v33, vcc_lo
	v_cndmask_b32_e64 v33, 0, v10, s1
	v_add_co_u32 v30, s1, s10, v30
	s_wait_alu 0xf1ff
	v_add_co_ci_u32_e64 v31, null, s11, v31, s1
	v_cmp_nlt_f64_e64 s1, 0x40900000, v[72:73]
	s_clause 0x2
	global_store_b64 v[24:25], v[17:18], off
	global_store_b64 v[30:31], v[33:34], off
	;; [unrolled: 1-line block ×3, first 2 shown]
	v_ldexp_f64 v[17:18], v[19:20], v44
	v_lshlrev_b64_e32 v[19:20], 3, v[8:9]
	s_and_b32 vcc_lo, s0, vcc_lo
	v_cndmask_b32_e64 v1, 0x7ff00000, v12, s3
	v_cndmask_b32_e64 v42, 0, v43, s0
	v_add_nc_u32_e32 v8, s33, v8
	v_cmp_ngt_f64_e64 s0, 0xc090cc00, v[28:29]
	s_and_b32 s3, s4, s3
	v_ldexp_f64 v[26:27], v[26:27], v39
	s_wait_alu 0xfffe
	v_cndmask_b32_e64 v11, 0, v11, s3
	v_cmp_nlt_f64_e64 s3, 0x40900000, v[74:75]
	v_cndmask_b32_e64 v10, 0x7ff00000, v41, s1
	s_and_b32 s1, s2, s1
	v_cndmask_b32_e32 v41, 0, v32, vcc_lo
	v_add_co_u32 v37, vcc_lo, s10, v37
	s_wait_alu 0xfffe
	v_cndmask_b32_e64 v12, 0, v40, s1
	v_add_co_u32 v19, s1, s10, v19
	s_wait_alu 0xfffd
	v_add_co_ci_u32_e64 v38, null, s11, v38, vcc_lo
	v_cndmask_b32_e64 v13, 0, v10, s2
	s_wait_alu 0xf1ff
	v_add_co_ci_u32_e64 v20, null, s11, v20, s1
	v_cmp_nlt_f64_e32 vcc_lo, 0x40900000, v[28:29]
	global_store_b64 v[37:38], v[41:42], off
	v_cmp_nlt_f64_e64 s1, 0x40900000, v[78:79]
	global_store_b64 v[19:20], v[12:13], off
	v_lshlrev_b64_e32 v[13:14], 3, v[8:9]
	v_cmp_ngt_f64_e64 s2, 0xc090cc00, v[78:79]
	v_cndmask_b32_e64 v12, 0, v1, s4
	v_cmp_ngt_f64_e64 s4, 0xc090cc00, v[74:75]
	v_add_nc_u32_e32 v8, s33, v8
	v_cndmask_b32_e64 v1, 0x7ff00000, v27, s3
	v_add_co_u32 v13, s5, s10, v13
	s_wait_alu 0xf1ff
	v_add_co_ci_u32_e64 v14, null, s11, v14, s5
	v_cmp_nlt_f64_e64 s5, 0x40900000, v[84:85]
	v_lshlrev_b64_e32 v[19:20], 3, v[8:9]
	v_add_nc_u32_e32 v8, s33, v8
	global_store_b64 v[13:14], v[11:12], off
	v_fma_f64 v[11:12], v[4:5], s[8:9], v[6:7]
	v_fma_f64 v[13:14], v[2:3], s[14:15], s[12:13]
	v_lshlrev_b64_e32 v[23:24], 3, v[8:9]
	v_add_nc_u32_e32 v8, s33, v8
	s_wait_alu 0xfffd
	v_cndmask_b32_e32 v22, 0x7ff00000, v22, vcc_lo
	s_and_b32 vcc_lo, s0, vcc_lo
	v_cndmask_b32_e64 v10, 0x7ff00000, v16, s1
	s_wait_alu 0xfffe
	v_cndmask_b32_e32 v21, 0, v21, vcc_lo
	v_add_co_u32 v4, vcc_lo, s10, v19
	s_wait_alu 0xfffd
	v_add_co_ci_u32_e64 v5, null, s11, v20, vcc_lo
	s_and_b32 vcc_lo, s2, s1
	v_cndmask_b32_e64 v22, 0, v22, s0
	s_wait_alu 0xfffe
	v_cndmask_b32_e32 v6, 0, v15, vcc_lo
	v_lshlrev_b64_e32 v[15:16], 3, v[8:9]
	v_add_nc_u32_e32 v8, s33, v8
	v_add_co_u32 v19, vcc_lo, s10, v23
	s_wait_alu 0xfffd
	v_add_co_ci_u32_e64 v20, null, s11, v24, vcc_lo
	s_and_b32 vcc_lo, s4, s3
	v_cndmask_b32_e64 v18, 0x7ff00000, v18, s5
	v_lshlrev_b64_e32 v[8:9], 3, v[8:9]
	s_wait_alu 0xfffe
	v_cndmask_b32_e32 v23, 0, v26, vcc_lo
	v_add_co_u32 v25, vcc_lo, s10, v15
	s_wait_alu 0xfffd
	v_add_co_ci_u32_e64 v26, null, s11, v16, vcc_lo
	s_and_b32 vcc_lo, s6, s5
	v_cndmask_b32_e64 v24, 0, v1, s4
	v_cndmask_b32_e64 v28, 0, v18, s6
	s_wait_alu 0xfffe
	v_cndmask_b32_e32 v27, 0, v17, vcc_lo
	v_mov_b32_e32 v15, 0xbf2010ed
	v_mov_b32_e32 v16, 0x3f806a8e
	;; [unrolled: 1-line block ×3, first 2 shown]
	v_dual_mov_b32 v18, 0xbead7bb9 :: v_dual_mov_b32 v1, s33
	v_cndmask_b32_e64 v7, 0, v10, s2
	v_add_co_u32 v8, vcc_lo, s10, v8
	s_wait_alu 0xfffd
	v_add_co_ci_u32_e64 v9, null, s11, v9, vcc_lo
	s_clause 0x3
	global_store_b64 v[4:5], v[21:22], off
	global_store_b64 v[19:20], v[6:7], off
	global_store_b64 v[25:26], v[23:24], off
	global_store_b64 v[8:9], v[27:28], off
.LBB28_4:
	s_or_b32 exec_lo, exec_lo, s42
	v_fma_f64 v[4:5], v[2:3], v[13:14], v[17:18]
	s_mov_b32 s0, 0x652b82fe
	s_mov_b32 s1, 0x3ff71547
	;; [unrolled: 1-line block ×4, first 2 shown]
	v_mad_co_u64_u32 v[0:1], null, v1, 30, v[0:1]
	s_delay_alu instid0(VALU_DEP_2) | instskip(NEXT) | instid1(VALU_DEP_1)
	v_fma_f64 v[4:5], v[2:3], v[4:5], v[15:16]
	v_fma_f64 v[2:3], v[2:3], v[4:5], v[11:12]
	s_wait_alu 0xfffe
	s_delay_alu instid0(VALU_DEP_1) | instskip(SKIP_3) | instid1(VALU_DEP_2)
	v_mul_f64_e32 v[4:5], s[0:1], v[2:3]
	s_mov_b32 s0, 0xfefa39ef
	s_mov_b32 s1, 0xbfe62e42
	v_cmp_nlt_f64_e32 vcc_lo, 0x40900000, v[2:3]
	v_rndne_f64_e32 v[4:5], v[4:5]
	s_wait_alu 0xfffe
	s_delay_alu instid0(VALU_DEP_1) | instskip(SKIP_4) | instid1(VALU_DEP_2)
	v_fma_f64 v[6:7], v[4:5], s[0:1], v[2:3]
	s_mov_b32 s0, 0x3b39803f
	s_mov_b32 s1, 0xbc7abc9e
	v_cvt_i32_f64_e32 v10, v[4:5]
	s_wait_alu 0xfffe
	v_fma_f64 v[6:7], v[4:5], s[0:1], v[6:7]
	s_mov_b32 s0, 0xfca7ab0c
	s_mov_b32 s1, 0x3e928af3
	s_wait_alu 0xfffe
	s_delay_alu instid0(VALU_DEP_1) | instskip(SKIP_3) | instid1(VALU_DEP_1)
	v_fma_f64 v[8:9], v[6:7], s[2:3], s[0:1]
	s_mov_b32 s0, 0x623fde64
	s_mov_b32 s1, 0x3ec71dee
	s_wait_alu 0xfffe
	v_fma_f64 v[8:9], v[6:7], v[8:9], s[0:1]
	s_mov_b32 s0, 0x7c89e6b0
	s_mov_b32 s1, 0x3efa0199
	s_wait_alu 0xfffe
	s_delay_alu instid0(VALU_DEP_1) | instskip(SKIP_3) | instid1(VALU_DEP_1)
	v_fma_f64 v[8:9], v[6:7], v[8:9], s[0:1]
	s_mov_b32 s0, 0x14761f6e
	s_mov_b32 s1, 0x3f2a01a0
	;; [unrolled: 9-line block ×4, first 2 shown]
	s_wait_alu 0xfffe
	v_fma_f64 v[8:9], v[6:7], v[8:9], s[0:1]
	s_mov_b32 s0, 11
	s_mov_b32 s1, 0x3fe00000
	s_wait_alu 0xfffe
	s_delay_alu instid0(VALU_DEP_1) | instskip(SKIP_1) | instid1(VALU_DEP_2)
	v_fma_f64 v[8:9], v[6:7], v[8:9], s[0:1]
	v_cmp_ngt_f64_e64 s0, 0xc090cc00, v[2:3]
	v_fma_f64 v[8:9], v[6:7], v[8:9], 1.0
	s_delay_alu instid0(VALU_DEP_1) | instskip(NEXT) | instid1(VALU_DEP_1)
	v_fma_f64 v[4:5], v[6:7], v[8:9], 1.0
	v_ldexp_f64 v[4:5], v[4:5], v10
	s_wait_alu 0xfffd
	s_delay_alu instid0(VALU_DEP_1) | instskip(SKIP_2) | instid1(VALU_DEP_2)
	v_cndmask_b32_e32 v5, 0x7ff00000, v5, vcc_lo
	s_and_b32 vcc_lo, s0, vcc_lo
	s_wait_alu 0xfffe
	v_dual_mov_b32 v1, 0 :: v_dual_cndmask_b32 v2, 0, v4
	s_delay_alu instid0(VALU_DEP_2) | instskip(NEXT) | instid1(VALU_DEP_2)
	v_cndmask_b32_e64 v3, 0, v5, s0
	v_lshlrev_b64_e32 v[0:1], 3, v[0:1]
	s_delay_alu instid0(VALU_DEP_1) | instskip(SKIP_1) | instid1(VALU_DEP_2)
	v_add_co_u32 v0, vcc_lo, s10, v0
	s_wait_alu 0xfffd
	v_add_co_ci_u32_e64 v1, null, s11, v1, vcc_lo
	global_store_b64 v[0:1], v[2:3], off
	s_nop 0
	s_sendmsg sendmsg(MSG_DEALLOC_VGPRS)
	s_endpgm
	.section	.rodata,"a",@progbits
	.p2align	6, 0x0
	.amdhsa_kernel _Z12rdsmh_kernelIdEvPKT_PS0_S0_
		.amdhsa_group_segment_fixed_size 0
		.amdhsa_private_segment_fixed_size 0
		.amdhsa_kernarg_size 280
		.amdhsa_user_sgpr_count 2
		.amdhsa_user_sgpr_dispatch_ptr 0
		.amdhsa_user_sgpr_queue_ptr 0
		.amdhsa_user_sgpr_kernarg_segment_ptr 1
		.amdhsa_user_sgpr_dispatch_id 0
		.amdhsa_user_sgpr_private_segment_size 0
		.amdhsa_wavefront_size32 1
		.amdhsa_uses_dynamic_stack 0
		.amdhsa_enable_private_segment 0
		.amdhsa_system_sgpr_workgroup_id_x 1
		.amdhsa_system_sgpr_workgroup_id_y 0
		.amdhsa_system_sgpr_workgroup_id_z 0
		.amdhsa_system_sgpr_workgroup_info 0
		.amdhsa_system_vgpr_workitem_id 0
		.amdhsa_next_free_vgpr 102
		.amdhsa_next_free_sgpr 73
		.amdhsa_reserve_vcc 1
		.amdhsa_float_round_mode_32 0
		.amdhsa_float_round_mode_16_64 0
		.amdhsa_float_denorm_mode_32 3
		.amdhsa_float_denorm_mode_16_64 3
		.amdhsa_fp16_overflow 0
		.amdhsa_workgroup_processor_mode 1
		.amdhsa_memory_ordered 1
		.amdhsa_forward_progress 1
		.amdhsa_inst_pref_size 203
		.amdhsa_round_robin_scheduling 0
		.amdhsa_exception_fp_ieee_invalid_op 0
		.amdhsa_exception_fp_denorm_src 0
		.amdhsa_exception_fp_ieee_div_zero 0
		.amdhsa_exception_fp_ieee_overflow 0
		.amdhsa_exception_fp_ieee_underflow 0
		.amdhsa_exception_fp_ieee_inexact 0
		.amdhsa_exception_int_div_zero 0
	.end_amdhsa_kernel
	.section	.text._Z12rdsmh_kernelIdEvPKT_PS0_S0_,"axG",@progbits,_Z12rdsmh_kernelIdEvPKT_PS0_S0_,comdat
.Lfunc_end28:
	.size	_Z12rdsmh_kernelIdEvPKT_PS0_S0_, .Lfunc_end28-_Z12rdsmh_kernelIdEvPKT_PS0_S0_
                                        ; -- End function
	.set _Z12rdsmh_kernelIdEvPKT_PS0_S0_.num_vgpr, 102
	.set _Z12rdsmh_kernelIdEvPKT_PS0_S0_.num_agpr, 0
	.set _Z12rdsmh_kernelIdEvPKT_PS0_S0_.numbered_sgpr, 73
	.set _Z12rdsmh_kernelIdEvPKT_PS0_S0_.num_named_barrier, 0
	.set _Z12rdsmh_kernelIdEvPKT_PS0_S0_.private_seg_size, 0
	.set _Z12rdsmh_kernelIdEvPKT_PS0_S0_.uses_vcc, 1
	.set _Z12rdsmh_kernelIdEvPKT_PS0_S0_.uses_flat_scratch, 0
	.set _Z12rdsmh_kernelIdEvPKT_PS0_S0_.has_dyn_sized_stack, 0
	.set _Z12rdsmh_kernelIdEvPKT_PS0_S0_.has_recursion, 0
	.set _Z12rdsmh_kernelIdEvPKT_PS0_S0_.has_indirect_call, 0
	.section	.AMDGPU.csdata,"",@progbits
; Kernel info:
; codeLenInByte = 25860
; TotalNumSgprs: 75
; NumVgprs: 102
; ScratchSize: 0
; MemoryBound: 0
; FloatMode: 240
; IeeeMode: 1
; LDSByteSize: 0 bytes/workgroup (compile time only)
; SGPRBlocks: 0
; VGPRBlocks: 12
; NumSGPRsForWavesPerEU: 75
; NumVGPRsForWavesPerEU: 102
; Occupancy: 12
; WaveLimiterHint : 0
; COMPUTE_PGM_RSRC2:SCRATCH_EN: 0
; COMPUTE_PGM_RSRC2:USER_SGPR: 2
; COMPUTE_PGM_RSRC2:TRAP_HANDLER: 0
; COMPUTE_PGM_RSRC2:TGID_X_EN: 1
; COMPUTE_PGM_RSRC2:TGID_Y_EN: 0
; COMPUTE_PGM_RSRC2:TGID_Z_EN: 0
; COMPUTE_PGM_RSRC2:TIDIG_COMP_CNT: 0
	.section	.text._Z7gr_baseIdEvPKT_S2_S2_PS0_S0_S0_,"axG",@progbits,_Z7gr_baseIdEvPKT_S2_S2_PS0_S0_S0_,comdat
	.protected	_Z7gr_baseIdEvPKT_S2_S2_PS0_S0_S0_ ; -- Begin function _Z7gr_baseIdEvPKT_S2_S2_PS0_S0_S0_
	.globl	_Z7gr_baseIdEvPKT_S2_S2_PS0_S0_S0_
	.p2align	8
	.type	_Z7gr_baseIdEvPKT_S2_S2_PS0_S0_S0_,@function
_Z7gr_baseIdEvPKT_S2_S2_PS0_S0_S0_:     ; @_Z7gr_baseIdEvPKT_S2_S2_PS0_S0_S0_
; %bb.0:
	s_clause 0x2
	s_load_b32 s2, s[0:1], 0x3c
	s_load_b256 s[4:11], s[0:1], 0x0
	s_load_b32 s33, s[0:1], 0x30
	s_mov_b32 s14, 0xc7228985
	s_mov_b32 s15, 0x3fae1ac6
	s_mov_b32 s16, 0xcbf5178c
	s_mov_b32 s17, 0x3fac6b93
	s_mov_b32 s18, 0xcf851840
	s_mov_b32 s19, 0x3f9f0620
	s_mov_b32 s20, 0xc7fe7084
	s_mov_b32 s21, 0x3f9e1ac6
	s_mov_b32 s22, 0xe0bc2922
	s_mov_b32 s23, 0x3fb106e0
	s_mov_b32 s24, 0x10dda145
	s_mov_b32 s25, 0x3fafea07
	s_mov_b32 s26, 0x30a51704
	s_mov_b32 s27, 0x3fa24761
	s_mov_b32 s28, 0x9b6b579c
	s_mov_b32 s29, 0x3f974478
	s_mov_b32 s30, 0x4db3abd8
	s_wait_kmcnt 0x0
	s_and_b32 s12, s2, 0xffff
	s_mov_b32 s2, 0xe83f553c
	v_mad_co_u64_u32 v[0:1], null, ttmp9, s12, v[0:1]
	s_mul_i32 s33, s33, s12
	v_mov_b32_e32 v1, 0
	s_mov_b32 s3, 0x3fdfbf39
	s_mov_b32 s12, 0x4ff7a56e
	;; [unrolled: 1-line block ×4, first 2 shown]
	v_lshlrev_b64_e32 v[2:3], 3, v[0:1]
	v_add_nc_u32_e32 v0, s33, v0
	s_mov_b32 s34, 0xb8fa320b
	s_mov_b32 s35, 0x3fa3a9d3
	s_mov_b32 s36, 0x2bb8302c
	s_mov_b32 s37, 0x3fa2401a
	v_add_co_u32 v4, vcc_lo, s8, v2
	s_delay_alu instid0(VALU_DEP_1)
	v_add_co_ci_u32_e64 v5, null, s9, v3, vcc_lo
	v_lshlrev_b64_e32 v[8:9], 3, v[0:1]
	v_add_nc_u32_e32 v0, s33, v0
	s_mov_b32 s38, 0xe12a1ca1
	global_load_b64 v[16:17], v[4:5], off
	v_add_co_u32 v4, vcc_lo, s6, v2
	s_wait_alu 0xfffd
	v_add_co_ci_u32_e64 v5, null, s7, v3, vcc_lo
	v_add_co_u32 v12, vcc_lo, s4, v2
	s_wait_alu 0xfffd
	v_add_co_ci_u32_e64 v13, null, s5, v3, vcc_lo
	;; [unrolled: 3-line block ×4, first 2 shown]
	global_load_b64 v[10:11], v[4:5], off
	global_load_b64 v[4:5], v[12:13], off
	s_mov_b32 s4, 0xe8c8c59b
	s_mov_b32 s5, 0x3fefbf39
	;; [unrolled: 1-line block ×11, first 2 shown]
	s_wait_loadcnt 0x2
	v_mul_f64_e32 v[6:7], s[2:3], v[16:17]
	v_fma_f64 v[16:17], v[16:17], s[2:3], 0
	s_mov_b32 s2, 0x77603fce
	s_mov_b32 s3, 0x3f98ee58
	global_store_b64 v[2:3], v[6:7], off
	global_load_b64 v[20:21], v[14:15], off
	v_lshlrev_b64_e32 v[14:15], 3, v[0:1]
	v_add_co_u32 v6, vcc_lo, s10, v8
	s_wait_alu 0xfffd
	v_add_co_ci_u32_e64 v7, null, s11, v9, vcc_lo
	v_add_nc_u32_e32 v0, s33, v0
	s_delay_alu instid0(VALU_DEP_4)
	v_add_co_u32 v8, vcc_lo, s8, v14
	s_wait_alu 0xfffd
	v_add_co_ci_u32_e64 v9, null, s9, v15, vcc_lo
	v_add_co_u32 v14, vcc_lo, s10, v14
	s_wait_alu 0xfffd
	v_add_co_ci_u32_e64 v15, null, s11, v15, vcc_lo
	s_wait_loadcnt 0x0
	s_wait_alu 0xfffe
	v_mul_f64_e32 v[12:13], s[4:5], v[20:21]
	v_fma_f64 v[16:17], v[20:21], s[4:5], v[16:17]
	s_mov_b32 s4, 0x3a4aeae5
	s_mov_b32 s5, 0x3f985578
	global_store_b64 v[6:7], v[12:13], off
	global_load_b64 v[24:25], v[8:9], off
	v_lshlrev_b64_e32 v[12:13], 3, v[0:1]
	v_add_nc_u32_e32 v0, s33, v0
	s_delay_alu instid0(VALU_DEP_2) | instskip(SKIP_1) | instid1(VALU_DEP_3)
	v_add_co_u32 v18, vcc_lo, s8, v12
	s_wait_alu 0xfffd
	v_add_co_ci_u32_e64 v19, null, s9, v13, vcc_lo
	s_wait_loadcnt 0x0
	v_mul_f64_e32 v[8:9], s[6:7], v[24:25]
	v_fma_f64 v[16:17], v[24:25], s[6:7], v[16:17]
	global_store_b64 v[14:15], v[8:9], off
	global_load_b64 v[26:27], v[18:19], off
	v_lshlrev_b64_e32 v[18:19], 3, v[0:1]
	v_add_co_u32 v8, vcc_lo, s10, v12
	s_wait_alu 0xfffd
	v_add_co_ci_u32_e64 v9, null, s11, v13, vcc_lo
	v_add_nc_u32_e32 v0, s33, v0
	s_delay_alu instid0(VALU_DEP_4)
	v_add_co_u32 v12, vcc_lo, s8, v18
	s_wait_alu 0xfffd
	v_add_co_ci_u32_e64 v13, null, s9, v19, vcc_lo
	v_add_co_u32 v18, vcc_lo, s10, v18
	s_wait_alu 0xfffd
	v_add_co_ci_u32_e64 v19, null, s11, v19, vcc_lo
	s_wait_loadcnt 0x0
	v_mul_f64_e32 v[14:15], s[12:13], v[26:27]
	v_fma_f64 v[16:17], v[26:27], s[12:13], v[16:17]
	global_store_b64 v[8:9], v[14:15], off
	global_load_b64 v[30:31], v[12:13], off
	v_lshlrev_b64_e32 v[14:15], 3, v[0:1]
	v_add_nc_u32_e32 v0, s33, v0
	s_delay_alu instid0(VALU_DEP_2) | instskip(SKIP_1) | instid1(VALU_DEP_3)
	v_add_co_u32 v22, vcc_lo, s8, v14
	s_wait_alu 0xfffd
	v_add_co_ci_u32_e64 v23, null, s9, v15, vcc_lo
	s_wait_loadcnt 0x0
	v_mul_f64_e32 v[12:13], s[14:15], v[30:31]
	v_fma_f64 v[16:17], v[30:31], s[14:15], v[16:17]
	global_store_b64 v[18:19], v[12:13], off
	global_load_b64 v[34:35], v[22:23], off
	v_lshlrev_b64_e32 v[22:23], 3, v[0:1]
	v_add_co_u32 v12, vcc_lo, s10, v14
	s_wait_alu 0xfffd
	v_add_co_ci_u32_e64 v13, null, s11, v15, vcc_lo
	v_add_nc_u32_e32 v0, s33, v0
	s_delay_alu instid0(VALU_DEP_4) | instskip(SKIP_2) | instid1(VALU_DEP_3)
	v_add_co_u32 v14, vcc_lo, s8, v22
	s_wait_alu 0xfffd
	v_add_co_ci_u32_e64 v15, null, s9, v23, vcc_lo
	v_lshlrev_b64_e32 v[28:29], 3, v[0:1]
	v_add_nc_u32_e32 v0, s33, v0
	s_delay_alu instid0(VALU_DEP_1)
	v_lshlrev_b64_e32 v[32:33], 3, v[0:1]
	v_add_nc_u32_e32 v0, s33, v0
	s_wait_loadcnt 0x0
	v_mul_f64_e32 v[18:19], s[16:17], v[34:35]
	v_fma_f64 v[16:17], v[34:35], s[16:17], v[16:17]
	global_store_b64 v[12:13], v[18:19], off
	global_load_b64 v[36:37], v[14:15], off
	v_add_co_u32 v14, vcc_lo, s10, v22
	s_wait_alu 0xfffd
	v_add_co_ci_u32_e64 v15, null, s11, v23, vcc_lo
	v_add_co_u32 v22, vcc_lo, s8, v28
	s_wait_alu 0xfffd
	v_add_co_ci_u32_e64 v23, null, s9, v29, vcc_lo
	s_wait_loadcnt 0x0
	v_mul_f64_e32 v[18:19], s[18:19], v[36:37]
	v_fma_f64 v[16:17], v[36:37], s[18:19], v[16:17]
	global_store_b64 v[14:15], v[18:19], off
	global_load_b64 v[38:39], v[22:23], off
	v_add_co_u32 v18, vcc_lo, s10, v28
	s_wait_alu 0xfffd
	v_add_co_ci_u32_e64 v19, null, s11, v29, vcc_lo
	v_add_co_u32 v28, vcc_lo, s8, v32
	s_wait_alu 0xfffd
	v_add_co_ci_u32_e64 v29, null, s9, v33, vcc_lo
	;; [unrolled: 3-line block ×3, first 2 shown]
	s_wait_loadcnt 0x0
	v_mul_f64_e32 v[22:23], s[20:21], v[38:39]
	v_fma_f64 v[16:17], v[38:39], s[20:21], v[16:17]
	global_store_b64 v[18:19], v[22:23], off
	global_load_b64 v[40:41], v[28:29], off
	v_lshlrev_b64_e32 v[28:29], 3, v[0:1]
	v_add_nc_u32_e32 v0, s33, v0
	s_delay_alu instid0(VALU_DEP_1) | instskip(NEXT) | instid1(VALU_DEP_3)
	v_lshlrev_b64_e32 v[44:45], 3, v[0:1]
	v_add_co_u32 v42, vcc_lo, s8, v28
	s_wait_alu 0xfffd
	s_delay_alu instid0(VALU_DEP_4) | instskip(SKIP_1) | instid1(VALU_DEP_1)
	v_add_co_ci_u32_e64 v43, null, s9, v29, vcc_lo
	v_add_nc_u32_e32 v0, s33, v0
	v_lshlrev_b64_e32 v[48:49], 3, v[0:1]
	v_add_nc_u32_e32 v0, s33, v0
	s_delay_alu instid0(VALU_DEP_1) | instskip(SKIP_1) | instid1(VALU_DEP_1)
	v_lshlrev_b64_e32 v[52:53], 3, v[0:1]
	v_add_nc_u32_e32 v0, s33, v0
	v_lshlrev_b64_e32 v[54:55], 3, v[0:1]
	v_add_nc_u32_e32 v0, s33, v0
	s_delay_alu instid0(VALU_DEP_1) | instskip(SKIP_1) | instid1(VALU_DEP_1)
	v_lshlrev_b64_e32 v[58:59], 3, v[0:1]
	;; [unrolled: 5-line block ×3, first 2 shown]
	v_add_nc_u32_e32 v0, s33, v0
	v_lshlrev_b64_e32 v[70:71], 3, v[0:1]
	v_add_nc_u32_e32 v0, s33, v0
	s_wait_loadcnt 0x0
	v_mul_f64_e32 v[22:23], s[22:23], v[40:41]
	v_fma_f64 v[16:17], v[40:41], s[22:23], v[16:17]
	global_store_b64 v[32:33], v[22:23], off
	global_load_b64 v[42:43], v[42:43], off
	v_add_co_u32 v22, vcc_lo, s10, v28
	s_wait_alu 0xfffd
	v_add_co_ci_u32_e64 v23, null, s11, v29, vcc_lo
	v_add_co_u32 v28, vcc_lo, s8, v44
	s_wait_alu 0xfffd
	v_add_co_ci_u32_e64 v29, null, s9, v45, vcc_lo
	s_wait_loadcnt 0x0
	v_mul_f64_e32 v[32:33], s[24:25], v[42:43]
	v_fma_f64 v[16:17], v[42:43], s[24:25], v[16:17]
	global_store_b64 v[22:23], v[32:33], off
	global_load_b64 v[46:47], v[28:29], off
	v_add_co_u32 v28, vcc_lo, s10, v44
	s_wait_alu 0xfffd
	v_add_co_ci_u32_e64 v29, null, s11, v45, vcc_lo
	v_add_co_u32 v44, vcc_lo, s8, v48
	s_wait_alu 0xfffd
	v_add_co_ci_u32_e64 v45, null, s9, v49, vcc_lo
	;; [unrolled: 11-line block ×3, first 2 shown]
	v_add_co_u32 v52, vcc_lo, s10, v52
	s_wait_alu 0xfffd
	v_add_co_ci_u32_e64 v53, null, s11, v53, vcc_lo
	v_add_co_u32 v56, vcc_lo, s8, v54
	s_wait_alu 0xfffd
	v_add_co_ci_u32_e64 v57, null, s9, v55, vcc_lo
	v_add_co_u32 v54, vcc_lo, s10, v54
	s_wait_alu 0xfffd
	v_add_co_ci_u32_e64 v55, null, s11, v55, vcc_lo
	v_add_co_u32 v60, vcc_lo, s8, v58
	s_wait_alu 0xfffd
	v_add_co_ci_u32_e64 v61, null, s9, v59, vcc_lo
	v_add_co_u32 v58, vcc_lo, s10, v58
	s_wait_alu 0xfffd
	v_add_co_ci_u32_e64 v59, null, s11, v59, vcc_lo
	v_add_co_u32 v64, vcc_lo, s8, v62
	s_wait_alu 0xfffd
	v_add_co_ci_u32_e64 v65, null, s9, v63, vcc_lo
	v_add_co_u32 v62, vcc_lo, s10, v62
	s_wait_alu 0xfffd
	v_add_co_ci_u32_e64 v63, null, s11, v63, vcc_lo
	v_add_co_u32 v68, vcc_lo, s8, v66
	s_wait_alu 0xfffd
	v_add_co_ci_u32_e64 v69, null, s9, v67, vcc_lo
	v_add_co_u32 v66, vcc_lo, s10, v66
	s_wait_alu 0xfffd
	v_add_co_ci_u32_e64 v67, null, s11, v67, vcc_lo
	v_add_co_u32 v72, vcc_lo, s8, v70
	s_wait_alu 0xfffd
	v_add_co_ci_u32_e64 v73, null, s9, v71, vcc_lo
	v_add_co_u32 v70, vcc_lo, s10, v70
	s_wait_alu 0xfffd
	v_add_co_ci_u32_e64 v71, null, s11, v71, vcc_lo
	s_wait_loadcnt 0x0
	v_mul_f64_e32 v[50:51], s[28:29], v[44:45]
	v_fma_f64 v[16:17], v[44:45], s[28:29], v[16:17]
	global_store_b64 v[32:33], v[50:51], off
	global_load_b64 v[48:49], v[48:49], off
	s_wait_loadcnt 0x0
	v_mul_f64_e32 v[50:51], s[30:31], v[48:49]
	v_fma_f64 v[16:17], v[48:49], s[30:31], v[16:17]
	global_store_b64 v[52:53], v[50:51], off
	global_load_b64 v[50:51], v[56:57], off
	;; [unrolled: 5-line block ×6, first 2 shown]
	v_lshlrev_b64_e32 v[72:73], 3, v[0:1]
	v_add_nc_u32_e32 v0, s33, v0
	s_delay_alu instid0(VALU_DEP_1) | instskip(NEXT) | instid1(VALU_DEP_3)
	v_lshlrev_b64_e32 v[76:77], 3, v[0:1]
	v_add_co_u32 v74, vcc_lo, s8, v72
	s_wait_alu 0xfffd
	s_delay_alu instid0(VALU_DEP_4)
	v_add_co_ci_u32_e64 v75, null, s9, v73, vcc_lo
	v_add_co_u32 v72, vcc_lo, s10, v72
	s_wait_alu 0xfffd
	v_add_co_ci_u32_e64 v73, null, s11, v73, vcc_lo
	v_add_co_u32 v78, vcc_lo, s8, v76
	s_wait_alu 0xfffd
	v_add_co_ci_u32_e64 v79, null, s9, v77, vcc_lo
	v_add_nc_u32_e32 v0, s33, v0
	v_add_co_u32 v76, vcc_lo, s10, v76
	s_wait_alu 0xfffd
	v_add_co_ci_u32_e64 v77, null, s11, v77, vcc_lo
	s_delay_alu instid0(VALU_DEP_3) | instskip(SKIP_1) | instid1(VALU_DEP_1)
	v_lshlrev_b64_e32 v[24:25], 3, v[0:1]
	v_add_nc_u32_e32 v0, s33, v0
	v_lshlrev_b64_e32 v[30:31], 3, v[0:1]
	s_wait_loadcnt 0x0
	v_mul_f64_e32 v[68:69], s[42:43], v[66:67]
	v_fma_f64 v[16:17], v[66:67], s[42:43], v[16:17]
	global_store_b64 v[70:71], v[68:69], off
	global_load_b64 v[68:69], v[74:75], off
	s_wait_loadcnt 0x0
	v_mul_f64_e32 v[74:75], s[44:45], v[68:69]
	v_fma_f64 v[16:17], v[68:69], s[44:45], v[16:17]
	global_store_b64 v[72:73], v[74:75], off
	global_load_b64 v[74:75], v[78:79], off
	v_add_co_u32 v78, vcc_lo, s8, v24
	s_wait_alu 0xfffd
	v_add_co_ci_u32_e64 v79, null, s9, v25, vcc_lo
	v_add_co_u32 v24, vcc_lo, s10, v24
	s_wait_alu 0xfffd
	v_add_co_ci_u32_e64 v25, null, s11, v25, vcc_lo
	v_add_co_u32 v34, vcc_lo, s8, v30
	s_wait_alu 0xfffd
	v_add_co_ci_u32_e64 v35, null, s9, v31, vcc_lo
	s_wait_loadcnt 0x0
	v_mul_f64_e32 v[20:21], s[2:3], v[74:75]
	v_fma_f64 v[16:17], v[74:75], s[2:3], v[16:17]
	s_load_b128 s[0:3], s[0:1], 0x20
	s_wait_kmcnt 0x0
	v_mul_f64_e32 v[10:11], s[0:1], v[10:11]
	s_brev_b32 s0, 12
	s_mov_b32 s1, 0x4193d2c6
	v_mul_f64_e32 v[4:5], s[2:3], v[4:5]
	global_store_b64 v[76:77], v[20:21], off
	global_load_b64 v[20:21], v[78:79], off
	s_wait_loadcnt 0x0
	v_mul_f64_e32 v[26:27], s[4:5], v[20:21]
	v_fma_f64 v[16:17], v[20:21], s[4:5], v[16:17]
	s_mov_b32 s4, 0x609af71c
	s_mov_b32 s5, 0x3fa246e7
	global_store_b64 v[24:25], v[26:27], off
	global_load_b64 v[26:27], v[34:35], off
	s_wait_loadcnt 0x0
	s_wait_alu 0xfffe
	v_fma_f64 v[16:17], v[26:27], s[4:5], v[16:17]
	s_delay_alu instid0(VALU_DEP_1) | instskip(SKIP_4) | instid1(VALU_DEP_4)
	v_mul_f64_e32 v[10:11], v[10:11], v[16:17]
	v_mul_f64_e32 v[16:17], s[4:5], v[26:27]
	v_add_co_u32 v26, vcc_lo, s10, v30
	s_wait_alu 0xfffd
	v_add_co_ci_u32_e64 v27, null, s11, v31, vcc_lo
	v_mul_f64_e32 v[10:11], s[0:1], v[10:11]
	global_store_b64 v[26:27], v[16:17], off
	global_load_b64 v[16:17], v[2:3], off
	v_div_scale_f64 v[20:21], null, v[10:11], v[10:11], 1.0
	v_div_scale_f64 v[36:37], vcc_lo, 1.0, v[10:11], 1.0
	s_delay_alu instid0(VALU_DEP_2) | instskip(NEXT) | instid1(TRANS32_DEP_1)
	v_rcp_f64_e32 v[30:31], v[20:21]
	v_fma_f64 v[34:35], -v[20:21], v[30:31], 1.0
	s_delay_alu instid0(VALU_DEP_1) | instskip(NEXT) | instid1(VALU_DEP_1)
	v_fma_f64 v[30:31], v[30:31], v[34:35], v[30:31]
	v_fma_f64 v[34:35], -v[20:21], v[30:31], 1.0
	s_delay_alu instid0(VALU_DEP_1) | instskip(NEXT) | instid1(VALU_DEP_1)
	v_fma_f64 v[30:31], v[30:31], v[34:35], v[30:31]
	v_mul_f64_e32 v[34:35], v[36:37], v[30:31]
	s_delay_alu instid0(VALU_DEP_1) | instskip(SKIP_3) | instid1(VALU_DEP_2)
	v_fma_f64 v[20:21], -v[20:21], v[34:35], v[36:37]
	s_wait_loadcnt 0x0
	v_max_num_f64_e32 v[16:17], v[16:17], v[16:17]
	s_wait_alu 0xfffd
	v_div_fmas_f64 v[20:21], v[20:21], v[30:31], v[34:35]
	s_delay_alu instid0(VALU_DEP_1) | instskip(NEXT) | instid1(VALU_DEP_1)
	v_div_fixup_f64 v[10:11], v[20:21], v[10:11], 1.0
	v_mul_f64_e32 v[4:5], v[4:5], v[10:11]
	s_delay_alu instid0(VALU_DEP_4) | instskip(NEXT) | instid1(VALU_DEP_1)
	v_max_num_f64_e32 v[10:11], 0x38100000, v[16:17]
	v_mul_f64_e32 v[10:11], v[4:5], v[10:11]
	global_store_b64 v[2:3], v[10:11], off
	global_load_b64 v[2:3], v[6:7], off
	v_mad_co_u64_u32 v[10:11], null, 0xffffffed, s33, v[0:1]
	v_mov_b32_e32 v11, v1
	s_delay_alu instid0(VALU_DEP_1) | instskip(SKIP_1) | instid1(VALU_DEP_2)
	v_lshlrev_b64_e32 v[16:17], 3, v[10:11]
	v_lshl_add_u32 v0, s33, 1, v10
	v_add_co_u32 v16, vcc_lo, s10, v16
	s_wait_alu 0xfffd
	s_delay_alu instid0(VALU_DEP_3) | instskip(SKIP_2) | instid1(VALU_DEP_1)
	v_add_co_ci_u32_e64 v17, null, s11, v17, vcc_lo
	s_wait_loadcnt 0x0
	v_max_num_f64_e32 v[2:3], v[2:3], v[2:3]
	v_max_num_f64_e32 v[2:3], 0x38100000, v[2:3]
	s_delay_alu instid0(VALU_DEP_1) | instskip(SKIP_4) | instid1(VALU_DEP_2)
	v_mul_f64_e32 v[2:3], v[4:5], v[2:3]
	global_store_b64 v[6:7], v[2:3], off
	global_load_b64 v[2:3], v[16:17], off
	v_lshlrev_b64_e32 v[6:7], 3, v[0:1]
	v_lshl_add_u32 v0, s33, 2, v0
	v_add_co_u32 v6, vcc_lo, s10, v6
	s_wait_alu 0xfffd
	s_delay_alu instid0(VALU_DEP_3) | instskip(SKIP_2) | instid1(VALU_DEP_1)
	v_add_co_ci_u32_e64 v7, null, s11, v7, vcc_lo
	s_wait_loadcnt 0x0
	v_max_num_f64_e32 v[2:3], v[2:3], v[2:3]
	v_max_num_f64_e32 v[2:3], 0x38100000, v[2:3]
	s_delay_alu instid0(VALU_DEP_1) | instskip(SKIP_4) | instid1(VALU_DEP_1)
	v_mul_f64_e32 v[2:3], v[4:5], v[2:3]
	global_store_b64 v[16:17], v[2:3], off
	global_load_b64 v[2:3], v[8:9], off
	s_wait_loadcnt 0x0
	v_max_num_f64_e32 v[2:3], v[2:3], v[2:3]
	v_max_num_f64_e32 v[2:3], 0x38100000, v[2:3]
	s_delay_alu instid0(VALU_DEP_1) | instskip(SKIP_4) | instid1(VALU_DEP_1)
	v_mul_f64_e32 v[2:3], v[4:5], v[2:3]
	global_store_b64 v[8:9], v[2:3], off
	global_load_b64 v[2:3], v[6:7], off
	;; [unrolled: 7-line block ×3, first 2 shown]
	v_lshlrev_b64_e32 v[6:7], 3, v[0:1]
	v_lshl_add_u32 v0, s33, 3, v0
	v_lshlrev_b64_e32 v[0:1], 3, v[0:1]
	s_delay_alu instid0(VALU_DEP_3) | instskip(SKIP_1) | instid1(VALU_DEP_4)
	v_add_co_u32 v6, vcc_lo, s10, v6
	s_wait_alu 0xfffd
	v_add_co_ci_u32_e64 v7, null, s11, v7, vcc_lo
	s_delay_alu instid0(VALU_DEP_3) | instskip(SKIP_4) | instid1(VALU_DEP_1)
	v_add_co_u32 v0, vcc_lo, s10, v0
	s_wait_alu 0xfffd
	v_add_co_ci_u32_e64 v1, null, s11, v1, vcc_lo
	s_wait_loadcnt 0x0
	v_max_num_f64_e32 v[2:3], v[2:3], v[2:3]
	v_max_num_f64_e32 v[2:3], 0x38100000, v[2:3]
	s_delay_alu instid0(VALU_DEP_1) | instskip(SKIP_4) | instid1(VALU_DEP_1)
	v_mul_f64_e32 v[2:3], v[4:5], v[2:3]
	global_store_b64 v[12:13], v[2:3], off
	global_load_b64 v[2:3], v[14:15], off
	s_wait_loadcnt 0x0
	v_max_num_f64_e32 v[2:3], v[2:3], v[2:3]
	v_max_num_f64_e32 v[2:3], 0x38100000, v[2:3]
	s_delay_alu instid0(VALU_DEP_1) | instskip(SKIP_4) | instid1(VALU_DEP_1)
	v_mul_f64_e32 v[2:3], v[4:5], v[2:3]
	global_store_b64 v[14:15], v[2:3], off
	global_load_b64 v[2:3], v[18:19], off
	s_wait_loadcnt 0x0
	v_max_num_f64_e32 v[2:3], v[2:3], v[2:3]
	v_max_num_f64_e32 v[2:3], 0x38100000, v[2:3]
	s_delay_alu instid0(VALU_DEP_1) | instskip(SKIP_4) | instid1(VALU_DEP_1)
	v_mul_f64_e32 v[2:3], v[4:5], v[2:3]
	global_store_b64 v[18:19], v[2:3], off
	global_load_b64 v[2:3], v[6:7], off
	s_wait_loadcnt 0x0
	v_max_num_f64_e32 v[2:3], v[2:3], v[2:3]
	v_max_num_f64_e32 v[2:3], 0x38100000, v[2:3]
	s_delay_alu instid0(VALU_DEP_1) | instskip(SKIP_4) | instid1(VALU_DEP_1)
	v_mul_f64_e32 v[2:3], v[4:5], v[2:3]
	global_store_b64 v[6:7], v[2:3], off
	global_load_b64 v[2:3], v[22:23], off
	s_wait_loadcnt 0x0
	v_max_num_f64_e32 v[2:3], v[2:3], v[2:3]
	v_max_num_f64_e32 v[2:3], 0x38100000, v[2:3]
	s_delay_alu instid0(VALU_DEP_1) | instskip(SKIP_4) | instid1(VALU_DEP_1)
	v_mul_f64_e32 v[2:3], v[4:5], v[2:3]
	global_store_b64 v[22:23], v[2:3], off
	global_load_b64 v[2:3], v[28:29], off
	s_wait_loadcnt 0x0
	v_max_num_f64_e32 v[2:3], v[2:3], v[2:3]
	v_max_num_f64_e32 v[2:3], 0x38100000, v[2:3]
	s_delay_alu instid0(VALU_DEP_1) | instskip(SKIP_4) | instid1(VALU_DEP_1)
	v_mul_f64_e32 v[2:3], v[4:5], v[2:3]
	global_store_b64 v[28:29], v[2:3], off
	global_load_b64 v[2:3], v[32:33], off
	s_wait_loadcnt 0x0
	v_max_num_f64_e32 v[2:3], v[2:3], v[2:3]
	v_max_num_f64_e32 v[2:3], 0x38100000, v[2:3]
	s_delay_alu instid0(VALU_DEP_1) | instskip(SKIP_4) | instid1(VALU_DEP_1)
	v_mul_f64_e32 v[2:3], v[4:5], v[2:3]
	global_store_b64 v[32:33], v[2:3], off
	global_load_b64 v[2:3], v[52:53], off
	s_wait_loadcnt 0x0
	v_max_num_f64_e32 v[2:3], v[2:3], v[2:3]
	v_max_num_f64_e32 v[2:3], 0x38100000, v[2:3]
	s_delay_alu instid0(VALU_DEP_1) | instskip(SKIP_4) | instid1(VALU_DEP_1)
	v_mul_f64_e32 v[2:3], v[4:5], v[2:3]
	global_store_b64 v[52:53], v[2:3], off
	global_load_b64 v[2:3], v[54:55], off
	s_wait_loadcnt 0x0
	v_max_num_f64_e32 v[2:3], v[2:3], v[2:3]
	v_max_num_f64_e32 v[2:3], 0x38100000, v[2:3]
	s_delay_alu instid0(VALU_DEP_1) | instskip(SKIP_4) | instid1(VALU_DEP_1)
	v_mul_f64_e32 v[2:3], v[4:5], v[2:3]
	global_store_b64 v[54:55], v[2:3], off
	global_load_b64 v[2:3], v[58:59], off
	s_wait_loadcnt 0x0
	v_max_num_f64_e32 v[2:3], v[2:3], v[2:3]
	v_max_num_f64_e32 v[2:3], 0x38100000, v[2:3]
	s_delay_alu instid0(VALU_DEP_1) | instskip(SKIP_4) | instid1(VALU_DEP_1)
	v_mul_f64_e32 v[2:3], v[4:5], v[2:3]
	global_store_b64 v[58:59], v[2:3], off
	global_load_b64 v[2:3], v[62:63], off
	s_wait_loadcnt 0x0
	v_max_num_f64_e32 v[2:3], v[2:3], v[2:3]
	v_max_num_f64_e32 v[2:3], 0x38100000, v[2:3]
	s_delay_alu instid0(VALU_DEP_1) | instskip(SKIP_4) | instid1(VALU_DEP_1)
	v_mul_f64_e32 v[2:3], v[4:5], v[2:3]
	global_store_b64 v[62:63], v[2:3], off
	global_load_b64 v[2:3], v[0:1], off
	s_wait_loadcnt 0x0
	v_max_num_f64_e32 v[2:3], v[2:3], v[2:3]
	v_max_num_f64_e32 v[2:3], 0x38100000, v[2:3]
	s_delay_alu instid0(VALU_DEP_1) | instskip(SKIP_4) | instid1(VALU_DEP_1)
	v_mul_f64_e32 v[2:3], v[4:5], v[2:3]
	global_store_b64 v[0:1], v[2:3], off
	global_load_b64 v[0:1], v[70:71], off
	s_wait_loadcnt 0x0
	v_max_num_f64_e32 v[0:1], v[0:1], v[0:1]
	v_max_num_f64_e32 v[0:1], 0x38100000, v[0:1]
	s_delay_alu instid0(VALU_DEP_1) | instskip(SKIP_4) | instid1(VALU_DEP_1)
	v_mul_f64_e32 v[0:1], v[4:5], v[0:1]
	global_store_b64 v[70:71], v[0:1], off
	global_load_b64 v[0:1], v[72:73], off
	s_wait_loadcnt 0x0
	v_max_num_f64_e32 v[0:1], v[0:1], v[0:1]
	v_max_num_f64_e32 v[0:1], 0x38100000, v[0:1]
	s_delay_alu instid0(VALU_DEP_1) | instskip(SKIP_4) | instid1(VALU_DEP_1)
	v_mul_f64_e32 v[0:1], v[4:5], v[0:1]
	global_store_b64 v[72:73], v[0:1], off
	global_load_b64 v[0:1], v[76:77], off
	s_wait_loadcnt 0x0
	v_max_num_f64_e32 v[0:1], v[0:1], v[0:1]
	v_max_num_f64_e32 v[0:1], 0x38100000, v[0:1]
	s_delay_alu instid0(VALU_DEP_1) | instskip(SKIP_4) | instid1(VALU_DEP_1)
	v_mul_f64_e32 v[0:1], v[4:5], v[0:1]
	global_store_b64 v[76:77], v[0:1], off
	global_load_b64 v[0:1], v[24:25], off
	s_wait_loadcnt 0x0
	v_max_num_f64_e32 v[0:1], v[0:1], v[0:1]
	v_max_num_f64_e32 v[0:1], 0x38100000, v[0:1]
	s_delay_alu instid0(VALU_DEP_1) | instskip(SKIP_4) | instid1(VALU_DEP_1)
	v_mul_f64_e32 v[0:1], v[4:5], v[0:1]
	global_store_b64 v[24:25], v[0:1], off
	global_load_b64 v[0:1], v[26:27], off
	s_wait_loadcnt 0x0
	v_max_num_f64_e32 v[0:1], v[0:1], v[0:1]
	v_max_num_f64_e32 v[0:1], 0x38100000, v[0:1]
	s_delay_alu instid0(VALU_DEP_1)
	v_mul_f64_e32 v[0:1], v[4:5], v[0:1]
	global_store_b64 v[26:27], v[0:1], off
	s_endpgm
	.section	.rodata,"a",@progbits
	.p2align	6, 0x0
	.amdhsa_kernel _Z7gr_baseIdEvPKT_S2_S2_PS0_S0_S0_
		.amdhsa_group_segment_fixed_size 0
		.amdhsa_private_segment_fixed_size 0
		.amdhsa_kernarg_size 304
		.amdhsa_user_sgpr_count 2
		.amdhsa_user_sgpr_dispatch_ptr 0
		.amdhsa_user_sgpr_queue_ptr 0
		.amdhsa_user_sgpr_kernarg_segment_ptr 1
		.amdhsa_user_sgpr_dispatch_id 0
		.amdhsa_user_sgpr_private_segment_size 0
		.amdhsa_wavefront_size32 1
		.amdhsa_uses_dynamic_stack 0
		.amdhsa_enable_private_segment 0
		.amdhsa_system_sgpr_workgroup_id_x 1
		.amdhsa_system_sgpr_workgroup_id_y 0
		.amdhsa_system_sgpr_workgroup_id_z 0
		.amdhsa_system_sgpr_workgroup_info 0
		.amdhsa_system_vgpr_workitem_id 0
		.amdhsa_next_free_vgpr 80
		.amdhsa_next_free_sgpr 46
		.amdhsa_reserve_vcc 1
		.amdhsa_float_round_mode_32 0
		.amdhsa_float_round_mode_16_64 0
		.amdhsa_float_denorm_mode_32 3
		.amdhsa_float_denorm_mode_16_64 3
		.amdhsa_fp16_overflow 0
		.amdhsa_workgroup_processor_mode 1
		.amdhsa_memory_ordered 1
		.amdhsa_forward_progress 1
		.amdhsa_inst_pref_size 30
		.amdhsa_round_robin_scheduling 0
		.amdhsa_exception_fp_ieee_invalid_op 0
		.amdhsa_exception_fp_denorm_src 0
		.amdhsa_exception_fp_ieee_div_zero 0
		.amdhsa_exception_fp_ieee_overflow 0
		.amdhsa_exception_fp_ieee_underflow 0
		.amdhsa_exception_fp_ieee_inexact 0
		.amdhsa_exception_int_div_zero 0
	.end_amdhsa_kernel
	.section	.text._Z7gr_baseIdEvPKT_S2_S2_PS0_S0_S0_,"axG",@progbits,_Z7gr_baseIdEvPKT_S2_S2_PS0_S0_S0_,comdat
.Lfunc_end29:
	.size	_Z7gr_baseIdEvPKT_S2_S2_PS0_S0_S0_, .Lfunc_end29-_Z7gr_baseIdEvPKT_S2_S2_PS0_S0_S0_
                                        ; -- End function
	.set _Z7gr_baseIdEvPKT_S2_S2_PS0_S0_S0_.num_vgpr, 80
	.set _Z7gr_baseIdEvPKT_S2_S2_PS0_S0_S0_.num_agpr, 0
	.set _Z7gr_baseIdEvPKT_S2_S2_PS0_S0_S0_.numbered_sgpr, 46
	.set _Z7gr_baseIdEvPKT_S2_S2_PS0_S0_S0_.num_named_barrier, 0
	.set _Z7gr_baseIdEvPKT_S2_S2_PS0_S0_S0_.private_seg_size, 0
	.set _Z7gr_baseIdEvPKT_S2_S2_PS0_S0_S0_.uses_vcc, 1
	.set _Z7gr_baseIdEvPKT_S2_S2_PS0_S0_S0_.uses_flat_scratch, 0
	.set _Z7gr_baseIdEvPKT_S2_S2_PS0_S0_S0_.has_dyn_sized_stack, 0
	.set _Z7gr_baseIdEvPKT_S2_S2_PS0_S0_S0_.has_recursion, 0
	.set _Z7gr_baseIdEvPKT_S2_S2_PS0_S0_S0_.has_indirect_call, 0
	.section	.AMDGPU.csdata,"",@progbits
; Kernel info:
; codeLenInByte = 3836
; TotalNumSgprs: 48
; NumVgprs: 80
; ScratchSize: 0
; MemoryBound: 1
; FloatMode: 240
; IeeeMode: 1
; LDSByteSize: 0 bytes/workgroup (compile time only)
; SGPRBlocks: 0
; VGPRBlocks: 9
; NumSGPRsForWavesPerEU: 48
; NumVGPRsForWavesPerEU: 80
; Occupancy: 16
; WaveLimiterHint : 1
; COMPUTE_PGM_RSRC2:SCRATCH_EN: 0
; COMPUTE_PGM_RSRC2:USER_SGPR: 2
; COMPUTE_PGM_RSRC2:TRAP_HANDLER: 0
; COMPUTE_PGM_RSRC2:TGID_X_EN: 1
; COMPUTE_PGM_RSRC2:TGID_Y_EN: 0
; COMPUTE_PGM_RSRC2:TGID_Z_EN: 0
; COMPUTE_PGM_RSRC2:TIDIG_COMP_CNT: 0
	.section	.text._Z12ratt2_kernelIdEvPKT_S2_PS0_S2_S0_,"axG",@progbits,_Z12ratt2_kernelIdEvPKT_S2_PS0_S2_S0_,comdat
	.protected	_Z12ratt2_kernelIdEvPKT_S2_PS0_S2_S0_ ; -- Begin function _Z12ratt2_kernelIdEvPKT_S2_PS0_S2_S0_
	.globl	_Z12ratt2_kernelIdEvPKT_S2_PS0_S2_S0_
	.p2align	8
	.type	_Z12ratt2_kernelIdEvPKT_S2_PS0_S2_S0_,@function
_Z12ratt2_kernelIdEvPKT_S2_PS0_S2_S0_:  ; @_Z12ratt2_kernelIdEvPKT_S2_PS0_S2_S0_
; %bb.0:
	s_clause 0x2
	s_load_b256 s[4:11], s[0:1], 0x0
	s_load_b96 s[12:14], s[0:1], 0x20
	s_load_b32 s0, s[0:1], 0x34
	s_wait_kmcnt 0x0
	s_and_b32 s2, s0, 0xffff
	s_brev_b32 s0, 12
	v_mad_co_u64_u32 v[0:1], null, ttmp9, s2, v[0:1]
	s_mul_i32 s2, s14, s2
	v_mov_b32_e32 v1, 0
	s_mov_b32 s1, 0x4193d2c6
	s_delay_alu instid0(VALU_DEP_1) | instskip(NEXT) | instid1(VALU_DEP_1)
	v_lshlrev_b64_e32 v[2:3], 3, v[0:1]
	v_add_co_u32 v4, vcc_lo, s4, v2
	s_delay_alu instid0(VALU_DEP_1) | instskip(SKIP_4) | instid1(VALU_DEP_1)
	v_add_co_ci_u32_e64 v5, null, s5, v3, vcc_lo
	global_load_b64 v[4:5], v[4:5], off
	s_wait_loadcnt 0x0
	v_mul_f64_e32 v[4:5], s[12:13], v[4:5]
	s_wait_alu 0xfffe
	v_mul_f64_e32 v[4:5], s[0:1], v[4:5]
	s_lshl_b32 s0, s2, 1
	s_delay_alu instid0(VALU_DEP_1) | instskip(NEXT) | instid1(VALU_DEP_1)
	v_div_scale_f64 v[6:7], null, v[4:5], v[4:5], 1.0
	v_rcp_f64_e32 v[8:9], v[6:7]
	s_delay_alu instid0(TRANS32_DEP_1) | instskip(NEXT) | instid1(VALU_DEP_1)
	v_fma_f64 v[10:11], -v[6:7], v[8:9], 1.0
	v_fma_f64 v[8:9], v[8:9], v[10:11], v[8:9]
	s_delay_alu instid0(VALU_DEP_1) | instskip(NEXT) | instid1(VALU_DEP_1)
	v_fma_f64 v[10:11], -v[6:7], v[8:9], 1.0
	v_fma_f64 v[8:9], v[8:9], v[10:11], v[8:9]
	v_div_scale_f64 v[10:11], vcc_lo, 1.0, v[4:5], 1.0
	s_delay_alu instid0(VALU_DEP_1) | instskip(NEXT) | instid1(VALU_DEP_1)
	v_mul_f64_e32 v[12:13], v[10:11], v[8:9]
	v_fma_f64 v[6:7], -v[6:7], v[12:13], v[10:11]
	s_wait_alu 0xfffd
	s_delay_alu instid0(VALU_DEP_1) | instskip(NEXT) | instid1(VALU_DEP_1)
	v_div_fmas_f64 v[6:7], v[6:7], v[8:9], v[12:13]
	v_div_fixup_f64 v[4:5], v[6:7], v[4:5], 1.0
	s_delay_alu instid0(VALU_DEP_1) | instskip(SKIP_3) | instid1(VALU_DEP_2)
	v_mul_f64_e32 v[14:15], 0x412eec04, v[4:5]
	v_dual_mov_b32 v5, v1 :: v_dual_add_nc_u32 v4, s2, v0
	s_wait_alu 0xfffe
	v_add_nc_u32_e32 v0, s0, v0
	v_lshlrev_b64_e32 v[12:13], 3, v[4:5]
	v_add_nc_u32_e32 v4, s0, v4
	s_delay_alu instid0(VALU_DEP_3)
	v_lshlrev_b64_e32 v[24:25], 3, v[0:1]
	v_add_nc_u32_e32 v0, s0, v0
	s_mov_b32 s0, 0x4357691b
	s_mov_b32 s1, 0x479e17b8
	v_lshlrev_b64_e32 v[4:5], 3, v[4:5]
	v_add_co_u32 v16, vcc_lo, s10, v12
	v_lshlrev_b64_e32 v[28:29], 3, v[0:1]
	s_wait_alu 0xfffd
	v_add_co_ci_u32_e64 v17, null, s11, v13, vcc_lo
	s_delay_alu instid0(VALU_DEP_4)
	v_add_co_u32 v6, vcc_lo, s10, v4
	s_wait_alu 0xfffd
	v_add_co_ci_u32_e64 v7, null, s11, v5, vcc_lo
	v_add_co_u32 v8, vcc_lo, s10, v24
	s_wait_alu 0xfffd
	v_add_co_ci_u32_e64 v9, null, s11, v25, vcc_lo
	;; [unrolled: 3-line block ×3, first 2 shown]
	s_clause 0x6
	global_load_b64 v[18:19], v[16:17], off
	global_load_b64 v[20:21], v[6:7], off
	;; [unrolled: 1-line block ×7, first 2 shown]
	v_add_nc_u32_e32 v0, s2, v0
	global_load_b64 v[8:9], v[8:9], off
	s_wait_loadcnt 0x6
	v_mul_f64_e32 v[22:23], v[18:19], v[20:21]
	s_wait_loadcnt 0x4
	v_mul_f64_e32 v[32:33], v[26:27], v[30:31]
	s_delay_alu instid0(VALU_DEP_1) | instskip(NEXT) | instid1(VALU_DEP_1)
	v_div_scale_f64 v[34:35], null, v[32:33], v[32:33], 1.0
	v_rcp_f64_e32 v[36:37], v[34:35]
	s_delay_alu instid0(TRANS32_DEP_1) | instskip(NEXT) | instid1(VALU_DEP_1)
	v_fma_f64 v[38:39], -v[34:35], v[36:37], 1.0
	v_fma_f64 v[36:37], v[36:37], v[38:39], v[36:37]
	s_delay_alu instid0(VALU_DEP_1) | instskip(NEXT) | instid1(VALU_DEP_1)
	v_fma_f64 v[38:39], -v[34:35], v[36:37], 1.0
	v_fma_f64 v[36:37], v[36:37], v[38:39], v[36:37]
	v_div_scale_f64 v[38:39], vcc_lo, 1.0, v[32:33], 1.0
	s_delay_alu instid0(VALU_DEP_1) | instskip(NEXT) | instid1(VALU_DEP_1)
	v_mul_f64_e32 v[40:41], v[38:39], v[36:37]
	v_fma_f64 v[34:35], -v[34:35], v[40:41], v[38:39]
	s_wait_alu 0xfffd
	s_delay_alu instid0(VALU_DEP_1) | instskip(SKIP_1) | instid1(VALU_DEP_2)
	v_div_fmas_f64 v[34:35], v[34:35], v[36:37], v[40:41]
	v_mul_f64_e32 v[36:37], v[18:19], v[30:31]
	v_div_fixup_f64 v[32:33], v[34:35], v[32:33], 1.0
	v_add_co_u32 v34, vcc_lo, s6, v2
	s_wait_alu 0xfffd
	v_add_co_ci_u32_e64 v35, null, s7, v3, vcc_lo
	s_delay_alu instid0(VALU_DEP_4)
	v_div_scale_f64 v[38:39], null, v[36:37], v[36:37], 1.0
	global_load_b64 v[34:35], v[34:35], off
	v_mul_f64_e32 v[32:33], v[22:23], v[32:33]
	v_mul_f64_e32 v[22:23], v[22:23], v[14:15]
	v_rcp_f64_e32 v[40:41], v[38:39]
	s_wait_alu 0xfffe
	s_delay_alu instid0(VALU_DEP_2) | instskip(NEXT) | instid1(TRANS32_DEP_1)
	v_min_num_f64_e32 v[32:33], s[0:1], v[32:33]
	v_fma_f64 v[42:43], -v[38:39], v[40:41], 1.0
	s_delay_alu instid0(VALU_DEP_1) | instskip(NEXT) | instid1(VALU_DEP_1)
	v_fma_f64 v[40:41], v[40:41], v[42:43], v[40:41]
	v_fma_f64 v[42:43], -v[38:39], v[40:41], 1.0
	s_delay_alu instid0(VALU_DEP_1)
	v_fma_f64 v[40:41], v[40:41], v[42:43], v[40:41]
	s_wait_loadcnt 0x0
	v_mul_f64_e32 v[32:33], v[34:35], v[32:33]
	v_add_co_u32 v34, vcc_lo, s8, v2
	s_wait_alu 0xfffd
	v_add_co_ci_u32_e64 v35, null, s9, v3, vcc_lo
	v_add_co_u32 v2, vcc_lo, s10, v2
	s_wait_alu 0xfffd
	v_add_co_ci_u32_e64 v3, null, s11, v3, vcc_lo
	v_div_scale_f64 v[42:43], vcc_lo, 1.0, v[36:37], 1.0
	global_store_b64 v[34:35], v[32:33], off
	global_load_b64 v[32:33], v[2:3], off
	v_mul_f64_e32 v[44:45], v[42:43], v[40:41]
	s_delay_alu instid0(VALU_DEP_1) | instskip(SKIP_1) | instid1(VALU_DEP_1)
	v_fma_f64 v[38:39], -v[38:39], v[44:45], v[42:43]
	s_wait_alu 0xfffd
	v_div_fmas_f64 v[38:39], v[38:39], v[40:41], v[44:45]
	s_delay_alu instid0(VALU_DEP_1) | instskip(SKIP_2) | instid1(VALU_DEP_1)
	v_div_fixup_f64 v[38:39], v[38:39], v[36:37], 1.0
	s_wait_loadcnt 0x0
	v_mul_f64_e32 v[34:35], v[26:27], v[32:33]
	v_mul_f64_e32 v[34:35], v[38:39], v[34:35]
	v_add_co_u32 v38, vcc_lo, s6, v12
	s_wait_alu 0xfffd
	v_add_co_ci_u32_e64 v39, null, s7, v13, vcc_lo
	v_add_co_u32 v12, vcc_lo, s8, v12
	s_wait_alu 0xfffd
	v_add_co_ci_u32_e64 v13, null, s9, v13, vcc_lo
	global_load_b64 v[38:39], v[38:39], off
	v_min_num_f64_e32 v[34:35], s[0:1], v[34:35]
	s_wait_loadcnt 0x0
	s_delay_alu instid0(VALU_DEP_1)
	v_mul_f64_e32 v[34:35], v[38:39], v[34:35]
	v_lshlrev_b64_e32 v[38:39], 3, v[0:1]
	v_add_nc_u32_e32 v0, s2, v0
	global_store_b64 v[12:13], v[34:35], off
	v_add_co_u32 v12, vcc_lo, s10, v38
	s_wait_alu 0xfffd
	v_add_co_ci_u32_e64 v13, null, s11, v39, vcc_lo
	v_mul_f64_e32 v[34:35], v[30:31], v[32:33]
	s_clause 0x2
	global_load_b64 v[40:41], v[12:13], off
	global_load_b64 v[12:13], v[12:13], off
	;; [unrolled: 1-line block ×3, first 2 shown]
	s_wait_loadcnt 0x2
	v_mul_f64_e32 v[42:43], v[18:19], v[40:41]
	s_delay_alu instid0(VALU_DEP_1) | instskip(NEXT) | instid1(VALU_DEP_1)
	v_div_scale_f64 v[44:45], null, v[42:43], v[42:43], 1.0
	v_rcp_f64_e32 v[46:47], v[44:45]
	s_delay_alu instid0(TRANS32_DEP_1) | instskip(NEXT) | instid1(VALU_DEP_1)
	v_fma_f64 v[48:49], -v[44:45], v[46:47], 1.0
	v_fma_f64 v[46:47], v[46:47], v[48:49], v[46:47]
	s_delay_alu instid0(VALU_DEP_1) | instskip(NEXT) | instid1(VALU_DEP_1)
	v_fma_f64 v[48:49], -v[44:45], v[46:47], 1.0
	v_fma_f64 v[46:47], v[46:47], v[48:49], v[46:47]
	v_div_scale_f64 v[48:49], vcc_lo, 1.0, v[42:43], 1.0
	s_delay_alu instid0(VALU_DEP_1) | instskip(NEXT) | instid1(VALU_DEP_1)
	v_mul_f64_e32 v[50:51], v[48:49], v[46:47]
	v_fma_f64 v[44:45], -v[44:45], v[50:51], v[48:49]
	s_wait_alu 0xfffd
	s_delay_alu instid0(VALU_DEP_1) | instskip(NEXT) | instid1(VALU_DEP_1)
	v_div_fmas_f64 v[44:45], v[44:45], v[46:47], v[50:51]
	v_div_fixup_f64 v[42:43], v[44:45], v[42:43], 1.0
	s_delay_alu instid0(VALU_DEP_1)
	v_mul_f64_e32 v[34:35], v[34:35], v[42:43]
	v_add_co_u32 v42, vcc_lo, s6, v24
	s_wait_alu 0xfffd
	v_add_co_ci_u32_e64 v43, null, s7, v25, vcc_lo
	v_add_co_u32 v24, vcc_lo, s8, v24
	s_wait_alu 0xfffd
	v_add_co_ci_u32_e64 v25, null, s9, v25, vcc_lo
	global_load_b64 v[42:43], v[42:43], off
	v_min_num_f64_e32 v[34:35], s[0:1], v[34:35]
	s_wait_loadcnt 0x0
	s_delay_alu instid0(VALU_DEP_1) | instskip(SKIP_3) | instid1(VALU_DEP_2)
	v_mul_f64_e32 v[34:35], v[42:43], v[34:35]
	global_store_b64 v[24:25], v[34:35], off
	v_mul_f64_e32 v[34:35], v[26:27], v[40:41]
	v_mul_f64_e32 v[24:25], v[30:31], v[30:31]
	v_div_scale_f64 v[42:43], null, v[34:35], v[34:35], 1.0
	s_delay_alu instid0(VALU_DEP_1) | instskip(NEXT) | instid1(TRANS32_DEP_1)
	v_rcp_f64_e32 v[44:45], v[42:43]
	v_fma_f64 v[46:47], -v[42:43], v[44:45], 1.0
	s_delay_alu instid0(VALU_DEP_1) | instskip(NEXT) | instid1(VALU_DEP_1)
	v_fma_f64 v[44:45], v[44:45], v[46:47], v[44:45]
	v_fma_f64 v[46:47], -v[42:43], v[44:45], 1.0
	s_delay_alu instid0(VALU_DEP_1) | instskip(SKIP_1) | instid1(VALU_DEP_1)
	v_fma_f64 v[44:45], v[44:45], v[46:47], v[44:45]
	v_div_scale_f64 v[46:47], vcc_lo, 1.0, v[34:35], 1.0
	v_mul_f64_e32 v[48:49], v[46:47], v[44:45]
	s_delay_alu instid0(VALU_DEP_1) | instskip(SKIP_1) | instid1(VALU_DEP_1)
	v_fma_f64 v[42:43], -v[42:43], v[48:49], v[46:47]
	s_wait_alu 0xfffd
	v_div_fmas_f64 v[42:43], v[42:43], v[44:45], v[48:49]
	v_add_co_u32 v44, vcc_lo, s6, v4
	s_wait_alu 0xfffd
	v_add_co_ci_u32_e64 v45, null, s7, v5, vcc_lo
	v_add_co_u32 v4, vcc_lo, s8, v4
	s_wait_alu 0xfffd
	v_add_co_ci_u32_e64 v5, null, s9, v5, vcc_lo
	global_load_b64 v[44:45], v[44:45], off
	v_div_fixup_f64 v[34:35], v[42:43], v[34:35], 1.0
	s_delay_alu instid0(VALU_DEP_1) | instskip(NEXT) | instid1(VALU_DEP_1)
	v_mul_f64_e32 v[42:43], v[24:25], v[34:35]
	v_min_num_f64_e32 v[42:43], s[0:1], v[42:43]
	s_wait_loadcnt 0x0
	s_delay_alu instid0(VALU_DEP_1) | instskip(SKIP_3) | instid1(VALU_DEP_2)
	v_mul_f64_e32 v[42:43], v[44:45], v[42:43]
	global_store_b64 v[4:5], v[42:43], off
	v_div_scale_f64 v[42:43], null, v[32:33], v[32:33], 1.0
	v_mul_f64_e32 v[4:5], v[18:19], v[18:19]
	v_rcp_f64_e32 v[44:45], v[42:43]
	s_delay_alu instid0(VALU_DEP_1) | instskip(NEXT) | instid1(TRANS32_DEP_1)
	v_mul_f64_e32 v[4:5], v[4:5], v[14:15]
	v_fma_f64 v[46:47], -v[42:43], v[44:45], 1.0
	s_delay_alu instid0(VALU_DEP_1) | instskip(NEXT) | instid1(VALU_DEP_1)
	v_fma_f64 v[44:45], v[44:45], v[46:47], v[44:45]
	v_fma_f64 v[46:47], -v[42:43], v[44:45], 1.0
	s_delay_alu instid0(VALU_DEP_1) | instskip(SKIP_1) | instid1(VALU_DEP_1)
	v_fma_f64 v[44:45], v[44:45], v[46:47], v[44:45]
	v_div_scale_f64 v[46:47], vcc_lo, 1.0, v[32:33], 1.0
	v_mul_f64_e32 v[48:49], v[46:47], v[44:45]
	s_delay_alu instid0(VALU_DEP_1) | instskip(SKIP_1) | instid1(VALU_DEP_1)
	v_fma_f64 v[42:43], -v[42:43], v[48:49], v[46:47]
	s_wait_alu 0xfffd
	v_div_fmas_f64 v[42:43], v[42:43], v[44:45], v[48:49]
	s_delay_alu instid0(VALU_DEP_1) | instskip(NEXT) | instid1(VALU_DEP_1)
	v_div_fixup_f64 v[42:43], v[42:43], v[32:33], 1.0
	v_mul_f64_e32 v[4:5], v[4:5], v[42:43]
	v_add_co_u32 v42, vcc_lo, s6, v28
	s_wait_alu 0xfffd
	v_add_co_ci_u32_e64 v43, null, s7, v29, vcc_lo
	v_add_co_u32 v28, vcc_lo, s8, v28
	s_wait_alu 0xfffd
	v_add_co_ci_u32_e64 v29, null, s9, v29, vcc_lo
	global_load_b64 v[42:43], v[42:43], off
	v_min_num_f64_e32 v[4:5], s[0:1], v[4:5]
	s_wait_loadcnt 0x0
	s_delay_alu instid0(VALU_DEP_1)
	v_mul_f64_e32 v[42:43], v[4:5], v[42:43]
	global_store_b64 v[28:29], v[42:43], off
	v_add_co_u32 v28, vcc_lo, s6, v38
	s_wait_alu 0xfffd
	v_add_co_ci_u32_e64 v29, null, s7, v39, vcc_lo
	v_add_co_u32 v38, vcc_lo, s8, v38
	s_wait_alu 0xfffd
	v_add_co_ci_u32_e64 v39, null, s9, v39, vcc_lo
	global_load_b64 v[28:29], v[28:29], off
	s_wait_loadcnt 0x0
	v_mul_f64_e32 v[28:29], v[4:5], v[28:29]
	global_store_b64 v[38:39], v[28:29], off
	v_lshlrev_b64_e32 v[28:29], 3, v[0:1]
	v_add_nc_u32_e32 v0, s2, v0
	s_delay_alu instid0(VALU_DEP_2) | instskip(SKIP_1) | instid1(VALU_DEP_3)
	v_add_co_u32 v38, vcc_lo, s6, v28
	s_wait_alu 0xfffd
	v_add_co_ci_u32_e64 v39, null, s7, v29, vcc_lo
	v_add_co_u32 v42, vcc_lo, s8, v28
	s_wait_alu 0xfffd
	v_add_co_ci_u32_e64 v43, null, s9, v29, vcc_lo
	global_load_b64 v[38:39], v[38:39], off
	s_wait_loadcnt 0x0
	v_mul_f64_e32 v[38:39], v[4:5], v[38:39]
	global_store_b64 v[42:43], v[38:39], off
	v_lshlrev_b64_e32 v[38:39], 3, v[0:1]
	v_add_nc_u32_e32 v0, s2, v0
	s_delay_alu instid0(VALU_DEP_2) | instskip(SKIP_1) | instid1(VALU_DEP_3)
	v_add_co_u32 v42, vcc_lo, s6, v38
	s_wait_alu 0xfffd
	v_add_co_ci_u32_e64 v43, null, s7, v39, vcc_lo
	global_load_b64 v[42:43], v[42:43], off
	s_wait_loadcnt 0x0
	v_mul_f64_e32 v[4:5], v[4:5], v[42:43]
	v_add_co_u32 v42, vcc_lo, s8, v38
	s_wait_alu 0xfffd
	v_add_co_ci_u32_e64 v43, null, s9, v39, vcc_lo
	global_store_b64 v[42:43], v[4:5], off
	v_mul_f64_e32 v[4:5], v[14:15], v[36:37]
	v_div_scale_f64 v[36:37], null, v[40:41], v[40:41], 1.0
	s_delay_alu instid0(VALU_DEP_1) | instskip(NEXT) | instid1(TRANS32_DEP_1)
	v_rcp_f64_e32 v[42:43], v[36:37]
	v_fma_f64 v[44:45], -v[36:37], v[42:43], 1.0
	s_delay_alu instid0(VALU_DEP_1) | instskip(NEXT) | instid1(VALU_DEP_1)
	v_fma_f64 v[42:43], v[42:43], v[44:45], v[42:43]
	v_fma_f64 v[44:45], -v[36:37], v[42:43], 1.0
	s_delay_alu instid0(VALU_DEP_1) | instskip(SKIP_1) | instid1(VALU_DEP_1)
	v_fma_f64 v[42:43], v[42:43], v[44:45], v[42:43]
	v_div_scale_f64 v[44:45], vcc_lo, 1.0, v[40:41], 1.0
	v_mul_f64_e32 v[46:47], v[44:45], v[42:43]
	s_delay_alu instid0(VALU_DEP_1) | instskip(SKIP_1) | instid1(VALU_DEP_1)
	v_fma_f64 v[36:37], -v[36:37], v[46:47], v[44:45]
	s_wait_alu 0xfffd
	v_div_fmas_f64 v[36:37], v[36:37], v[42:43], v[46:47]
	s_delay_alu instid0(VALU_DEP_1) | instskip(NEXT) | instid1(VALU_DEP_1)
	v_div_fixup_f64 v[36:37], v[36:37], v[40:41], 1.0
	v_mul_f64_e32 v[4:5], v[4:5], v[36:37]
	v_lshlrev_b64_e32 v[36:37], 3, v[0:1]
	v_add_nc_u32_e32 v0, s2, v0
	s_delay_alu instid0(VALU_DEP_2) | instskip(SKIP_1) | instid1(VALU_DEP_3)
	v_add_co_u32 v40, vcc_lo, s6, v36
	s_wait_alu 0xfffd
	v_add_co_ci_u32_e64 v41, null, s7, v37, vcc_lo
	v_add_co_u32 v36, vcc_lo, s8, v36
	s_wait_alu 0xfffd
	v_add_co_ci_u32_e64 v37, null, s9, v37, vcc_lo
	global_load_b64 v[40:41], v[40:41], off
	v_min_num_f64_e32 v[4:5], s[0:1], v[4:5]
	s_wait_loadcnt 0x0
	s_delay_alu instid0(VALU_DEP_1) | instskip(SKIP_3) | instid1(VALU_DEP_2)
	v_mul_f64_e32 v[4:5], v[4:5], v[40:41]
	global_store_b64 v[36:37], v[4:5], off
	v_div_scale_f64 v[36:37], null, v[30:31], v[30:31], 1.0
	v_mul_f64_e32 v[4:5], v[18:19], v[26:27]
	v_rcp_f64_e32 v[40:41], v[36:37]
	s_delay_alu instid0(VALU_DEP_1) | instskip(NEXT) | instid1(TRANS32_DEP_1)
	v_mul_f64_e32 v[4:5], v[4:5], v[14:15]
	v_fma_f64 v[42:43], -v[36:37], v[40:41], 1.0
	s_delay_alu instid0(VALU_DEP_1) | instskip(NEXT) | instid1(VALU_DEP_1)
	v_fma_f64 v[40:41], v[40:41], v[42:43], v[40:41]
	v_fma_f64 v[42:43], -v[36:37], v[40:41], 1.0
	s_delay_alu instid0(VALU_DEP_1) | instskip(SKIP_1) | instid1(VALU_DEP_1)
	v_fma_f64 v[40:41], v[40:41], v[42:43], v[40:41]
	v_div_scale_f64 v[42:43], vcc_lo, 1.0, v[30:31], 1.0
	v_mul_f64_e32 v[44:45], v[42:43], v[40:41]
	s_delay_alu instid0(VALU_DEP_1) | instskip(SKIP_1) | instid1(VALU_DEP_1)
	v_fma_f64 v[36:37], -v[36:37], v[44:45], v[42:43]
	s_wait_alu 0xfffd
	v_div_fmas_f64 v[36:37], v[36:37], v[40:41], v[44:45]
	s_delay_alu instid0(VALU_DEP_1) | instskip(NEXT) | instid1(VALU_DEP_1)
	v_div_fixup_f64 v[30:31], v[36:37], v[30:31], 1.0
	v_mul_f64_e32 v[4:5], v[4:5], v[30:31]
	v_lshlrev_b64_e32 v[30:31], 3, v[0:1]
	v_add_nc_u32_e32 v0, s2, v0
	s_delay_alu instid0(VALU_DEP_2) | instskip(SKIP_1) | instid1(VALU_DEP_3)
	v_add_co_u32 v36, vcc_lo, s6, v30
	s_wait_alu 0xfffd
	v_add_co_ci_u32_e64 v37, null, s7, v31, vcc_lo
	v_add_co_u32 v30, vcc_lo, s8, v30
	s_wait_alu 0xfffd
	v_add_co_ci_u32_e64 v31, null, s9, v31, vcc_lo
	global_load_b64 v[36:37], v[36:37], off
	v_min_num_f64_e32 v[4:5], s[0:1], v[4:5]
	s_wait_loadcnt 0x0
	s_delay_alu instid0(VALU_DEP_1) | instskip(SKIP_3) | instid1(VALU_DEP_2)
	v_mul_f64_e32 v[4:5], v[4:5], v[36:37]
	global_store_b64 v[30:31], v[4:5], off
	v_mul_f64_e32 v[4:5], v[26:27], v[26:27]
	v_div_scale_f64 v[26:27], null, v[20:21], v[20:21], 1.0
	v_mul_f64_e32 v[4:5], v[4:5], v[14:15]
	s_delay_alu instid0(VALU_DEP_2) | instskip(NEXT) | instid1(TRANS32_DEP_1)
	v_rcp_f64_e32 v[30:31], v[26:27]
	v_fma_f64 v[36:37], -v[26:27], v[30:31], 1.0
	s_delay_alu instid0(VALU_DEP_1) | instskip(NEXT) | instid1(VALU_DEP_1)
	v_fma_f64 v[30:31], v[30:31], v[36:37], v[30:31]
	v_fma_f64 v[36:37], -v[26:27], v[30:31], 1.0
	s_delay_alu instid0(VALU_DEP_1) | instskip(SKIP_1) | instid1(VALU_DEP_1)
	v_fma_f64 v[30:31], v[30:31], v[36:37], v[30:31]
	v_div_scale_f64 v[36:37], vcc_lo, 1.0, v[20:21], 1.0
	v_mul_f64_e32 v[40:41], v[36:37], v[30:31]
	s_delay_alu instid0(VALU_DEP_1) | instskip(SKIP_1) | instid1(VALU_DEP_1)
	v_fma_f64 v[26:27], -v[26:27], v[40:41], v[36:37]
	s_wait_alu 0xfffd
	v_div_fmas_f64 v[26:27], v[26:27], v[30:31], v[40:41]
	s_delay_alu instid0(VALU_DEP_1) | instskip(SKIP_1) | instid1(VALU_DEP_2)
	v_div_fixup_f64 v[26:27], v[26:27], v[20:21], 1.0
	v_mul_f64_e32 v[20:21], v[20:21], v[32:33]
	v_mul_f64_e32 v[4:5], v[26:27], v[4:5]
	v_lshlrev_b64_e32 v[26:27], 3, v[0:1]
	v_add_nc_u32_e32 v0, s2, v0
	s_delay_alu instid0(VALU_DEP_2) | instskip(SKIP_1) | instid1(VALU_DEP_3)
	v_add_co_u32 v30, vcc_lo, s6, v26
	s_wait_alu 0xfffd
	v_add_co_ci_u32_e64 v31, null, s7, v27, vcc_lo
	v_add_co_u32 v26, vcc_lo, s8, v26
	s_wait_alu 0xfffd
	v_add_co_ci_u32_e64 v27, null, s9, v27, vcc_lo
	global_load_b64 v[30:31], v[30:31], off
	v_min_num_f64_e32 v[4:5], s[0:1], v[4:5]
	s_wait_loadcnt 0x0
	s_delay_alu instid0(VALU_DEP_1)
	v_mul_f64_e32 v[4:5], v[4:5], v[30:31]
	global_store_b64 v[26:27], v[4:5], off
	v_add_co_u32 v4, vcc_lo, s10, v28
	s_wait_alu 0xfffd
	v_add_co_ci_u32_e64 v5, null, s11, v29, vcc_lo
	global_load_b64 v[4:5], v[4:5], off
	s_wait_loadcnt 0x0
	v_div_scale_f64 v[26:27], null, v[4:5], v[4:5], 1.0
	v_mul_f64_e32 v[18:19], v[18:19], v[4:5]
	v_mul_f64_e32 v[8:9], v[8:9], v[4:5]
	;; [unrolled: 1-line block ×3, first 2 shown]
	s_delay_alu instid0(VALU_DEP_4) | instskip(NEXT) | instid1(TRANS32_DEP_1)
	v_rcp_f64_e32 v[28:29], v[26:27]
	v_fma_f64 v[30:31], -v[26:27], v[28:29], 1.0
	s_delay_alu instid0(VALU_DEP_1) | instskip(NEXT) | instid1(VALU_DEP_1)
	v_fma_f64 v[28:29], v[28:29], v[30:31], v[28:29]
	v_fma_f64 v[30:31], -v[26:27], v[28:29], 1.0
	s_delay_alu instid0(VALU_DEP_1) | instskip(SKIP_1) | instid1(VALU_DEP_1)
	v_fma_f64 v[28:29], v[28:29], v[30:31], v[28:29]
	v_div_scale_f64 v[30:31], vcc_lo, 1.0, v[4:5], 1.0
	v_mul_f64_e32 v[36:37], v[30:31], v[28:29]
	s_delay_alu instid0(VALU_DEP_1) | instskip(SKIP_1) | instid1(VALU_DEP_1)
	v_fma_f64 v[26:27], -v[26:27], v[36:37], v[30:31]
	s_wait_alu 0xfffd
	v_div_fmas_f64 v[26:27], v[26:27], v[28:29], v[36:37]
	s_delay_alu instid0(VALU_DEP_1) | instskip(NEXT) | instid1(VALU_DEP_1)
	v_div_fixup_f64 v[26:27], v[26:27], v[4:5], 1.0
	v_mul_f64_e32 v[22:23], v[22:23], v[26:27]
	v_lshlrev_b64_e32 v[26:27], 3, v[0:1]
	v_add_nc_u32_e32 v0, s2, v0
	s_delay_alu instid0(VALU_DEP_2) | instskip(SKIP_1) | instid1(VALU_DEP_3)
	v_add_co_u32 v28, vcc_lo, s6, v26
	s_wait_alu 0xfffd
	v_add_co_ci_u32_e64 v29, null, s7, v27, vcc_lo
	v_add_co_u32 v26, vcc_lo, s8, v26
	s_wait_alu 0xfffd
	v_add_co_ci_u32_e64 v27, null, s9, v27, vcc_lo
	global_load_b64 v[28:29], v[28:29], off
	v_min_num_f64_e32 v[22:23], s[0:1], v[22:23]
	s_wait_loadcnt 0x0
	s_delay_alu instid0(VALU_DEP_1) | instskip(SKIP_3) | instid1(VALU_DEP_2)
	v_mul_f64_e32 v[28:29], v[28:29], v[22:23]
	global_store_b64 v[26:27], v[28:29], off
	v_lshlrev_b64_e32 v[26:27], 3, v[0:1]
	v_add_nc_u32_e32 v0, s2, v0
	v_add_co_u32 v28, vcc_lo, s6, v26
	s_wait_alu 0xfffd
	s_delay_alu instid0(VALU_DEP_3)
	v_add_co_ci_u32_e64 v29, null, s7, v27, vcc_lo
	v_add_co_u32 v26, vcc_lo, s8, v26
	s_wait_alu 0xfffd
	v_add_co_ci_u32_e64 v27, null, s9, v27, vcc_lo
	global_load_b64 v[28:29], v[28:29], off
	s_wait_loadcnt 0x0
	v_mul_f64_e32 v[28:29], v[28:29], v[22:23]
	global_store_b64 v[26:27], v[28:29], off
	v_lshlrev_b64_e32 v[26:27], 3, v[0:1]
	v_add_nc_u32_e32 v0, s2, v0
	s_delay_alu instid0(VALU_DEP_2) | instskip(SKIP_1) | instid1(VALU_DEP_3)
	v_add_co_u32 v28, vcc_lo, s6, v26
	s_wait_alu 0xfffd
	v_add_co_ci_u32_e64 v29, null, s7, v27, vcc_lo
	v_add_co_u32 v26, vcc_lo, s8, v26
	s_wait_alu 0xfffd
	v_add_co_ci_u32_e64 v27, null, s9, v27, vcc_lo
	global_load_b64 v[28:29], v[28:29], off
	s_wait_loadcnt 0x0
	v_mul_f64_e32 v[28:29], v[22:23], v[28:29]
	global_store_b64 v[26:27], v[28:29], off
	v_lshlrev_b64_e32 v[26:27], 3, v[0:1]
	v_add_nc_u32_e32 v0, s2, v0
	s_delay_alu instid0(VALU_DEP_2) | instskip(SKIP_1) | instid1(VALU_DEP_3)
	v_add_co_u32 v28, vcc_lo, s6, v26
	s_wait_alu 0xfffd
	v_add_co_ci_u32_e64 v29, null, s7, v27, vcc_lo
	v_add_co_u32 v26, vcc_lo, s8, v26
	s_wait_alu 0xfffd
	v_add_co_ci_u32_e64 v27, null, s9, v27, vcc_lo
	global_load_b64 v[28:29], v[28:29], off
	s_wait_loadcnt 0x0
	v_mul_f64_e32 v[22:23], v[22:23], v[28:29]
	global_store_b64 v[26:27], v[22:23], off
	v_mul_f64_e32 v[22:23], v[14:15], v[24:25]
	v_add_co_u32 v14, vcc_lo, s10, v38
	s_wait_alu 0xfffd
	v_add_co_ci_u32_e64 v15, null, s11, v39, vcc_lo
	global_load_b64 v[14:15], v[14:15], off
	s_wait_loadcnt 0x0
	v_div_scale_f64 v[24:25], null, v[14:15], v[14:15], 1.0
	s_delay_alu instid0(VALU_DEP_1) | instskip(NEXT) | instid1(TRANS32_DEP_1)
	v_rcp_f64_e32 v[26:27], v[24:25]
	v_fma_f64 v[28:29], -v[24:25], v[26:27], 1.0
	s_delay_alu instid0(VALU_DEP_1) | instskip(NEXT) | instid1(VALU_DEP_1)
	v_fma_f64 v[26:27], v[26:27], v[28:29], v[26:27]
	v_fma_f64 v[28:29], -v[24:25], v[26:27], 1.0
	s_delay_alu instid0(VALU_DEP_1) | instskip(SKIP_1) | instid1(VALU_DEP_1)
	v_fma_f64 v[26:27], v[26:27], v[28:29], v[26:27]
	v_div_scale_f64 v[28:29], vcc_lo, 1.0, v[14:15], 1.0
	v_mul_f64_e32 v[30:31], v[28:29], v[26:27]
	s_delay_alu instid0(VALU_DEP_1) | instskip(SKIP_1) | instid1(VALU_DEP_1)
	v_fma_f64 v[24:25], -v[24:25], v[30:31], v[28:29]
	s_wait_alu 0xfffd
	v_div_fmas_f64 v[24:25], v[24:25], v[26:27], v[30:31]
	s_delay_alu instid0(VALU_DEP_1) | instskip(NEXT) | instid1(VALU_DEP_1)
	v_div_fixup_f64 v[24:25], v[24:25], v[14:15], 1.0
	v_mul_f64_e32 v[22:23], v[22:23], v[24:25]
	v_lshlrev_b64_e32 v[24:25], 3, v[0:1]
	v_add_nc_u32_e32 v0, s2, v0
	s_delay_alu instid0(VALU_DEP_2) | instskip(SKIP_1) | instid1(VALU_DEP_3)
	v_add_co_u32 v26, vcc_lo, s6, v24
	s_wait_alu 0xfffd
	v_add_co_ci_u32_e64 v27, null, s7, v25, vcc_lo
	v_add_co_u32 v24, vcc_lo, s8, v24
	s_wait_alu 0xfffd
	v_add_co_ci_u32_e64 v25, null, s9, v25, vcc_lo
	global_load_b64 v[26:27], v[26:27], off
	v_min_num_f64_e32 v[22:23], s[0:1], v[22:23]
	s_wait_loadcnt 0x0
	s_delay_alu instid0(VALU_DEP_1) | instskip(SKIP_4) | instid1(VALU_DEP_3)
	v_mul_f64_e32 v[22:23], v[26:27], v[22:23]
	global_store_b64 v[24:25], v[22:23], off
	v_lshlrev_b64_e32 v[24:25], 3, v[0:1]
	v_mul_f64_e32 v[22:23], v[34:35], v[18:19]
	v_add_nc_u32_e32 v0, s2, v0
	v_add_co_u32 v26, vcc_lo, s6, v24
	s_wait_alu 0xfffd
	s_delay_alu instid0(VALU_DEP_4)
	v_add_co_ci_u32_e64 v27, null, s7, v25, vcc_lo
	v_add_co_u32 v24, vcc_lo, s8, v24
	s_wait_alu 0xfffd
	v_add_co_ci_u32_e64 v25, null, s9, v25, vcc_lo
	global_load_b64 v[26:27], v[26:27], off
	v_min_num_f64_e32 v[22:23], s[0:1], v[22:23]
	s_wait_loadcnt 0x0
	s_delay_alu instid0(VALU_DEP_1) | instskip(SKIP_2) | instid1(VALU_DEP_1)
	v_mul_f64_e32 v[22:23], v[22:23], v[26:27]
	global_store_b64 v[24:25], v[22:23], off
	v_div_scale_f64 v[22:23], null, v[20:21], v[20:21], 1.0
	v_rcp_f64_e32 v[24:25], v[22:23]
	s_delay_alu instid0(TRANS32_DEP_1) | instskip(NEXT) | instid1(VALU_DEP_1)
	v_fma_f64 v[26:27], -v[22:23], v[24:25], 1.0
	v_fma_f64 v[24:25], v[24:25], v[26:27], v[24:25]
	s_delay_alu instid0(VALU_DEP_1) | instskip(NEXT) | instid1(VALU_DEP_1)
	v_fma_f64 v[26:27], -v[22:23], v[24:25], 1.0
	v_fma_f64 v[24:25], v[24:25], v[26:27], v[24:25]
	v_div_scale_f64 v[26:27], vcc_lo, 1.0, v[20:21], 1.0
	s_delay_alu instid0(VALU_DEP_1) | instskip(NEXT) | instid1(VALU_DEP_1)
	v_mul_f64_e32 v[28:29], v[26:27], v[24:25]
	v_fma_f64 v[22:23], -v[22:23], v[28:29], v[26:27]
	s_wait_alu 0xfffd
	s_delay_alu instid0(VALU_DEP_1) | instskip(NEXT) | instid1(VALU_DEP_1)
	v_div_fmas_f64 v[22:23], v[22:23], v[24:25], v[28:29]
	v_div_fixup_f64 v[20:21], v[22:23], v[20:21], 1.0
	s_delay_alu instid0(VALU_DEP_1) | instskip(SKIP_2) | instid1(VALU_DEP_2)
	v_mul_f64_e32 v[18:19], v[20:21], v[18:19]
	v_lshlrev_b64_e32 v[20:21], 3, v[0:1]
	v_add_nc_u32_e32 v0, s2, v0
	v_add_co_u32 v22, vcc_lo, s6, v20
	s_wait_alu 0xfffd
	s_delay_alu instid0(VALU_DEP_3)
	v_add_co_ci_u32_e64 v23, null, s7, v21, vcc_lo
	v_add_co_u32 v20, vcc_lo, s8, v20
	s_wait_alu 0xfffd
	v_add_co_ci_u32_e64 v21, null, s9, v21, vcc_lo
	global_load_b64 v[22:23], v[22:23], off
	v_min_num_f64_e32 v[18:19], s[0:1], v[18:19]
	s_wait_loadcnt 0x0
	s_delay_alu instid0(VALU_DEP_1) | instskip(SKIP_3) | instid1(VALU_DEP_2)
	v_mul_f64_e32 v[18:19], v[18:19], v[22:23]
	global_store_b64 v[20:21], v[18:19], off
	v_mul_f64_e32 v[20:21], v[10:11], v[10:11]
	v_mul_f64_e32 v[18:19], v[16:17], v[4:5]
	v_div_scale_f64 v[22:23], null, v[20:21], v[20:21], 1.0
	s_delay_alu instid0(VALU_DEP_1) | instskip(NEXT) | instid1(TRANS32_DEP_1)
	v_rcp_f64_e32 v[24:25], v[22:23]
	v_fma_f64 v[26:27], -v[22:23], v[24:25], 1.0
	s_delay_alu instid0(VALU_DEP_1) | instskip(NEXT) | instid1(VALU_DEP_1)
	v_fma_f64 v[24:25], v[24:25], v[26:27], v[24:25]
	v_fma_f64 v[26:27], -v[22:23], v[24:25], 1.0
	s_delay_alu instid0(VALU_DEP_1) | instskip(SKIP_1) | instid1(VALU_DEP_1)
	v_fma_f64 v[24:25], v[24:25], v[26:27], v[24:25]
	v_div_scale_f64 v[26:27], vcc_lo, 1.0, v[20:21], 1.0
	v_mul_f64_e32 v[28:29], v[26:27], v[24:25]
	s_delay_alu instid0(VALU_DEP_1) | instskip(SKIP_1) | instid1(VALU_DEP_1)
	v_fma_f64 v[22:23], -v[22:23], v[28:29], v[26:27]
	s_wait_alu 0xfffd
	v_div_fmas_f64 v[22:23], v[22:23], v[24:25], v[28:29]
	s_delay_alu instid0(VALU_DEP_1) | instskip(NEXT) | instid1(VALU_DEP_1)
	v_div_fixup_f64 v[20:21], v[22:23], v[20:21], 1.0
	v_mul_f64_e32 v[18:19], v[18:19], v[20:21]
	v_lshlrev_b64_e32 v[20:21], 3, v[0:1]
	v_add_nc_u32_e32 v0, s2, v0
	s_delay_alu instid0(VALU_DEP_2) | instskip(SKIP_1) | instid1(VALU_DEP_3)
	v_add_co_u32 v22, vcc_lo, s6, v20
	s_wait_alu 0xfffd
	v_add_co_ci_u32_e64 v23, null, s7, v21, vcc_lo
	v_add_co_u32 v20, vcc_lo, s8, v20
	s_wait_alu 0xfffd
	v_add_co_ci_u32_e64 v21, null, s9, v21, vcc_lo
	global_load_b64 v[22:23], v[22:23], off
	v_min_num_f64_e32 v[18:19], s[0:1], v[18:19]
	s_wait_loadcnt 0x0
	s_delay_alu instid0(VALU_DEP_1) | instskip(SKIP_2) | instid1(VALU_DEP_1)
	v_mul_f64_e32 v[18:19], v[22:23], v[18:19]
	global_store_b64 v[20:21], v[18:19], off
	v_mul_f64_e32 v[18:19], v[6:7], v[10:11]
	v_div_scale_f64 v[20:21], null, v[18:19], v[18:19], 1.0
	s_delay_alu instid0(VALU_DEP_1) | instskip(NEXT) | instid1(TRANS32_DEP_1)
	v_rcp_f64_e32 v[22:23], v[20:21]
	v_fma_f64 v[24:25], -v[20:21], v[22:23], 1.0
	s_delay_alu instid0(VALU_DEP_1) | instskip(NEXT) | instid1(VALU_DEP_1)
	v_fma_f64 v[22:23], v[22:23], v[24:25], v[22:23]
	v_fma_f64 v[24:25], -v[20:21], v[22:23], 1.0
	s_delay_alu instid0(VALU_DEP_1) | instskip(SKIP_1) | instid1(VALU_DEP_1)
	v_fma_f64 v[22:23], v[22:23], v[24:25], v[22:23]
	v_div_scale_f64 v[24:25], vcc_lo, 1.0, v[18:19], 1.0
	v_mul_f64_e32 v[26:27], v[24:25], v[22:23]
	s_delay_alu instid0(VALU_DEP_1) | instskip(SKIP_1) | instid1(VALU_DEP_1)
	v_fma_f64 v[20:21], -v[20:21], v[26:27], v[24:25]
	s_wait_alu 0xfffd
	v_div_fmas_f64 v[20:21], v[20:21], v[22:23], v[26:27]
	s_delay_alu instid0(VALU_DEP_1) | instskip(NEXT) | instid1(VALU_DEP_1)
	v_div_fixup_f64 v[18:19], v[20:21], v[18:19], 1.0
	v_mul_f64_e32 v[8:9], v[8:9], v[18:19]
	v_lshlrev_b64_e32 v[18:19], 3, v[0:1]
	v_add_nc_u32_e32 v0, s2, v0
	s_delay_alu instid0(VALU_DEP_2) | instskip(SKIP_1) | instid1(VALU_DEP_3)
	v_add_co_u32 v20, vcc_lo, s6, v18
	s_wait_alu 0xfffd
	v_add_co_ci_u32_e64 v21, null, s7, v19, vcc_lo
	v_add_co_u32 v18, vcc_lo, s8, v18
	s_wait_alu 0xfffd
	v_add_co_ci_u32_e64 v19, null, s9, v19, vcc_lo
	global_load_b64 v[20:21], v[20:21], off
	v_min_num_f64_e32 v[8:9], s[0:1], v[8:9]
	s_wait_loadcnt 0x0
	s_delay_alu instid0(VALU_DEP_1) | instskip(SKIP_4) | instid1(VALU_DEP_3)
	v_mul_f64_e32 v[8:9], v[20:21], v[8:9]
	global_store_b64 v[18:19], v[8:9], off
	v_mul_f64_e32 v[18:19], v[6:7], v[12:13]
	v_mul_f64_e32 v[8:9], v[10:11], v[4:5]
	;; [unrolled: 1-line block ×3, first 2 shown]
	v_div_scale_f64 v[20:21], null, v[18:19], v[18:19], 1.0
	s_delay_alu instid0(VALU_DEP_1) | instskip(NEXT) | instid1(TRANS32_DEP_1)
	v_rcp_f64_e32 v[22:23], v[20:21]
	v_fma_f64 v[24:25], -v[20:21], v[22:23], 1.0
	s_delay_alu instid0(VALU_DEP_1) | instskip(NEXT) | instid1(VALU_DEP_1)
	v_fma_f64 v[22:23], v[22:23], v[24:25], v[22:23]
	v_fma_f64 v[24:25], -v[20:21], v[22:23], 1.0
	s_delay_alu instid0(VALU_DEP_1) | instskip(SKIP_1) | instid1(VALU_DEP_1)
	v_fma_f64 v[22:23], v[22:23], v[24:25], v[22:23]
	v_div_scale_f64 v[24:25], vcc_lo, 1.0, v[18:19], 1.0
	v_mul_f64_e32 v[26:27], v[24:25], v[22:23]
	s_delay_alu instid0(VALU_DEP_1) | instskip(SKIP_1) | instid1(VALU_DEP_1)
	v_fma_f64 v[20:21], -v[20:21], v[26:27], v[24:25]
	s_wait_alu 0xfffd
	v_div_fmas_f64 v[20:21], v[20:21], v[22:23], v[26:27]
	s_delay_alu instid0(VALU_DEP_1) | instskip(NEXT) | instid1(VALU_DEP_1)
	v_div_fixup_f64 v[18:19], v[20:21], v[18:19], 1.0
	v_mul_f64_e32 v[8:9], v[8:9], v[18:19]
	v_lshlrev_b64_e32 v[18:19], 3, v[0:1]
	v_add_nc_u32_e32 v0, s2, v0
	s_delay_alu instid0(VALU_DEP_2) | instskip(SKIP_1) | instid1(VALU_DEP_3)
	v_add_co_u32 v20, vcc_lo, s6, v18
	s_wait_alu 0xfffd
	v_add_co_ci_u32_e64 v21, null, s7, v19, vcc_lo
	v_add_co_u32 v18, vcc_lo, s8, v18
	s_wait_alu 0xfffd
	v_add_co_ci_u32_e64 v19, null, s9, v19, vcc_lo
	global_load_b64 v[20:21], v[20:21], off
	v_min_num_f64_e32 v[8:9], s[0:1], v[8:9]
	s_wait_loadcnt 0x0
	s_delay_alu instid0(VALU_DEP_1) | instskip(SKIP_4) | instid1(VALU_DEP_3)
	v_mul_f64_e32 v[8:9], v[20:21], v[8:9]
	global_store_b64 v[18:19], v[8:9], off
	v_div_scale_f64 v[18:19], null, v[6:7], v[6:7], 1.0
	v_mul_f64_e32 v[8:9], v[4:5], v[4:5]
	v_div_scale_f64 v[4:5], null, v[2:3], v[2:3], 1.0
	v_rcp_f64_e32 v[20:21], v[18:19]
	s_delay_alu instid0(TRANS32_DEP_1) | instskip(NEXT) | instid1(VALU_DEP_1)
	v_fma_f64 v[22:23], -v[18:19], v[20:21], 1.0
	v_fma_f64 v[20:21], v[20:21], v[22:23], v[20:21]
	s_delay_alu instid0(VALU_DEP_1) | instskip(NEXT) | instid1(VALU_DEP_1)
	v_fma_f64 v[22:23], -v[18:19], v[20:21], 1.0
	v_fma_f64 v[20:21], v[20:21], v[22:23], v[20:21]
	v_div_scale_f64 v[22:23], vcc_lo, 1.0, v[6:7], 1.0
	s_delay_alu instid0(VALU_DEP_1) | instskip(NEXT) | instid1(VALU_DEP_1)
	v_mul_f64_e32 v[24:25], v[22:23], v[20:21]
	v_fma_f64 v[18:19], -v[18:19], v[24:25], v[22:23]
	s_wait_alu 0xfffd
	s_delay_alu instid0(VALU_DEP_1) | instskip(NEXT) | instid1(VALU_DEP_1)
	v_div_fmas_f64 v[18:19], v[18:19], v[20:21], v[24:25]
	v_div_fixup_f64 v[6:7], v[18:19], v[6:7], 1.0
	s_delay_alu instid0(VALU_DEP_1) | instskip(SKIP_2) | instid1(VALU_DEP_2)
	v_mul_f64_e32 v[6:7], v[8:9], v[6:7]
	v_lshlrev_b64_e32 v[8:9], 3, v[0:1]
	v_add_nc_u32_e32 v0, s2, v0
	v_add_co_u32 v18, vcc_lo, s6, v8
	s_wait_alu 0xfffd
	s_delay_alu instid0(VALU_DEP_3)
	v_add_co_ci_u32_e64 v19, null, s7, v9, vcc_lo
	v_add_co_u32 v8, vcc_lo, s8, v8
	s_wait_alu 0xfffd
	v_add_co_ci_u32_e64 v9, null, s9, v9, vcc_lo
	global_load_b64 v[18:19], v[18:19], off
	v_min_num_f64_e32 v[6:7], s[0:1], v[6:7]
	s_wait_loadcnt 0x0
	s_delay_alu instid0(VALU_DEP_1) | instskip(SKIP_3) | instid1(VALU_DEP_2)
	v_mul_f64_e32 v[18:19], v[18:19], v[6:7]
	global_store_b64 v[8:9], v[18:19], off
	v_lshlrev_b64_e32 v[8:9], 3, v[0:1]
	v_add_nc_u32_e32 v0, s2, v0
	v_add_co_u32 v18, vcc_lo, s6, v8
	s_wait_alu 0xfffd
	s_delay_alu instid0(VALU_DEP_3)
	v_add_co_ci_u32_e64 v19, null, s7, v9, vcc_lo
	v_add_co_u32 v8, vcc_lo, s8, v8
	s_wait_alu 0xfffd
	v_add_co_ci_u32_e64 v9, null, s9, v9, vcc_lo
	global_load_b64 v[18:19], v[18:19], off
	s_wait_loadcnt 0x0
	v_mul_f64_e32 v[6:7], v[18:19], v[6:7]
	global_store_b64 v[8:9], v[6:7], off
	v_rcp_f64_e32 v[8:9], v[4:5]
	v_mul_f64_e32 v[6:7], v[16:17], v[14:15]
	s_delay_alu instid0(TRANS32_DEP_1) | instskip(NEXT) | instid1(VALU_DEP_1)
	v_fma_f64 v[14:15], -v[4:5], v[8:9], 1.0
	v_fma_f64 v[8:9], v[8:9], v[14:15], v[8:9]
	s_delay_alu instid0(VALU_DEP_1) | instskip(NEXT) | instid1(VALU_DEP_1)
	v_fma_f64 v[14:15], -v[4:5], v[8:9], 1.0
	v_fma_f64 v[8:9], v[8:9], v[14:15], v[8:9]
	v_div_scale_f64 v[14:15], vcc_lo, 1.0, v[2:3], 1.0
	s_delay_alu instid0(VALU_DEP_1) | instskip(NEXT) | instid1(VALU_DEP_1)
	v_mul_f64_e32 v[16:17], v[14:15], v[8:9]
	v_fma_f64 v[4:5], -v[4:5], v[16:17], v[14:15]
	s_wait_alu 0xfffd
	s_delay_alu instid0(VALU_DEP_1) | instskip(NEXT) | instid1(VALU_DEP_1)
	v_div_fmas_f64 v[4:5], v[4:5], v[8:9], v[16:17]
	v_div_fixup_f64 v[2:3], v[4:5], v[2:3], 1.0
	v_lshlrev_b64_e32 v[4:5], 3, v[0:1]
	v_add_nc_u32_e32 v0, s2, v0
	s_delay_alu instid0(VALU_DEP_2) | instskip(SKIP_1) | instid1(VALU_DEP_3)
	v_add_co_u32 v8, vcc_lo, s6, v4
	s_wait_alu 0xfffd
	v_add_co_ci_u32_e64 v9, null, s7, v5, vcc_lo
	v_add_co_u32 v4, vcc_lo, s8, v4
	s_wait_alu 0xfffd
	v_add_co_ci_u32_e64 v5, null, s9, v5, vcc_lo
	global_load_b64 v[8:9], v[8:9], off
	v_lshlrev_b64_e32 v[0:1], 3, v[0:1]
	v_mul_f64_e32 v[2:3], v[6:7], v[2:3]
	s_delay_alu instid0(VALU_DEP_1) | instskip(SKIP_1) | instid1(VALU_DEP_1)
	v_min_num_f64_e32 v[2:3], s[0:1], v[2:3]
	s_wait_loadcnt 0x0
	v_mul_f64_e32 v[2:3], v[8:9], v[2:3]
	global_store_b64 v[4:5], v[2:3], off
	v_mul_f64_e32 v[2:3], v[10:11], v[12:13]
	s_delay_alu instid0(VALU_DEP_1) | instskip(NEXT) | instid1(VALU_DEP_1)
	v_div_scale_f64 v[4:5], null, v[2:3], v[2:3], 1.0
	v_rcp_f64_e32 v[8:9], v[4:5]
	s_delay_alu instid0(TRANS32_DEP_1) | instskip(NEXT) | instid1(VALU_DEP_1)
	v_fma_f64 v[10:11], -v[4:5], v[8:9], 1.0
	v_fma_f64 v[8:9], v[8:9], v[10:11], v[8:9]
	s_delay_alu instid0(VALU_DEP_1) | instskip(NEXT) | instid1(VALU_DEP_1)
	v_fma_f64 v[10:11], -v[4:5], v[8:9], 1.0
	v_fma_f64 v[8:9], v[8:9], v[10:11], v[8:9]
	v_div_scale_f64 v[10:11], vcc_lo, 1.0, v[2:3], 1.0
	s_delay_alu instid0(VALU_DEP_1) | instskip(NEXT) | instid1(VALU_DEP_1)
	v_mul_f64_e32 v[12:13], v[10:11], v[8:9]
	v_fma_f64 v[4:5], -v[4:5], v[12:13], v[10:11]
	s_wait_alu 0xfffd
	s_delay_alu instid0(VALU_DEP_1) | instskip(NEXT) | instid1(VALU_DEP_1)
	v_div_fmas_f64 v[4:5], v[4:5], v[8:9], v[12:13]
	v_div_fixup_f64 v[2:3], v[4:5], v[2:3], 1.0
	v_add_co_u32 v4, vcc_lo, s6, v0
	s_wait_alu 0xfffd
	v_add_co_ci_u32_e64 v5, null, s7, v1, vcc_lo
	v_add_co_u32 v0, vcc_lo, s8, v0
	s_wait_alu 0xfffd
	v_add_co_ci_u32_e64 v1, null, s9, v1, vcc_lo
	global_load_b64 v[4:5], v[4:5], off
	v_mul_f64_e32 v[2:3], v[6:7], v[2:3]
	s_delay_alu instid0(VALU_DEP_1) | instskip(SKIP_1) | instid1(VALU_DEP_1)
	v_min_num_f64_e32 v[2:3], s[0:1], v[2:3]
	s_wait_loadcnt 0x0
	v_mul_f64_e32 v[2:3], v[4:5], v[2:3]
	global_store_b64 v[0:1], v[2:3], off
	s_endpgm
	.section	.rodata,"a",@progbits
	.p2align	6, 0x0
	.amdhsa_kernel _Z12ratt2_kernelIdEvPKT_S2_PS0_S2_S0_
		.amdhsa_group_segment_fixed_size 0
		.amdhsa_private_segment_fixed_size 0
		.amdhsa_kernarg_size 296
		.amdhsa_user_sgpr_count 2
		.amdhsa_user_sgpr_dispatch_ptr 0
		.amdhsa_user_sgpr_queue_ptr 0
		.amdhsa_user_sgpr_kernarg_segment_ptr 1
		.amdhsa_user_sgpr_dispatch_id 0
		.amdhsa_user_sgpr_private_segment_size 0
		.amdhsa_wavefront_size32 1
		.amdhsa_uses_dynamic_stack 0
		.amdhsa_enable_private_segment 0
		.amdhsa_system_sgpr_workgroup_id_x 1
		.amdhsa_system_sgpr_workgroup_id_y 0
		.amdhsa_system_sgpr_workgroup_id_z 0
		.amdhsa_system_sgpr_workgroup_info 0
		.amdhsa_system_vgpr_workitem_id 0
		.amdhsa_next_free_vgpr 52
		.amdhsa_next_free_sgpr 15
		.amdhsa_reserve_vcc 1
		.amdhsa_float_round_mode_32 0
		.amdhsa_float_round_mode_16_64 0
		.amdhsa_float_denorm_mode_32 3
		.amdhsa_float_denorm_mode_16_64 3
		.amdhsa_fp16_overflow 0
		.amdhsa_workgroup_processor_mode 1
		.amdhsa_memory_ordered 1
		.amdhsa_forward_progress 1
		.amdhsa_inst_pref_size 38
		.amdhsa_round_robin_scheduling 0
		.amdhsa_exception_fp_ieee_invalid_op 0
		.amdhsa_exception_fp_denorm_src 0
		.amdhsa_exception_fp_ieee_div_zero 0
		.amdhsa_exception_fp_ieee_overflow 0
		.amdhsa_exception_fp_ieee_underflow 0
		.amdhsa_exception_fp_ieee_inexact 0
		.amdhsa_exception_int_div_zero 0
	.end_amdhsa_kernel
	.section	.text._Z12ratt2_kernelIdEvPKT_S2_PS0_S2_S0_,"axG",@progbits,_Z12ratt2_kernelIdEvPKT_S2_PS0_S2_S0_,comdat
.Lfunc_end30:
	.size	_Z12ratt2_kernelIdEvPKT_S2_PS0_S2_S0_, .Lfunc_end30-_Z12ratt2_kernelIdEvPKT_S2_PS0_S2_S0_
                                        ; -- End function
	.set _Z12ratt2_kernelIdEvPKT_S2_PS0_S2_S0_.num_vgpr, 52
	.set _Z12ratt2_kernelIdEvPKT_S2_PS0_S2_S0_.num_agpr, 0
	.set _Z12ratt2_kernelIdEvPKT_S2_PS0_S2_S0_.numbered_sgpr, 15
	.set _Z12ratt2_kernelIdEvPKT_S2_PS0_S2_S0_.num_named_barrier, 0
	.set _Z12ratt2_kernelIdEvPKT_S2_PS0_S2_S0_.private_seg_size, 0
	.set _Z12ratt2_kernelIdEvPKT_S2_PS0_S2_S0_.uses_vcc, 1
	.set _Z12ratt2_kernelIdEvPKT_S2_PS0_S2_S0_.uses_flat_scratch, 0
	.set _Z12ratt2_kernelIdEvPKT_S2_PS0_S2_S0_.has_dyn_sized_stack, 0
	.set _Z12ratt2_kernelIdEvPKT_S2_PS0_S2_S0_.has_recursion, 0
	.set _Z12ratt2_kernelIdEvPKT_S2_PS0_S2_S0_.has_indirect_call, 0
	.section	.AMDGPU.csdata,"",@progbits
; Kernel info:
; codeLenInByte = 4812
; TotalNumSgprs: 17
; NumVgprs: 52
; ScratchSize: 0
; MemoryBound: 0
; FloatMode: 240
; IeeeMode: 1
; LDSByteSize: 0 bytes/workgroup (compile time only)
; SGPRBlocks: 0
; VGPRBlocks: 6
; NumSGPRsForWavesPerEU: 17
; NumVGPRsForWavesPerEU: 52
; Occupancy: 16
; WaveLimiterHint : 0
; COMPUTE_PGM_RSRC2:SCRATCH_EN: 0
; COMPUTE_PGM_RSRC2:USER_SGPR: 2
; COMPUTE_PGM_RSRC2:TRAP_HANDLER: 0
; COMPUTE_PGM_RSRC2:TGID_X_EN: 1
; COMPUTE_PGM_RSRC2:TGID_Y_EN: 0
; COMPUTE_PGM_RSRC2:TGID_Z_EN: 0
; COMPUTE_PGM_RSRC2:TIDIG_COMP_CNT: 0
	.section	.text._Z12ratt3_kernelIdEvPKT_S2_PS0_S2_S0_,"axG",@progbits,_Z12ratt3_kernelIdEvPKT_S2_PS0_S2_S0_,comdat
	.protected	_Z12ratt3_kernelIdEvPKT_S2_PS0_S2_S0_ ; -- Begin function _Z12ratt3_kernelIdEvPKT_S2_PS0_S2_S0_
	.globl	_Z12ratt3_kernelIdEvPKT_S2_PS0_S2_S0_
	.p2align	8
	.type	_Z12ratt3_kernelIdEvPKT_S2_PS0_S2_S0_,@function
_Z12ratt3_kernelIdEvPKT_S2_PS0_S2_S0_:  ; @_Z12ratt3_kernelIdEvPKT_S2_PS0_S2_S0_
; %bb.0:
	s_clause 0x2
	s_load_b256 s[4:11], s[0:1], 0x0
	s_load_b96 s[12:14], s[0:1], 0x20
	s_load_b32 s0, s[0:1], 0x34
	s_wait_kmcnt 0x0
	s_and_b32 s2, s0, 0xffff
	s_brev_b32 s0, 12
	v_mad_co_u64_u32 v[0:1], null, ttmp9, s2, v[0:1]
	v_mov_b32_e32 v1, 0
	s_mov_b32 s1, 0x4193d2c6
	s_mul_i32 s2, s14, s2
	s_wait_alu 0xfffe
	s_mul_i32 s3, s2, 19
	s_delay_alu instid0(VALU_DEP_2) | instskip(NEXT) | instid1(VALU_DEP_1)
	v_lshlrev_b64_e32 v[10:11], 3, v[0:1]
	v_add_co_u32 v2, vcc_lo, s4, v10
	s_delay_alu instid0(VALU_DEP_1)
	v_add_co_ci_u32_e64 v3, null, s5, v11, vcc_lo
	s_mul_i32 s4, s2, 14
	s_mul_i32 s5, s2, -13
	global_load_b64 v[2:3], v[2:3], off
	s_wait_loadcnt 0x0
	v_mul_f64_e32 v[2:3], s[12:13], v[2:3]
	s_mul_i32 s12, s2, 28
	s_delay_alu instid0(VALU_DEP_1) | instskip(SKIP_1) | instid1(VALU_DEP_1)
	v_mul_f64_e32 v[2:3], s[0:1], v[2:3]
	s_lshl_b32 s0, s2, 1
	v_div_scale_f64 v[4:5], null, v[2:3], v[2:3], 1.0
	s_delay_alu instid0(VALU_DEP_1) | instskip(NEXT) | instid1(TRANS32_DEP_1)
	v_rcp_f64_e32 v[6:7], v[4:5]
	v_fma_f64 v[8:9], -v[4:5], v[6:7], 1.0
	s_delay_alu instid0(VALU_DEP_1) | instskip(NEXT) | instid1(VALU_DEP_1)
	v_fma_f64 v[6:7], v[6:7], v[8:9], v[6:7]
	v_fma_f64 v[8:9], -v[4:5], v[6:7], 1.0
	s_delay_alu instid0(VALU_DEP_1) | instskip(SKIP_1) | instid1(VALU_DEP_1)
	v_fma_f64 v[6:7], v[6:7], v[8:9], v[6:7]
	v_div_scale_f64 v[8:9], vcc_lo, 1.0, v[2:3], 1.0
	v_mul_f64_e32 v[12:13], v[8:9], v[6:7]
	s_delay_alu instid0(VALU_DEP_1) | instskip(SKIP_1) | instid1(VALU_DEP_1)
	v_fma_f64 v[4:5], -v[4:5], v[12:13], v[8:9]
	s_wait_alu 0xfffd
	v_div_fmas_f64 v[4:5], v[4:5], v[6:7], v[12:13]
	s_wait_alu 0xfffe
	v_dual_mov_b32 v7, v1 :: v_dual_add_nc_u32 v6, s0, v0
	v_dual_mov_b32 v23, v1 :: v_dual_add_nc_u32 v0, s2, v0
	s_delay_alu instid0(VALU_DEP_3) | instskip(NEXT) | instid1(VALU_DEP_1)
	v_div_fixup_f64 v[2:3], v[4:5], v[2:3], 1.0
	v_mul_f64_e32 v[4:5], 0x412eec04, v[2:3]
	s_delay_alu instid0(VALU_DEP_4) | instskip(SKIP_2) | instid1(VALU_DEP_3)
	v_lshlrev_b64_e32 v[2:3], 3, v[6:7]
	v_mad_co_u64_u32 v[6:7], null, s2, 5, v[6:7]
	v_mov_b32_e32 v7, v1
	v_add_co_u32 v2, vcc_lo, s10, v2
	s_wait_alu 0xfffd
	s_delay_alu instid0(VALU_DEP_4) | instskip(NEXT) | instid1(VALU_DEP_3)
	v_add_co_ci_u32_e64 v3, null, s11, v3, vcc_lo
	v_lshlrev_b64_e32 v[8:9], 3, v[6:7]
	v_mad_co_u64_u32 v[6:7], null, s2, -3, v[6:7]
	v_mov_b32_e32 v7, v1
	global_load_b64 v[16:17], v[2:3], off
	v_add_co_u32 v8, vcc_lo, s10, v8
	s_wait_alu 0xfffd
	v_add_co_ci_u32_e64 v9, null, s11, v9, vcc_lo
	v_add_nc_u32_e32 v22, s0, v6
	s_mov_b32 s0, 0x4357691b
	s_mov_b32 s1, 0x479e17b8
	global_load_b64 v[18:19], v[8:9], off
	v_lshlrev_b64_e32 v[7:8], 3, v[6:7]
	s_delay_alu instid0(VALU_DEP_1) | instskip(SKIP_2) | instid1(VALU_DEP_3)
	v_add_co_u32 v12, vcc_lo, s10, v7
	v_lshlrev_b64_e32 v[6:7], 3, v[22:23]
	s_wait_alu 0xfffd
	v_add_co_ci_u32_e64 v13, null, s11, v8, vcc_lo
	v_add_nc_u32_e32 v22, s3, v22
	s_delay_alu instid0(VALU_DEP_3)
	v_add_co_u32 v6, vcc_lo, s10, v6
	s_wait_alu 0xfffd
	v_add_co_ci_u32_e64 v7, null, s11, v7, vcc_lo
	s_clause 0x1
	global_load_b64 v[8:9], v[12:13], off
	global_load_b64 v[14:15], v[6:7], off
	s_wait_loadcnt 0x2
	v_mul_f64_e32 v[20:21], v[16:17], v[18:19]
	s_wait_loadcnt 0x0
	v_mul_f64_e32 v[23:24], v[8:9], v[14:15]
	s_delay_alu instid0(VALU_DEP_1) | instskip(NEXT) | instid1(VALU_DEP_1)
	v_div_scale_f64 v[25:26], null, v[23:24], v[23:24], 1.0
	v_rcp_f64_e32 v[27:28], v[25:26]
	s_delay_alu instid0(TRANS32_DEP_1) | instskip(NEXT) | instid1(VALU_DEP_1)
	v_fma_f64 v[29:30], -v[25:26], v[27:28], 1.0
	v_fma_f64 v[27:28], v[27:28], v[29:30], v[27:28]
	s_delay_alu instid0(VALU_DEP_1) | instskip(NEXT) | instid1(VALU_DEP_1)
	v_fma_f64 v[29:30], -v[25:26], v[27:28], 1.0
	v_fma_f64 v[27:28], v[27:28], v[29:30], v[27:28]
	v_div_scale_f64 v[29:30], vcc_lo, 1.0, v[23:24], 1.0
	s_delay_alu instid0(VALU_DEP_1) | instskip(NEXT) | instid1(VALU_DEP_1)
	v_mul_f64_e32 v[31:32], v[29:30], v[27:28]
	v_fma_f64 v[25:26], -v[25:26], v[31:32], v[29:30]
	s_wait_alu 0xfffd
	s_delay_alu instid0(VALU_DEP_1) | instskip(NEXT) | instid1(VALU_DEP_1)
	v_div_fmas_f64 v[25:26], v[25:26], v[27:28], v[31:32]
	v_div_fixup_f64 v[23:24], v[25:26], v[23:24], 1.0
	s_delay_alu instid0(VALU_DEP_1) | instskip(SKIP_1) | instid1(VALU_DEP_1)
	v_mul_f64_e32 v[20:21], v[20:21], v[23:24]
	v_mov_b32_e32 v23, v1
	v_lshlrev_b64_e32 v[24:25], 3, v[22:23]
	v_mad_co_u64_u32 v[22:23], null, 0xffffffec, s2, v[22:23]
	v_mov_b32_e32 v23, v1
	s_delay_alu instid0(VALU_DEP_3) | instskip(SKIP_1) | instid1(VALU_DEP_4)
	v_add_co_u32 v26, vcc_lo, s6, v24
	s_wait_alu 0xfffd
	v_add_co_ci_u32_e64 v27, null, s7, v25, vcc_lo
	v_add_co_u32 v24, vcc_lo, s8, v24
	s_wait_alu 0xfffd
	v_add_co_ci_u32_e64 v25, null, s9, v25, vcc_lo
	global_load_b64 v[26:27], v[26:27], off
	s_wait_alu 0xfffe
	v_min_num_f64_e32 v[20:21], s[0:1], v[20:21]
	s_wait_loadcnt 0x0
	s_delay_alu instid0(VALU_DEP_1)
	v_mul_f64_e32 v[20:21], v[26:27], v[20:21]
	global_store_b64 v[24:25], v[20:21], off
	v_mul_f64_e32 v[20:21], v[18:19], v[8:9]
	v_lshlrev_b64_e32 v[18:19], 3, v[22:23]
	v_mad_co_u64_u32 v[22:23], null, s2, 21, v[22:23]
	v_mov_b32_e32 v23, v1
	s_delay_alu instid0(VALU_DEP_3) | instskip(SKIP_1) | instid1(VALU_DEP_4)
	v_add_co_u32 v18, vcc_lo, s10, v18
	s_wait_alu 0xfffd
	v_add_co_ci_u32_e64 v19, null, s11, v19, vcc_lo
	global_load_b64 v[24:25], v[18:19], off
	s_wait_loadcnt 0x0
	v_mul_f64_e32 v[26:27], v[14:15], v[24:25]
	s_delay_alu instid0(VALU_DEP_1) | instskip(NEXT) | instid1(VALU_DEP_1)
	v_div_scale_f64 v[28:29], null, v[26:27], v[26:27], 1.0
	v_rcp_f64_e32 v[30:31], v[28:29]
	s_delay_alu instid0(TRANS32_DEP_1) | instskip(NEXT) | instid1(VALU_DEP_1)
	v_fma_f64 v[32:33], -v[28:29], v[30:31], 1.0
	v_fma_f64 v[30:31], v[30:31], v[32:33], v[30:31]
	s_delay_alu instid0(VALU_DEP_1) | instskip(NEXT) | instid1(VALU_DEP_1)
	v_fma_f64 v[32:33], -v[28:29], v[30:31], 1.0
	v_fma_f64 v[30:31], v[30:31], v[32:33], v[30:31]
	v_div_scale_f64 v[32:33], vcc_lo, 1.0, v[26:27], 1.0
	s_delay_alu instid0(VALU_DEP_1) | instskip(NEXT) | instid1(VALU_DEP_1)
	v_mul_f64_e32 v[34:35], v[32:33], v[30:31]
	v_fma_f64 v[28:29], -v[28:29], v[34:35], v[32:33]
	v_mov_b32_e32 v33, v1
	s_wait_alu 0xfffd
	s_delay_alu instid0(VALU_DEP_2) | instskip(NEXT) | instid1(VALU_DEP_1)
	v_div_fmas_f64 v[28:29], v[28:29], v[30:31], v[34:35]
	v_div_fixup_f64 v[26:27], v[28:29], v[26:27], 1.0
	s_delay_alu instid0(VALU_DEP_1) | instskip(SKIP_2) | instid1(VALU_DEP_2)
	v_mul_f64_e32 v[20:21], v[20:21], v[26:27]
	v_lshlrev_b64_e32 v[26:27], 3, v[22:23]
	v_add_nc_u32_e32 v22, s2, v22
	v_add_co_u32 v28, vcc_lo, s6, v26
	s_wait_alu 0xfffd
	s_delay_alu instid0(VALU_DEP_3)
	v_add_co_ci_u32_e64 v29, null, s7, v27, vcc_lo
	v_add_co_u32 v26, vcc_lo, s8, v26
	s_wait_alu 0xfffd
	v_add_co_ci_u32_e64 v27, null, s9, v27, vcc_lo
	global_load_b64 v[28:29], v[28:29], off
	v_min_num_f64_e32 v[20:21], s[0:1], v[20:21]
	s_wait_loadcnt 0x0
	s_delay_alu instid0(VALU_DEP_1) | instskip(SKIP_2) | instid1(VALU_DEP_1)
	v_mul_f64_e32 v[28:29], v[28:29], v[20:21]
	global_store_b64 v[26:27], v[28:29], off
	v_lshlrev_b64_e32 v[26:27], 3, v[22:23]
	v_add_co_u32 v28, vcc_lo, s6, v26
	s_wait_alu 0xfffd
	s_delay_alu instid0(VALU_DEP_2)
	v_add_co_ci_u32_e64 v29, null, s7, v27, vcc_lo
	v_add_co_u32 v26, vcc_lo, s8, v26
	s_wait_alu 0xfffd
	v_add_co_ci_u32_e64 v27, null, s9, v27, vcc_lo
	global_load_b64 v[28:29], v[28:29], off
	s_wait_loadcnt 0x0
	v_mul_f64_e32 v[20:21], v[28:29], v[20:21]
	global_store_b64 v[26:27], v[20:21], off
	v_mad_co_u64_u32 v[20:21], null, s2, -14, v[22:23]
	s_delay_alu instid0(VALU_DEP_1) | instskip(NEXT) | instid1(VALU_DEP_1)
	v_dual_mov_b32 v21, v1 :: v_dual_add_nc_u32 v32, s2, v20
	v_lshlrev_b64_e32 v[22:23], 3, v[20:21]
	s_delay_alu instid0(VALU_DEP_2) | instskip(SKIP_1) | instid1(VALU_DEP_3)
	v_lshlrev_b64_e32 v[20:21], 3, v[32:33]
	v_add_nc_u32_e32 v32, s4, v32
	v_add_co_u32 v22, vcc_lo, s10, v22
	s_wait_alu 0xfffd
	s_delay_alu instid0(VALU_DEP_4) | instskip(NEXT) | instid1(VALU_DEP_4)
	v_add_co_ci_u32_e64 v23, null, s11, v23, vcc_lo
	v_add_co_u32 v20, vcc_lo, s10, v20
	s_wait_alu 0xfffd
	v_add_co_ci_u32_e64 v21, null, s11, v21, vcc_lo
	s_clause 0x1
	global_load_b64 v[26:27], v[22:23], off
	global_load_b64 v[30:31], v[20:21], off
	s_wait_loadcnt 0x1
	v_mul_f64_e32 v[28:29], v[16:17], v[26:27]
	v_mul_f64_e32 v[14:15], v[14:15], v[26:27]
	s_wait_loadcnt 0x0
	v_div_scale_f64 v[33:34], null, v[30:31], v[30:31], 1.0
	s_delay_alu instid0(VALU_DEP_3) | instskip(NEXT) | instid1(VALU_DEP_2)
	v_mul_f64_e32 v[28:29], v[4:5], v[28:29]
	v_rcp_f64_e32 v[35:36], v[33:34]
	s_delay_alu instid0(TRANS32_DEP_1) | instskip(NEXT) | instid1(VALU_DEP_1)
	v_fma_f64 v[37:38], -v[33:34], v[35:36], 1.0
	v_fma_f64 v[35:36], v[35:36], v[37:38], v[35:36]
	s_delay_alu instid0(VALU_DEP_1) | instskip(NEXT) | instid1(VALU_DEP_1)
	v_fma_f64 v[37:38], -v[33:34], v[35:36], 1.0
	v_fma_f64 v[35:36], v[35:36], v[37:38], v[35:36]
	v_div_scale_f64 v[37:38], vcc_lo, 1.0, v[30:31], 1.0
	s_delay_alu instid0(VALU_DEP_1) | instskip(NEXT) | instid1(VALU_DEP_1)
	v_mul_f64_e32 v[39:40], v[37:38], v[35:36]
	v_fma_f64 v[33:34], -v[33:34], v[39:40], v[37:38]
	s_wait_alu 0xfffd
	s_delay_alu instid0(VALU_DEP_1) | instskip(NEXT) | instid1(VALU_DEP_1)
	v_div_fmas_f64 v[33:34], v[33:34], v[35:36], v[39:40]
	v_div_fixup_f64 v[33:34], v[33:34], v[30:31], 1.0
	s_delay_alu instid0(VALU_DEP_1) | instskip(SKIP_1) | instid1(VALU_DEP_1)
	v_mul_f64_e32 v[28:29], v[28:29], v[33:34]
	v_mov_b32_e32 v33, v1
	v_lshlrev_b64_e32 v[32:33], 3, v[32:33]
	s_delay_alu instid0(VALU_DEP_1) | instskip(SKIP_1) | instid1(VALU_DEP_2)
	v_add_co_u32 v34, vcc_lo, s6, v32
	s_wait_alu 0xfffd
	v_add_co_ci_u32_e64 v35, null, s7, v33, vcc_lo
	v_add_co_u32 v32, vcc_lo, s8, v32
	s_wait_alu 0xfffd
	v_add_co_ci_u32_e64 v33, null, s9, v33, vcc_lo
	global_load_b64 v[34:35], v[34:35], off
	v_min_num_f64_e32 v[28:29], s[0:1], v[28:29]
	s_wait_loadcnt 0x0
	s_delay_alu instid0(VALU_DEP_1) | instskip(SKIP_4) | instid1(VALU_DEP_3)
	v_mul_f64_e32 v[28:29], v[34:35], v[28:29]
	global_store_b64 v[32:33], v[28:29], off
	v_lshlrev_b64_e32 v[28:29], 3, v[0:1]
	v_mul_f64_e32 v[32:33], v[8:9], v[26:27]
	v_add_nc_u32_e32 v0, s12, v0
	v_add_co_u32 v28, vcc_lo, s10, v28
	s_wait_alu 0xfffd
	s_delay_alu instid0(VALU_DEP_4) | instskip(SKIP_3) | instid1(VALU_DEP_1)
	v_add_co_ci_u32_e64 v29, null, s11, v29, vcc_lo
	global_load_b64 v[34:35], v[28:29], off
	s_wait_loadcnt 0x0
	v_mul_f64_e32 v[36:37], v[30:31], v[34:35]
	v_div_scale_f64 v[38:39], null, v[36:37], v[36:37], 1.0
	s_delay_alu instid0(VALU_DEP_1) | instskip(NEXT) | instid1(TRANS32_DEP_1)
	v_rcp_f64_e32 v[40:41], v[38:39]
	v_fma_f64 v[42:43], -v[38:39], v[40:41], 1.0
	s_delay_alu instid0(VALU_DEP_1) | instskip(NEXT) | instid1(VALU_DEP_1)
	v_fma_f64 v[40:41], v[40:41], v[42:43], v[40:41]
	v_fma_f64 v[42:43], -v[38:39], v[40:41], 1.0
	s_delay_alu instid0(VALU_DEP_1) | instskip(SKIP_1) | instid1(VALU_DEP_1)
	v_fma_f64 v[40:41], v[40:41], v[42:43], v[40:41]
	v_div_scale_f64 v[42:43], vcc_lo, 1.0, v[36:37], 1.0
	v_mul_f64_e32 v[44:45], v[42:43], v[40:41]
	s_delay_alu instid0(VALU_DEP_1) | instskip(SKIP_1) | instid1(VALU_DEP_1)
	v_fma_f64 v[38:39], -v[38:39], v[44:45], v[42:43]
	s_wait_alu 0xfffd
	v_div_fmas_f64 v[38:39], v[38:39], v[40:41], v[44:45]
	s_delay_alu instid0(VALU_DEP_1) | instskip(NEXT) | instid1(VALU_DEP_1)
	v_div_fixup_f64 v[36:37], v[38:39], v[36:37], 1.0
	v_mul_f64_e32 v[32:33], v[32:33], v[36:37]
	v_lshlrev_b64_e32 v[36:37], 3, v[0:1]
	v_add_nc_u32_e32 v0, s5, v0
	s_delay_alu instid0(VALU_DEP_2) | instskip(SKIP_1) | instid1(VALU_DEP_3)
	v_add_co_u32 v38, vcc_lo, s6, v36
	s_wait_alu 0xfffd
	v_add_co_ci_u32_e64 v39, null, s7, v37, vcc_lo
	s_delay_alu instid0(VALU_DEP_3)
	v_lshlrev_b64_e32 v[40:41], 3, v[0:1]
	v_add_co_u32 v36, vcc_lo, s8, v36
	global_load_b64 v[38:39], v[38:39], off
	s_wait_alu 0xfffd
	v_add_co_ci_u32_e64 v37, null, s9, v37, vcc_lo
	v_add_co_u32 v10, vcc_lo, s10, v10
	s_wait_alu 0xfffd
	v_add_co_ci_u32_e64 v11, null, s11, v11, vcc_lo
	v_add_co_u32 v40, vcc_lo, s10, v40
	s_wait_alu 0xfffd
	v_add_co_ci_u32_e64 v41, null, s11, v41, vcc_lo
	v_add_nc_u32_e32 v0, s4, v0
	global_load_b64 v[40:41], v[40:41], off
	v_min_num_f64_e32 v[32:33], s[0:1], v[32:33]
	s_wait_loadcnt 0x1
	s_delay_alu instid0(VALU_DEP_1)
	v_mul_f64_e32 v[32:33], v[38:39], v[32:33]
	s_wait_loadcnt 0x0
	v_div_scale_f64 v[42:43], null, v[40:41], v[40:41], 1.0
	global_store_b64 v[36:37], v[32:33], off
	global_load_b64 v[36:37], v[10:11], off
	v_rcp_f64_e32 v[44:45], v[42:43]
	s_delay_alu instid0(TRANS32_DEP_1) | instskip(NEXT) | instid1(VALU_DEP_1)
	v_fma_f64 v[46:47], -v[42:43], v[44:45], 1.0
	v_fma_f64 v[44:45], v[44:45], v[46:47], v[44:45]
	s_delay_alu instid0(VALU_DEP_1) | instskip(NEXT) | instid1(VALU_DEP_1)
	v_fma_f64 v[46:47], -v[42:43], v[44:45], 1.0
	v_fma_f64 v[44:45], v[44:45], v[46:47], v[44:45]
	v_div_scale_f64 v[46:47], vcc_lo, 1.0, v[40:41], 1.0
	s_delay_alu instid0(VALU_DEP_1) | instskip(NEXT) | instid1(VALU_DEP_1)
	v_mul_f64_e32 v[48:49], v[46:47], v[44:45]
	v_fma_f64 v[42:43], -v[42:43], v[48:49], v[46:47]
	s_wait_alu 0xfffd
	s_delay_alu instid0(VALU_DEP_1) | instskip(SKIP_2) | instid1(VALU_DEP_2)
	v_div_fmas_f64 v[42:43], v[42:43], v[44:45], v[48:49]
	v_lshlrev_b64_e32 v[44:45], 3, v[0:1]
	v_mul_f64_e32 v[49:50], v[16:17], v[30:31]
	v_add_co_u32 v46, vcc_lo, s6, v44
	s_wait_alu 0xfffd
	s_delay_alu instid0(VALU_DEP_3)
	v_add_co_ci_u32_e64 v47, null, s7, v45, vcc_lo
	v_add_co_u32 v44, vcc_lo, s8, v44
	s_wait_alu 0xfffd
	v_add_co_ci_u32_e64 v45, null, s9, v45, vcc_lo
	global_load_b64 v[46:47], v[46:47], off
	s_wait_loadcnt 0x1
	v_mul_f64_e32 v[38:39], v[26:27], v[36:37]
	v_div_fixup_f64 v[42:43], v[42:43], v[40:41], 1.0
	v_div_scale_f64 v[51:52], null, v[49:50], v[49:50], 1.0
	s_delay_alu instid0(VALU_DEP_3) | instskip(NEXT) | instid1(VALU_DEP_2)
	v_mul_f64_e32 v[32:33], v[4:5], v[38:39]
	v_rcp_f64_e32 v[53:54], v[51:52]
	s_delay_alu instid0(VALU_DEP_1) | instskip(NEXT) | instid1(TRANS32_DEP_1)
	v_mul_f64_e32 v[32:33], v[32:33], v[42:43]
	v_fma_f64 v[55:56], -v[51:52], v[53:54], 1.0
	s_delay_alu instid0(VALU_DEP_2) | instskip(NEXT) | instid1(VALU_DEP_2)
	v_min_num_f64_e32 v[32:33], s[0:1], v[32:33]
	v_fma_f64 v[53:54], v[53:54], v[55:56], v[53:54]
	s_delay_alu instid0(VALU_DEP_1) | instskip(NEXT) | instid1(VALU_DEP_1)
	v_fma_f64 v[55:56], -v[51:52], v[53:54], 1.0
	v_fma_f64 v[53:54], v[53:54], v[55:56], v[53:54]
	s_wait_loadcnt 0x0
	s_delay_alu instid0(VALU_DEP_4) | instskip(SKIP_2) | instid1(VALU_DEP_1)
	v_mul_f64_e32 v[32:33], v[46:47], v[32:33]
	global_store_b64 v[44:45], v[32:33], off
	v_mad_co_u64_u32 v[44:45], null, 0xffffffe5, s2, v[0:1]
	v_dual_mov_b32 v45, v1 :: v_dual_add_nc_u32 v0, s12, v44
	s_delay_alu instid0(VALU_DEP_1) | instskip(NEXT) | instid1(VALU_DEP_1)
	v_lshlrev_b64_e32 v[32:33], 3, v[44:45]
	v_add_co_u32 v32, vcc_lo, s10, v32
	s_wait_alu 0xfffd
	s_delay_alu instid0(VALU_DEP_2) | instskip(SKIP_3) | instid1(VALU_DEP_1)
	v_add_co_ci_u32_e64 v33, null, s11, v33, vcc_lo
	v_div_scale_f64 v[55:56], vcc_lo, 1.0, v[49:50], 1.0
	global_load_b64 v[45:46], v[32:33], off
	v_mul_f64_e32 v[57:58], v[55:56], v[53:54]
	v_fma_f64 v[51:52], -v[51:52], v[57:58], v[55:56]
	s_wait_alu 0xfffd
	s_delay_alu instid0(VALU_DEP_1) | instskip(NEXT) | instid1(VALU_DEP_1)
	v_div_fmas_f64 v[51:52], v[51:52], v[53:54], v[57:58]
	v_div_fixup_f64 v[49:50], v[51:52], v[49:50], 1.0
	s_wait_loadcnt 0x0
	v_mul_f64_e32 v[47:48], v[26:27], v[45:46]
	s_delay_alu instid0(VALU_DEP_1) | instskip(SKIP_2) | instid1(VALU_DEP_2)
	v_mul_f64_e32 v[47:48], v[49:50], v[47:48]
	v_lshlrev_b64_e32 v[49:50], 3, v[0:1]
	v_add_nc_u32_e32 v0, s2, v0
	v_add_co_u32 v51, vcc_lo, s6, v49
	s_wait_alu 0xfffd
	s_delay_alu instid0(VALU_DEP_3)
	v_add_co_ci_u32_e64 v52, null, s7, v50, vcc_lo
	v_add_co_u32 v49, vcc_lo, s8, v49
	s_wait_alu 0xfffd
	v_add_co_ci_u32_e64 v50, null, s9, v50, vcc_lo
	global_load_b64 v[51:52], v[51:52], off
	v_min_num_f64_e32 v[47:48], s[0:1], v[47:48]
	s_wait_loadcnt 0x0
	s_delay_alu instid0(VALU_DEP_1) | instskip(SKIP_2) | instid1(VALU_DEP_1)
	v_mul_f64_e32 v[47:48], v[51:52], v[47:48]
	global_store_b64 v[49:50], v[47:48], off
	v_mul_f64_e32 v[47:48], v[8:9], v[30:31]
	v_div_scale_f64 v[49:50], null, v[47:48], v[47:48], 1.0
	s_delay_alu instid0(VALU_DEP_1) | instskip(NEXT) | instid1(TRANS32_DEP_1)
	v_rcp_f64_e32 v[51:52], v[49:50]
	v_fma_f64 v[53:54], -v[49:50], v[51:52], 1.0
	s_delay_alu instid0(VALU_DEP_1) | instskip(NEXT) | instid1(VALU_DEP_1)
	v_fma_f64 v[51:52], v[51:52], v[53:54], v[51:52]
	v_fma_f64 v[53:54], -v[49:50], v[51:52], 1.0
	s_delay_alu instid0(VALU_DEP_1) | instskip(SKIP_1) | instid1(VALU_DEP_1)
	v_fma_f64 v[51:52], v[51:52], v[53:54], v[51:52]
	v_div_scale_f64 v[53:54], vcc_lo, 1.0, v[47:48], 1.0
	v_mul_f64_e32 v[55:56], v[53:54], v[51:52]
	s_delay_alu instid0(VALU_DEP_1) | instskip(SKIP_1) | instid1(VALU_DEP_1)
	v_fma_f64 v[49:50], -v[49:50], v[55:56], v[53:54]
	s_wait_alu 0xfffd
	v_div_fmas_f64 v[49:50], v[49:50], v[51:52], v[55:56]
	v_mul_f64_e32 v[51:52], v[26:27], v[34:35]
	s_delay_alu instid0(VALU_DEP_2) | instskip(NEXT) | instid1(VALU_DEP_2)
	v_div_fixup_f64 v[47:48], v[49:50], v[47:48], 1.0
	v_div_scale_f64 v[53:54], null, v[51:52], v[51:52], 1.0
	s_delay_alu instid0(VALU_DEP_2) | instskip(SKIP_1) | instid1(VALU_DEP_3)
	v_mul_f64_e32 v[14:15], v[14:15], v[47:48]
	v_lshlrev_b64_e32 v[47:48], 3, v[0:1]
	v_rcp_f64_e32 v[55:56], v[53:54]
	s_delay_alu instid0(VALU_DEP_1) | instskip(SKIP_1) | instid1(VALU_DEP_2)
	v_add_co_u32 v49, vcc_lo, s6, v47
	s_wait_alu 0xfffd
	v_add_co_ci_u32_e64 v50, null, s7, v48, vcc_lo
	v_add_co_u32 v47, vcc_lo, s8, v47
	s_wait_alu 0xfffd
	v_add_co_ci_u32_e64 v48, null, s9, v48, vcc_lo
	global_load_b64 v[49:50], v[49:50], off
	v_min_num_f64_e32 v[14:15], s[0:1], v[14:15]
	v_fma_f64 v[57:58], -v[53:54], v[55:56], 1.0
	s_delay_alu instid0(VALU_DEP_1) | instskip(NEXT) | instid1(VALU_DEP_1)
	v_fma_f64 v[55:56], v[55:56], v[57:58], v[55:56]
	v_fma_f64 v[57:58], -v[53:54], v[55:56], 1.0
	s_delay_alu instid0(VALU_DEP_1)
	v_fma_f64 v[55:56], v[55:56], v[57:58], v[55:56]
	s_wait_loadcnt 0x0
	v_mul_f64_e32 v[14:15], v[14:15], v[49:50]
	global_store_b64 v[47:48], v[14:15], off
	v_mad_co_u64_u32 v[14:15], null, 0xffffffe8, s2, v[0:1]
	v_mov_b32_e32 v15, v1
	s_delay_alu instid0(VALU_DEP_1) | instskip(SKIP_2) | instid1(VALU_DEP_3)
	v_lshlrev_b64_e32 v[47:48], 3, v[14:15]
	v_mad_co_u64_u32 v[14:15], null, s2, 25, v[14:15]
	v_mov_b32_e32 v15, v1
	v_add_co_u32 v47, vcc_lo, s10, v47
	s_wait_alu 0xfffd
	s_delay_alu instid0(VALU_DEP_4) | instskip(SKIP_3) | instid1(VALU_DEP_1)
	v_add_co_ci_u32_e64 v48, null, s11, v48, vcc_lo
	v_div_scale_f64 v[57:58], vcc_lo, 1.0, v[51:52], 1.0
	global_load_b64 v[47:48], v[47:48], off
	v_mul_f64_e32 v[59:60], v[57:58], v[55:56]
	v_fma_f64 v[53:54], -v[53:54], v[59:60], v[57:58]
	s_wait_alu 0xfffd
	s_delay_alu instid0(VALU_DEP_1) | instskip(NEXT) | instid1(VALU_DEP_1)
	v_div_fmas_f64 v[53:54], v[53:54], v[55:56], v[59:60]
	v_div_fixup_f64 v[51:52], v[53:54], v[51:52], 1.0
	s_wait_loadcnt 0x0
	v_mul_f64_e32 v[49:50], v[16:17], v[47:48]
	v_mul_f64_e32 v[36:37], v[36:37], v[47:48]
	;; [unrolled: 1-line block ×3, first 2 shown]
	s_delay_alu instid0(VALU_DEP_3) | instskip(SKIP_3) | instid1(VALU_DEP_3)
	v_mul_f64_e32 v[49:50], v[51:52], v[49:50]
	v_lshlrev_b64_e32 v[51:52], 3, v[14:15]
	v_mad_co_u64_u32 v[14:15], null, 0xffffffee, s2, v[14:15]
	v_mov_b32_e32 v15, v1
	v_add_co_u32 v53, vcc_lo, s6, v51
	s_wait_alu 0xfffd
	s_delay_alu instid0(VALU_DEP_4)
	v_add_co_ci_u32_e64 v54, null, s7, v52, vcc_lo
	v_add_co_u32 v51, vcc_lo, s8, v51
	v_add_nc_u32_e32 v0, s3, v14
	s_wait_alu 0xfffd
	v_add_co_ci_u32_e64 v52, null, s9, v52, vcc_lo
	global_load_b64 v[53:54], v[53:54], off
	v_min_num_f64_e32 v[49:50], s[0:1], v[49:50]
	s_wait_loadcnt 0x0
	s_delay_alu instid0(VALU_DEP_1) | instskip(SKIP_4) | instid1(VALU_DEP_2)
	v_mul_f64_e32 v[49:50], v[53:54], v[49:50]
	global_store_b64 v[51:52], v[49:50], off
	v_mul_f64_e32 v[49:50], v[8:9], v[47:48]
	v_lshlrev_b64_e32 v[8:9], 3, v[14:15]
	v_lshlrev_b64_e32 v[14:15], 3, v[0:1]
	v_add_co_u32 v8, vcc_lo, s10, v8
	s_wait_alu 0xfffd
	s_delay_alu instid0(VALU_DEP_3) | instskip(SKIP_4) | instid1(VALU_DEP_2)
	v_add_co_ci_u32_e64 v9, null, s11, v9, vcc_lo
	global_load_b64 v[51:52], v[8:9], off
	s_wait_loadcnt 0x0
	v_mul_f64_e32 v[53:54], v[34:35], v[51:52]
	v_mul_f64_e32 v[16:17], v[16:17], v[51:52]
	v_div_scale_f64 v[55:56], null, v[53:54], v[53:54], 1.0
	s_delay_alu instid0(VALU_DEP_1) | instskip(NEXT) | instid1(TRANS32_DEP_1)
	v_rcp_f64_e32 v[57:58], v[55:56]
	v_fma_f64 v[59:60], -v[55:56], v[57:58], 1.0
	s_delay_alu instid0(VALU_DEP_1) | instskip(NEXT) | instid1(VALU_DEP_1)
	v_fma_f64 v[57:58], v[57:58], v[59:60], v[57:58]
	v_fma_f64 v[59:60], -v[55:56], v[57:58], 1.0
	s_delay_alu instid0(VALU_DEP_1) | instskip(SKIP_1) | instid1(VALU_DEP_1)
	v_fma_f64 v[57:58], v[57:58], v[59:60], v[57:58]
	v_div_scale_f64 v[59:60], vcc_lo, 1.0, v[53:54], 1.0
	v_mul_f64_e32 v[61:62], v[59:60], v[57:58]
	s_delay_alu instid0(VALU_DEP_1) | instskip(SKIP_1) | instid1(VALU_DEP_1)
	v_fma_f64 v[55:56], -v[55:56], v[61:62], v[59:60]
	s_wait_alu 0xfffd
	v_div_fmas_f64 v[55:56], v[55:56], v[57:58], v[61:62]
	s_delay_alu instid0(VALU_DEP_1) | instskip(NEXT) | instid1(VALU_DEP_1)
	v_div_fixup_f64 v[55:56], v[55:56], v[53:54], 1.0
	v_mul_f64_e32 v[49:50], v[49:50], v[55:56]
	v_add_co_u32 v55, vcc_lo, s6, v14
	s_wait_alu 0xfffd
	v_add_co_ci_u32_e64 v56, null, s7, v15, vcc_lo
	v_add_co_u32 v14, vcc_lo, s8, v14
	s_wait_alu 0xfffd
	v_add_co_ci_u32_e64 v15, null, s9, v15, vcc_lo
	global_load_b64 v[55:56], v[55:56], off
	v_min_num_f64_e32 v[49:50], s[0:1], v[49:50]
	s_wait_loadcnt 0x0
	s_delay_alu instid0(VALU_DEP_1) | instskip(SKIP_3) | instid1(VALU_DEP_1)
	v_mul_f64_e32 v[49:50], v[55:56], v[49:50]
	global_store_b64 v[14:15], v[49:50], off
	v_mad_co_u64_u32 v[49:50], null, 0xffffffe7, s2, v[0:1]
	v_mov_b32_e32 v50, v1
	v_lshlrev_b64_e32 v[14:15], 3, v[49:50]
	v_mad_co_u64_u32 v[49:50], null, s2, 26, v[49:50]
	v_mov_b32_e32 v50, v1
	s_delay_alu instid0(VALU_DEP_3) | instskip(SKIP_1) | instid1(VALU_DEP_4)
	v_add_co_u32 v14, vcc_lo, s10, v14
	s_wait_alu 0xfffd
	v_add_co_ci_u32_e64 v15, null, s11, v15, vcc_lo
	s_delay_alu instid0(VALU_DEP_4) | instskip(SKIP_4) | instid1(VALU_DEP_2)
	v_add_nc_u32_e32 v0, s2, v49
	global_load_b64 v[55:56], v[14:15], off
	s_wait_loadcnt 0x0
	v_mul_f64_e32 v[55:56], v[34:35], v[55:56]
	v_mul_f64_e32 v[34:35], v[34:35], v[40:41]
	v_div_scale_f64 v[57:58], null, v[55:56], v[55:56], 1.0
	s_delay_alu instid0(VALU_DEP_1) | instskip(NEXT) | instid1(TRANS32_DEP_1)
	v_rcp_f64_e32 v[59:60], v[57:58]
	v_fma_f64 v[61:62], -v[57:58], v[59:60], 1.0
	s_delay_alu instid0(VALU_DEP_1) | instskip(NEXT) | instid1(VALU_DEP_1)
	v_fma_f64 v[59:60], v[59:60], v[61:62], v[59:60]
	v_fma_f64 v[61:62], -v[57:58], v[59:60], 1.0
	s_delay_alu instid0(VALU_DEP_1) | instskip(SKIP_1) | instid1(VALU_DEP_1)
	v_fma_f64 v[59:60], v[59:60], v[61:62], v[59:60]
	v_div_scale_f64 v[61:62], vcc_lo, 1.0, v[55:56], 1.0
	v_mul_f64_e32 v[63:64], v[61:62], v[59:60]
	s_delay_alu instid0(VALU_DEP_1) | instskip(SKIP_1) | instid1(VALU_DEP_1)
	v_fma_f64 v[57:58], -v[57:58], v[63:64], v[61:62]
	s_wait_alu 0xfffd
	v_div_fmas_f64 v[57:58], v[57:58], v[59:60], v[63:64]
	s_delay_alu instid0(VALU_DEP_1) | instskip(NEXT) | instid1(VALU_DEP_1)
	v_div_fixup_f64 v[55:56], v[57:58], v[55:56], 1.0
	v_mul_f64_e32 v[36:37], v[36:37], v[55:56]
	v_lshlrev_b64_e32 v[55:56], 3, v[49:50]
	s_delay_alu instid0(VALU_DEP_1) | instskip(SKIP_1) | instid1(VALU_DEP_2)
	v_add_co_u32 v57, vcc_lo, s6, v55
	s_wait_alu 0xfffd
	v_add_co_ci_u32_e64 v58, null, s7, v56, vcc_lo
	v_add_co_u32 v55, vcc_lo, s8, v55
	s_wait_alu 0xfffd
	v_add_co_ci_u32_e64 v56, null, s9, v56, vcc_lo
	global_load_b64 v[57:58], v[57:58], off
	v_min_num_f64_e32 v[36:37], s[0:1], v[36:37]
	s_wait_loadcnt 0x0
	s_delay_alu instid0(VALU_DEP_1) | instskip(SKIP_2) | instid1(VALU_DEP_1)
	v_mul_f64_e32 v[36:37], v[57:58], v[36:37]
	global_store_b64 v[55:56], v[36:37], off
	v_div_scale_f64 v[36:37], null, v[34:35], v[34:35], 1.0
	v_rcp_f64_e32 v[40:41], v[36:37]
	s_delay_alu instid0(TRANS32_DEP_1) | instskip(NEXT) | instid1(VALU_DEP_1)
	v_fma_f64 v[55:56], -v[36:37], v[40:41], 1.0
	v_fma_f64 v[40:41], v[40:41], v[55:56], v[40:41]
	s_delay_alu instid0(VALU_DEP_1) | instskip(NEXT) | instid1(VALU_DEP_1)
	v_fma_f64 v[55:56], -v[36:37], v[40:41], 1.0
	v_fma_f64 v[40:41], v[40:41], v[55:56], v[40:41]
	v_div_scale_f64 v[55:56], vcc_lo, 1.0, v[34:35], 1.0
	s_delay_alu instid0(VALU_DEP_1) | instskip(NEXT) | instid1(VALU_DEP_1)
	v_mul_f64_e32 v[57:58], v[55:56], v[40:41]
	v_fma_f64 v[36:37], -v[36:37], v[57:58], v[55:56]
	s_wait_alu 0xfffd
	s_delay_alu instid0(VALU_DEP_1) | instskip(NEXT) | instid1(VALU_DEP_1)
	v_div_fmas_f64 v[36:37], v[36:37], v[40:41], v[57:58]
	v_div_fixup_f64 v[34:35], v[36:37], v[34:35], 1.0
	s_delay_alu instid0(VALU_DEP_1) | instskip(SKIP_2) | instid1(VALU_DEP_2)
	v_mul_f64_e32 v[24:25], v[34:35], v[24:25]
	v_lshlrev_b64_e32 v[34:35], 3, v[0:1]
	v_add_nc_u32_e32 v0, s2, v0
	v_add_co_u32 v36, vcc_lo, s6, v34
	s_wait_alu 0xfffd
	s_delay_alu instid0(VALU_DEP_3)
	v_add_co_ci_u32_e64 v37, null, s7, v35, vcc_lo
	v_add_co_u32 v34, vcc_lo, s8, v34
	s_wait_alu 0xfffd
	v_add_co_ci_u32_e64 v35, null, s9, v35, vcc_lo
	global_load_b64 v[36:37], v[36:37], off
	v_min_num_f64_e32 v[24:25], s[0:1], v[24:25]
	s_wait_loadcnt 0x0
	s_delay_alu instid0(VALU_DEP_1) | instskip(SKIP_3) | instid1(VALU_DEP_2)
	v_mul_f64_e32 v[24:25], v[24:25], v[36:37]
	global_store_b64 v[34:35], v[24:25], off
	v_div_scale_f64 v[34:35], null, v[16:17], v[16:17], 1.0
	v_mul_f64_e32 v[24:25], v[45:46], v[47:48]
	v_rcp_f64_e32 v[36:37], v[34:35]
	s_delay_alu instid0(TRANS32_DEP_1) | instskip(NEXT) | instid1(VALU_DEP_1)
	v_fma_f64 v[40:41], -v[34:35], v[36:37], 1.0
	v_fma_f64 v[36:37], v[36:37], v[40:41], v[36:37]
	s_delay_alu instid0(VALU_DEP_1) | instskip(NEXT) | instid1(VALU_DEP_1)
	v_fma_f64 v[40:41], -v[34:35], v[36:37], 1.0
	v_fma_f64 v[36:37], v[36:37], v[40:41], v[36:37]
	v_div_scale_f64 v[40:41], vcc_lo, 1.0, v[16:17], 1.0
	s_delay_alu instid0(VALU_DEP_1) | instskip(NEXT) | instid1(VALU_DEP_1)
	v_mul_f64_e32 v[44:45], v[40:41], v[36:37]
	v_fma_f64 v[34:35], -v[34:35], v[44:45], v[40:41]
	s_wait_alu 0xfffd
	s_delay_alu instid0(VALU_DEP_1) | instskip(NEXT) | instid1(VALU_DEP_1)
	v_div_fmas_f64 v[34:35], v[34:35], v[36:37], v[44:45]
	v_div_fixup_f64 v[16:17], v[34:35], v[16:17], 1.0
	s_delay_alu instid0(VALU_DEP_1) | instskip(SKIP_2) | instid1(VALU_DEP_2)
	v_mul_f64_e32 v[16:17], v[24:25], v[16:17]
	v_lshlrev_b64_e32 v[24:25], 3, v[0:1]
	v_add_nc_u32_e32 v0, s5, v0
	v_add_co_u32 v34, vcc_lo, s6, v24
	s_wait_alu 0xfffd
	s_delay_alu instid0(VALU_DEP_3)
	v_add_co_ci_u32_e64 v35, null, s7, v25, vcc_lo
	v_add_co_u32 v24, vcc_lo, s8, v24
	s_wait_alu 0xfffd
	v_add_co_ci_u32_e64 v25, null, s9, v25, vcc_lo
	global_load_b64 v[34:35], v[34:35], off
	v_min_num_f64_e32 v[16:17], s[0:1], v[16:17]
	s_wait_loadcnt 0x0
	s_delay_alu instid0(VALU_DEP_1) | instskip(SKIP_4) | instid1(VALU_DEP_3)
	v_mul_f64_e32 v[16:17], v[16:17], v[34:35]
	global_store_b64 v[24:25], v[16:17], off
	v_lshlrev_b64_e32 v[24:25], 3, v[0:1]
	v_mul_f64_e32 v[16:17], v[26:27], v[47:48]
	v_add_nc_u32_e32 v0, s4, v0
	v_add_co_u32 v24, vcc_lo, s10, v24
	s_wait_alu 0xfffd
	s_delay_alu instid0(VALU_DEP_4) | instskip(SKIP_4) | instid1(VALU_DEP_1)
	v_add_co_ci_u32_e64 v25, null, s11, v25, vcc_lo
	global_load_b64 v[24:25], v[24:25], off
	v_mul_f64_e32 v[16:17], v[4:5], v[16:17]
	s_wait_loadcnt 0x0
	v_div_scale_f64 v[34:35], null, v[24:25], v[24:25], 1.0
	v_rcp_f64_e32 v[36:37], v[34:35]
	s_delay_alu instid0(TRANS32_DEP_1) | instskip(NEXT) | instid1(VALU_DEP_1)
	v_fma_f64 v[40:41], -v[34:35], v[36:37], 1.0
	v_fma_f64 v[36:37], v[36:37], v[40:41], v[36:37]
	s_delay_alu instid0(VALU_DEP_1) | instskip(NEXT) | instid1(VALU_DEP_1)
	v_fma_f64 v[40:41], -v[34:35], v[36:37], 1.0
	v_fma_f64 v[36:37], v[36:37], v[40:41], v[36:37]
	v_div_scale_f64 v[40:41], vcc_lo, 1.0, v[24:25], 1.0
	s_delay_alu instid0(VALU_DEP_1) | instskip(NEXT) | instid1(VALU_DEP_1)
	v_mul_f64_e32 v[44:45], v[40:41], v[36:37]
	v_fma_f64 v[34:35], -v[34:35], v[44:45], v[40:41]
	s_wait_alu 0xfffd
	s_delay_alu instid0(VALU_DEP_1) | instskip(NEXT) | instid1(VALU_DEP_1)
	v_div_fmas_f64 v[34:35], v[34:35], v[36:37], v[44:45]
	v_div_fixup_f64 v[24:25], v[34:35], v[24:25], 1.0
	s_delay_alu instid0(VALU_DEP_1) | instskip(SKIP_2) | instid1(VALU_DEP_2)
	v_mul_f64_e32 v[16:17], v[16:17], v[24:25]
	v_lshlrev_b64_e32 v[24:25], 3, v[0:1]
	v_add_nc_u32_e32 v0, s2, v0
	v_add_co_u32 v34, vcc_lo, s6, v24
	s_wait_alu 0xfffd
	s_delay_alu instid0(VALU_DEP_3)
	v_add_co_ci_u32_e64 v35, null, s7, v25, vcc_lo
	v_add_co_u32 v24, vcc_lo, s8, v24
	s_wait_alu 0xfffd
	v_add_co_ci_u32_e64 v25, null, s9, v25, vcc_lo
	global_load_b64 v[34:35], v[34:35], off
	v_min_num_f64_e32 v[16:17], s[0:1], v[16:17]
	s_wait_loadcnt 0x0
	s_delay_alu instid0(VALU_DEP_1) | instskip(SKIP_3) | instid1(VALU_DEP_2)
	v_mul_f64_e32 v[16:17], v[34:35], v[16:17]
	global_store_b64 v[24:25], v[16:17], off
	v_mul_f64_e32 v[24:25], v[26:27], v[51:52]
	v_mul_f64_e32 v[16:17], v[30:31], v[47:48]
	v_div_scale_f64 v[26:27], null, v[24:25], v[24:25], 1.0
	s_delay_alu instid0(VALU_DEP_1) | instskip(NEXT) | instid1(TRANS32_DEP_1)
	v_rcp_f64_e32 v[30:31], v[26:27]
	v_fma_f64 v[34:35], -v[26:27], v[30:31], 1.0
	s_delay_alu instid0(VALU_DEP_1) | instskip(NEXT) | instid1(VALU_DEP_1)
	v_fma_f64 v[30:31], v[30:31], v[34:35], v[30:31]
	v_fma_f64 v[34:35], -v[26:27], v[30:31], 1.0
	s_delay_alu instid0(VALU_DEP_1) | instskip(SKIP_1) | instid1(VALU_DEP_1)
	v_fma_f64 v[30:31], v[30:31], v[34:35], v[30:31]
	v_div_scale_f64 v[34:35], vcc_lo, 1.0, v[24:25], 1.0
	v_mul_f64_e32 v[36:37], v[34:35], v[30:31]
	s_delay_alu instid0(VALU_DEP_1) | instskip(SKIP_1) | instid1(VALU_DEP_1)
	v_fma_f64 v[26:27], -v[26:27], v[36:37], v[34:35]
	s_wait_alu 0xfffd
	v_div_fmas_f64 v[26:27], v[26:27], v[30:31], v[36:37]
	s_delay_alu instid0(VALU_DEP_1) | instskip(NEXT) | instid1(VALU_DEP_1)
	v_div_fixup_f64 v[24:25], v[26:27], v[24:25], 1.0
	v_mul_f64_e32 v[16:17], v[16:17], v[24:25]
	v_lshlrev_b64_e32 v[24:25], 3, v[0:1]
	v_add_nc_u32_e32 v0, s2, v0
	s_delay_alu instid0(VALU_DEP_2) | instskip(SKIP_1) | instid1(VALU_DEP_3)
	v_add_co_u32 v26, vcc_lo, s6, v24
	s_wait_alu 0xfffd
	v_add_co_ci_u32_e64 v27, null, s7, v25, vcc_lo
	v_add_co_u32 v24, vcc_lo, s8, v24
	s_wait_alu 0xfffd
	v_add_co_ci_u32_e64 v25, null, s9, v25, vcc_lo
	global_load_b64 v[26:27], v[26:27], off
	v_min_num_f64_e32 v[16:17], s[0:1], v[16:17]
	s_wait_loadcnt 0x0
	s_delay_alu instid0(VALU_DEP_1) | instskip(SKIP_4) | instid1(VALU_DEP_3)
	v_mul_f64_e32 v[16:17], v[16:17], v[26:27]
	global_store_b64 v[24:25], v[16:17], off
	v_lshlrev_b64_e32 v[24:25], 3, v[0:1]
	v_mul_f64_e32 v[16:17], v[4:5], v[53:54]
	v_add_nc_u32_e32 v0, s2, v0
	v_add_co_u32 v26, vcc_lo, s6, v24
	s_wait_alu 0xfffd
	s_delay_alu instid0(VALU_DEP_4)
	v_add_co_ci_u32_e64 v27, null, s7, v25, vcc_lo
	v_add_co_u32 v24, vcc_lo, s8, v24
	s_wait_alu 0xfffd
	v_add_co_ci_u32_e64 v25, null, s9, v25, vcc_lo
	global_load_b64 v[26:27], v[26:27], off
	v_mul_f64_e32 v[16:17], v[42:43], v[16:17]
	s_delay_alu instid0(VALU_DEP_1) | instskip(SKIP_1) | instid1(VALU_DEP_1)
	v_min_num_f64_e32 v[16:17], s[0:1], v[16:17]
	s_wait_loadcnt 0x0
	v_mul_f64_e32 v[16:17], v[16:17], v[26:27]
	global_store_b64 v[24:25], v[16:17], off
	v_div_scale_f64 v[16:17], null, v[38:39], v[38:39], 1.0
	s_delay_alu instid0(VALU_DEP_1) | instskip(NEXT) | instid1(TRANS32_DEP_1)
	v_rcp_f64_e32 v[24:25], v[16:17]
	v_fma_f64 v[26:27], -v[16:17], v[24:25], 1.0
	s_delay_alu instid0(VALU_DEP_1) | instskip(NEXT) | instid1(VALU_DEP_1)
	v_fma_f64 v[24:25], v[24:25], v[26:27], v[24:25]
	v_fma_f64 v[26:27], -v[16:17], v[24:25], 1.0
	s_delay_alu instid0(VALU_DEP_1) | instskip(SKIP_1) | instid1(VALU_DEP_1)
	v_fma_f64 v[24:25], v[24:25], v[26:27], v[24:25]
	v_div_scale_f64 v[26:27], vcc_lo, 1.0, v[38:39], 1.0
	v_mul_f64_e32 v[30:31], v[26:27], v[24:25]
	s_delay_alu instid0(VALU_DEP_1) | instskip(SKIP_1) | instid1(VALU_DEP_1)
	v_fma_f64 v[16:17], -v[16:17], v[30:31], v[26:27]
	s_wait_alu 0xfffd
	v_div_fmas_f64 v[16:17], v[16:17], v[24:25], v[30:31]
	v_lshlrev_b64_e32 v[24:25], 3, v[0:1]
	v_add_nc_u32_e32 v0, s2, v0
	s_delay_alu instid0(VALU_DEP_2) | instskip(SKIP_1) | instid1(VALU_DEP_3)
	v_add_co_u32 v26, vcc_lo, s6, v24
	s_wait_alu 0xfffd
	v_add_co_ci_u32_e64 v27, null, s7, v25, vcc_lo
	v_add_co_u32 v24, vcc_lo, s8, v24
	s_wait_alu 0xfffd
	v_add_co_ci_u32_e64 v25, null, s9, v25, vcc_lo
	global_load_b64 v[26:27], v[26:27], off
	v_div_fixup_f64 v[16:17], v[16:17], v[38:39], 1.0
	s_delay_alu instid0(VALU_DEP_1) | instskip(NEXT) | instid1(VALU_DEP_1)
	v_mul_f64_e32 v[16:17], v[16:17], v[53:54]
	v_min_num_f64_e32 v[16:17], s[0:1], v[16:17]
	s_wait_loadcnt 0x0
	s_delay_alu instid0(VALU_DEP_1)
	v_mul_f64_e32 v[16:17], v[16:17], v[26:27]
	global_store_b64 v[24:25], v[16:17], off
	s_clause 0x1
	global_load_b64 v[16:17], v[2:3], off
	global_load_b64 v[24:25], v[8:9], off
	s_wait_loadcnt 0x0
	v_mul_f64_e32 v[26:27], v[16:17], v[24:25]
	s_clause 0x1
	global_load_b64 v[30:31], v[12:13], off
	global_load_b64 v[16:17], v[22:23], off
	s_wait_loadcnt 0x0
	v_mul_f64_e32 v[12:13], v[30:31], v[16:17]
	s_delay_alu instid0(VALU_DEP_1) | instskip(NEXT) | instid1(VALU_DEP_1)
	v_div_scale_f64 v[22:23], null, v[12:13], v[12:13], 1.0
	v_rcp_f64_e32 v[34:35], v[22:23]
	s_delay_alu instid0(TRANS32_DEP_1) | instskip(NEXT) | instid1(VALU_DEP_1)
	v_fma_f64 v[36:37], -v[22:23], v[34:35], 1.0
	v_fma_f64 v[34:35], v[34:35], v[36:37], v[34:35]
	s_delay_alu instid0(VALU_DEP_1) | instskip(NEXT) | instid1(VALU_DEP_1)
	v_fma_f64 v[36:37], -v[22:23], v[34:35], 1.0
	v_fma_f64 v[34:35], v[34:35], v[36:37], v[34:35]
	v_div_scale_f64 v[36:37], vcc_lo, 1.0, v[12:13], 1.0
	s_delay_alu instid0(VALU_DEP_1) | instskip(NEXT) | instid1(VALU_DEP_1)
	v_mul_f64_e32 v[38:39], v[36:37], v[34:35]
	v_fma_f64 v[22:23], -v[22:23], v[38:39], v[36:37]
	s_wait_alu 0xfffd
	s_delay_alu instid0(VALU_DEP_1) | instskip(NEXT) | instid1(VALU_DEP_1)
	v_div_fmas_f64 v[22:23], v[22:23], v[34:35], v[38:39]
	v_div_fixup_f64 v[12:13], v[22:23], v[12:13], 1.0
	v_lshlrev_b64_e32 v[22:23], 3, v[0:1]
	v_add_nc_u32_e32 v0, s2, v0
	s_delay_alu instid0(VALU_DEP_2) | instskip(SKIP_1) | instid1(VALU_DEP_3)
	v_add_co_u32 v34, vcc_lo, s6, v22
	s_wait_alu 0xfffd
	v_add_co_ci_u32_e64 v35, null, s7, v23, vcc_lo
	v_add_co_u32 v22, vcc_lo, s8, v22
	s_wait_alu 0xfffd
	v_add_co_ci_u32_e64 v23, null, s9, v23, vcc_lo
	global_load_b64 v[34:35], v[34:35], off
	v_mul_f64_e32 v[12:13], v[26:27], v[12:13]
	s_delay_alu instid0(VALU_DEP_1) | instskip(SKIP_1) | instid1(VALU_DEP_1)
	v_min_num_f64_e32 v[12:13], s[0:1], v[12:13]
	s_wait_loadcnt 0x0
	v_mul_f64_e32 v[12:13], v[34:35], v[12:13]
	global_store_b64 v[22:23], v[12:13], off
	s_clause 0x4
	global_load_b64 v[12:13], v[28:29], off
	global_load_b64 v[20:21], v[20:21], off
	;; [unrolled: 1-line block ×5, first 2 shown]
	s_wait_loadcnt 0x3
	v_mul_f64_e32 v[20:21], v[12:13], v[20:21]
	s_wait_loadcnt 0x2
	v_mul_f64_e32 v[18:19], v[18:19], v[16:17]
	;; [unrolled: 2-line block ×3, first 2 shown]
	s_delay_alu instid0(VALU_DEP_3) | instskip(NEXT) | instid1(VALU_DEP_1)
	v_div_scale_f64 v[22:23], null, v[20:21], v[20:21], 1.0
	v_rcp_f64_e32 v[28:29], v[22:23]
	s_delay_alu instid0(TRANS32_DEP_1) | instskip(NEXT) | instid1(VALU_DEP_1)
	v_fma_f64 v[34:35], -v[22:23], v[28:29], 1.0
	v_fma_f64 v[28:29], v[28:29], v[34:35], v[28:29]
	s_delay_alu instid0(VALU_DEP_1) | instskip(NEXT) | instid1(VALU_DEP_1)
	v_fma_f64 v[34:35], -v[22:23], v[28:29], 1.0
	v_fma_f64 v[28:29], v[28:29], v[34:35], v[28:29]
	v_div_scale_f64 v[34:35], vcc_lo, 1.0, v[20:21], 1.0
	s_delay_alu instid0(VALU_DEP_1) | instskip(NEXT) | instid1(VALU_DEP_1)
	v_mul_f64_e32 v[36:37], v[34:35], v[28:29]
	v_fma_f64 v[22:23], -v[22:23], v[36:37], v[34:35]
	s_wait_alu 0xfffd
	s_delay_alu instid0(VALU_DEP_1) | instskip(NEXT) | instid1(VALU_DEP_1)
	v_div_fmas_f64 v[22:23], v[22:23], v[28:29], v[36:37]
	v_div_fixup_f64 v[20:21], v[22:23], v[20:21], 1.0
	v_lshlrev_b64_e32 v[22:23], 3, v[0:1]
	v_add_nc_u32_e32 v0, s2, v0
	s_delay_alu instid0(VALU_DEP_3) | instskip(NEXT) | instid1(VALU_DEP_3)
	v_mul_f64_e32 v[20:21], v[26:27], v[20:21]
	v_add_co_u32 v26, vcc_lo, s6, v22
	s_wait_alu 0xfffd
	s_delay_alu instid0(VALU_DEP_4)
	v_add_co_ci_u32_e64 v27, null, s7, v23, vcc_lo
	v_add_co_u32 v22, vcc_lo, s8, v22
	s_wait_alu 0xfffd
	v_add_co_ci_u32_e64 v23, null, s9, v23, vcc_lo
	global_load_b64 v[26:27], v[26:27], off
	v_min_num_f64_e32 v[20:21], s[0:1], v[20:21]
	s_wait_loadcnt 0x0
	s_delay_alu instid0(VALU_DEP_1) | instskip(SKIP_3) | instid1(VALU_DEP_2)
	v_mul_f64_e32 v[20:21], v[26:27], v[20:21]
	global_store_b64 v[22:23], v[20:21], off
	v_div_scale_f64 v[22:23], null, v[18:19], v[18:19], 1.0
	v_mul_f64_e32 v[20:21], v[30:31], v[24:25]
	v_rcp_f64_e32 v[26:27], v[22:23]
	s_delay_alu instid0(TRANS32_DEP_1) | instskip(NEXT) | instid1(VALU_DEP_1)
	v_fma_f64 v[28:29], -v[22:23], v[26:27], 1.0
	v_fma_f64 v[26:27], v[26:27], v[28:29], v[26:27]
	s_delay_alu instid0(VALU_DEP_1) | instskip(NEXT) | instid1(VALU_DEP_1)
	v_fma_f64 v[28:29], -v[22:23], v[26:27], 1.0
	v_fma_f64 v[26:27], v[26:27], v[28:29], v[26:27]
	v_div_scale_f64 v[28:29], vcc_lo, 1.0, v[18:19], 1.0
	s_delay_alu instid0(VALU_DEP_1) | instskip(NEXT) | instid1(VALU_DEP_1)
	v_mul_f64_e32 v[30:31], v[28:29], v[26:27]
	v_fma_f64 v[22:23], -v[22:23], v[30:31], v[28:29]
	s_wait_alu 0xfffd
	s_delay_alu instid0(VALU_DEP_1) | instskip(NEXT) | instid1(VALU_DEP_1)
	v_div_fmas_f64 v[22:23], v[22:23], v[26:27], v[30:31]
	v_div_fixup_f64 v[18:19], v[22:23], v[18:19], 1.0
	s_delay_alu instid0(VALU_DEP_1) | instskip(SKIP_2) | instid1(VALU_DEP_2)
	v_mul_f64_e32 v[18:19], v[20:21], v[18:19]
	v_lshlrev_b64_e32 v[20:21], 3, v[0:1]
	v_add_nc_u32_e32 v0, s2, v0
	v_add_co_u32 v22, vcc_lo, s6, v20
	s_wait_alu 0xfffd
	s_delay_alu instid0(VALU_DEP_3)
	v_add_co_ci_u32_e64 v23, null, s7, v21, vcc_lo
	v_add_co_u32 v20, vcc_lo, s8, v20
	s_wait_alu 0xfffd
	v_add_co_ci_u32_e64 v21, null, s9, v21, vcc_lo
	global_load_b64 v[22:23], v[22:23], off
	v_min_num_f64_e32 v[18:19], s[0:1], v[18:19]
	s_wait_loadcnt 0x0
	s_delay_alu instid0(VALU_DEP_1) | instskip(SKIP_4) | instid1(VALU_DEP_3)
	v_mul_f64_e32 v[18:19], v[22:23], v[18:19]
	global_store_b64 v[20:21], v[18:19], off
	v_mul_f64_e32 v[20:21], v[12:13], v[16:17]
	v_mul_f64_e32 v[18:19], v[4:5], v[24:25]
	v_div_scale_f64 v[16:17], null, v[6:7], v[6:7], 1.0
	v_div_scale_f64 v[22:23], null, v[20:21], v[20:21], 1.0
	s_delay_alu instid0(VALU_DEP_1) | instskip(NEXT) | instid1(TRANS32_DEP_1)
	v_rcp_f64_e32 v[26:27], v[22:23]
	v_fma_f64 v[28:29], -v[22:23], v[26:27], 1.0
	s_delay_alu instid0(VALU_DEP_1) | instskip(NEXT) | instid1(VALU_DEP_1)
	v_fma_f64 v[26:27], v[26:27], v[28:29], v[26:27]
	v_fma_f64 v[28:29], -v[22:23], v[26:27], 1.0
	s_delay_alu instid0(VALU_DEP_1) | instskip(SKIP_1) | instid1(VALU_DEP_1)
	v_fma_f64 v[26:27], v[26:27], v[28:29], v[26:27]
	v_div_scale_f64 v[28:29], vcc_lo, 1.0, v[20:21], 1.0
	v_mul_f64_e32 v[30:31], v[28:29], v[26:27]
	s_delay_alu instid0(VALU_DEP_1) | instskip(SKIP_1) | instid1(VALU_DEP_1)
	v_fma_f64 v[22:23], -v[22:23], v[30:31], v[28:29]
	s_wait_alu 0xfffd
	v_div_fmas_f64 v[22:23], v[22:23], v[26:27], v[30:31]
	s_delay_alu instid0(VALU_DEP_1) | instskip(NEXT) | instid1(VALU_DEP_1)
	v_div_fixup_f64 v[20:21], v[22:23], v[20:21], 1.0
	v_mul_f64_e32 v[18:19], v[18:19], v[20:21]
	v_lshlrev_b64_e32 v[20:21], 3, v[0:1]
	v_add_nc_u32_e32 v0, s2, v0
	s_delay_alu instid0(VALU_DEP_2) | instskip(SKIP_1) | instid1(VALU_DEP_3)
	v_add_co_u32 v22, vcc_lo, s6, v20
	s_wait_alu 0xfffd
	v_add_co_ci_u32_e64 v23, null, s7, v21, vcc_lo
	v_add_co_u32 v20, vcc_lo, s8, v20
	s_wait_alu 0xfffd
	v_add_co_ci_u32_e64 v21, null, s9, v21, vcc_lo
	global_load_b64 v[22:23], v[22:23], off
	v_min_num_f64_e32 v[18:19], s[0:1], v[18:19]
	s_wait_loadcnt 0x0
	s_delay_alu instid0(VALU_DEP_1) | instskip(SKIP_3) | instid1(TRANS32_DEP_1)
	v_mul_f64_e32 v[18:19], v[22:23], v[18:19]
	global_store_b64 v[20:21], v[18:19], off
	global_load_b64 v[18:19], v[32:33], off
	v_rcp_f64_e32 v[20:21], v[16:17]
	v_fma_f64 v[22:23], -v[16:17], v[20:21], 1.0
	s_delay_alu instid0(VALU_DEP_1) | instskip(NEXT) | instid1(VALU_DEP_1)
	v_fma_f64 v[20:21], v[20:21], v[22:23], v[20:21]
	v_fma_f64 v[22:23], -v[16:17], v[20:21], 1.0
	s_delay_alu instid0(VALU_DEP_1) | instskip(SKIP_3) | instid1(VALU_DEP_2)
	v_fma_f64 v[20:21], v[20:21], v[22:23], v[20:21]
	v_div_scale_f64 v[22:23], vcc_lo, 1.0, v[6:7], 1.0
	s_wait_loadcnt 0x0
	v_mul_f64_e32 v[18:19], v[18:19], v[24:25]
	v_mul_f64_e32 v[24:25], v[22:23], v[20:21]
	s_delay_alu instid0(VALU_DEP_1) | instskip(SKIP_1) | instid1(VALU_DEP_1)
	v_fma_f64 v[16:17], -v[16:17], v[24:25], v[22:23]
	s_wait_alu 0xfffd
	v_div_fmas_f64 v[16:17], v[16:17], v[20:21], v[24:25]
	s_delay_alu instid0(VALU_DEP_1) | instskip(SKIP_1) | instid1(VALU_DEP_2)
	v_div_fixup_f64 v[6:7], v[16:17], v[6:7], 1.0
	v_lshlrev_b64_e32 v[16:17], 3, v[0:1]
	v_mul_f64_e32 v[6:7], v[18:19], v[6:7]
	s_delay_alu instid0(VALU_DEP_2) | instskip(SKIP_1) | instid1(VALU_DEP_3)
	v_add_co_u32 v18, vcc_lo, s6, v16
	s_wait_alu 0xfffd
	v_add_co_ci_u32_e64 v19, null, s7, v17, vcc_lo
	v_add_co_u32 v16, vcc_lo, s8, v16
	s_wait_alu 0xfffd
	v_add_co_ci_u32_e64 v17, null, s9, v17, vcc_lo
	global_load_b64 v[18:19], v[18:19], off
	v_min_num_f64_e32 v[6:7], s[0:1], v[6:7]
	s_wait_loadcnt 0x0
	s_delay_alu instid0(VALU_DEP_1)
	v_mul_f64_e32 v[6:7], v[18:19], v[6:7]
	global_store_b64 v[16:17], v[6:7], off
	global_load_b64 v[6:7], v[14:15], off
	s_wait_loadcnt 0x0
	v_mul_f64_e32 v[14:15], v[12:13], v[6:7]
	v_mul_f64_e32 v[2:3], v[2:3], v[6:7]
	s_delay_alu instid0(VALU_DEP_2) | instskip(SKIP_2) | instid1(VALU_DEP_1)
	v_mul_f64_e32 v[4:5], v[4:5], v[14:15]
	v_mad_co_u64_u32 v[14:15], null, 0xffffffdd, s2, v[0:1]
	v_mov_b32_e32 v15, v1
	v_lshlrev_b64_e32 v[15:16], 3, v[14:15]
	s_delay_alu instid0(VALU_DEP_1) | instskip(SKIP_1) | instid1(VALU_DEP_2)
	v_add_co_u32 v15, vcc_lo, s10, v15
	s_wait_alu 0xfffd
	v_add_co_ci_u32_e64 v16, null, s11, v16, vcc_lo
	global_load_b64 v[15:16], v[15:16], off
	s_wait_loadcnt 0x0
	v_div_scale_f64 v[17:18], null, v[15:16], v[15:16], 1.0
	s_delay_alu instid0(VALU_DEP_1) | instskip(NEXT) | instid1(TRANS32_DEP_1)
	v_rcp_f64_e32 v[19:20], v[17:18]
	v_fma_f64 v[21:22], -v[17:18], v[19:20], 1.0
	s_delay_alu instid0(VALU_DEP_1) | instskip(NEXT) | instid1(VALU_DEP_1)
	v_fma_f64 v[19:20], v[19:20], v[21:22], v[19:20]
	v_fma_f64 v[21:22], -v[17:18], v[19:20], 1.0
	s_delay_alu instid0(VALU_DEP_1) | instskip(SKIP_1) | instid1(VALU_DEP_1)
	v_fma_f64 v[19:20], v[19:20], v[21:22], v[19:20]
	v_div_scale_f64 v[21:22], vcc_lo, 1.0, v[15:16], 1.0
	v_mul_f64_e32 v[23:24], v[21:22], v[19:20]
	s_delay_alu instid0(VALU_DEP_1) | instskip(SKIP_1) | instid1(VALU_DEP_1)
	v_fma_f64 v[17:18], -v[17:18], v[23:24], v[21:22]
	s_wait_alu 0xfffd
	v_div_fmas_f64 v[17:18], v[17:18], v[19:20], v[23:24]
	s_delay_alu instid0(VALU_DEP_1) | instskip(NEXT) | instid1(VALU_DEP_1)
	v_div_fixup_f64 v[17:18], v[17:18], v[15:16], 1.0
	v_mul_f64_e32 v[4:5], v[4:5], v[17:18]
	v_mad_co_u64_u32 v[17:18], null, s2, 36, v[14:15]
	v_mov_b32_e32 v18, v1
	s_delay_alu instid0(VALU_DEP_1) | instskip(SKIP_1) | instid1(VALU_DEP_2)
	v_lshlrev_b64_e32 v[18:19], 3, v[17:18]
	v_add_nc_u32_e32 v0, s2, v17
	v_add_co_u32 v20, vcc_lo, s6, v18
	s_wait_alu 0xfffd
	s_delay_alu instid0(VALU_DEP_3)
	v_add_co_ci_u32_e64 v21, null, s7, v19, vcc_lo
	v_add_co_u32 v18, vcc_lo, s8, v18
	s_wait_alu 0xfffd
	v_add_co_ci_u32_e64 v19, null, s9, v19, vcc_lo
	global_load_b64 v[20:21], v[20:21], off
	v_min_num_f64_e32 v[4:5], s[0:1], v[4:5]
	s_wait_loadcnt 0x0
	s_delay_alu instid0(VALU_DEP_1) | instskip(SKIP_3) | instid1(VALU_DEP_1)
	v_mul_f64_e32 v[4:5], v[20:21], v[4:5]
	global_store_b64 v[18:19], v[4:5], off
	global_load_b64 v[4:5], v[10:11], off
	v_mul_f64_e32 v[10:11], v[12:13], v[15:16]
	v_div_scale_f64 v[14:15], null, v[10:11], v[10:11], 1.0
	s_delay_alu instid0(VALU_DEP_1) | instskip(NEXT) | instid1(TRANS32_DEP_1)
	v_rcp_f64_e32 v[18:19], v[14:15]
	v_fma_f64 v[20:21], -v[14:15], v[18:19], 1.0
	s_delay_alu instid0(VALU_DEP_1) | instskip(NEXT) | instid1(VALU_DEP_1)
	v_fma_f64 v[18:19], v[18:19], v[20:21], v[18:19]
	v_fma_f64 v[20:21], -v[14:15], v[18:19], 1.0
	s_delay_alu instid0(VALU_DEP_1) | instskip(SKIP_1) | instid1(VALU_DEP_1)
	v_fma_f64 v[18:19], v[18:19], v[20:21], v[18:19]
	v_div_scale_f64 v[20:21], vcc_lo, 1.0, v[10:11], 1.0
	v_mul_f64_e32 v[22:23], v[20:21], v[18:19]
	s_delay_alu instid0(VALU_DEP_1) | instskip(SKIP_3) | instid1(VALU_DEP_2)
	v_fma_f64 v[14:15], -v[14:15], v[22:23], v[20:21]
	s_wait_loadcnt 0x0
	v_mul_f64_e32 v[4:5], v[4:5], v[6:7]
	s_wait_alu 0xfffd
	v_div_fmas_f64 v[14:15], v[14:15], v[18:19], v[22:23]
	s_delay_alu instid0(VALU_DEP_1) | instskip(NEXT) | instid1(VALU_DEP_1)
	v_div_fixup_f64 v[10:11], v[14:15], v[10:11], 1.0
	v_mul_f64_e32 v[4:5], v[4:5], v[10:11]
	v_lshlrev_b64_e32 v[10:11], 3, v[0:1]
	v_add_nc_u32_e32 v0, s2, v0
	s_delay_alu instid0(VALU_DEP_1) | instskip(NEXT) | instid1(VALU_DEP_3)
	v_lshlrev_b64_e32 v[0:1], 3, v[0:1]
	v_add_co_u32 v14, vcc_lo, s6, v10
	s_wait_alu 0xfffd
	s_delay_alu instid0(VALU_DEP_4)
	v_add_co_ci_u32_e64 v15, null, s7, v11, vcc_lo
	v_add_co_u32 v10, vcc_lo, s8, v10
	s_wait_alu 0xfffd
	v_add_co_ci_u32_e64 v11, null, s9, v11, vcc_lo
	global_load_b64 v[14:15], v[14:15], off
	v_min_num_f64_e32 v[4:5], s[0:1], v[4:5]
	s_wait_loadcnt 0x0
	s_delay_alu instid0(VALU_DEP_1) | instskip(SKIP_4) | instid1(VALU_DEP_1)
	v_mul_f64_e32 v[4:5], v[14:15], v[4:5]
	global_store_b64 v[10:11], v[4:5], off
	global_load_b64 v[4:5], v[8:9], off
	s_wait_loadcnt 0x0
	v_mul_f64_e32 v[4:5], v[12:13], v[4:5]
	v_div_scale_f64 v[6:7], null, v[4:5], v[4:5], 1.0
	s_delay_alu instid0(VALU_DEP_1) | instskip(NEXT) | instid1(TRANS32_DEP_1)
	v_rcp_f64_e32 v[8:9], v[6:7]
	v_fma_f64 v[10:11], -v[6:7], v[8:9], 1.0
	s_delay_alu instid0(VALU_DEP_1) | instskip(NEXT) | instid1(VALU_DEP_1)
	v_fma_f64 v[8:9], v[8:9], v[10:11], v[8:9]
	v_fma_f64 v[10:11], -v[6:7], v[8:9], 1.0
	s_delay_alu instid0(VALU_DEP_1) | instskip(SKIP_1) | instid1(VALU_DEP_1)
	v_fma_f64 v[8:9], v[8:9], v[10:11], v[8:9]
	v_div_scale_f64 v[10:11], vcc_lo, 1.0, v[4:5], 1.0
	v_mul_f64_e32 v[12:13], v[10:11], v[8:9]
	s_delay_alu instid0(VALU_DEP_1) | instskip(SKIP_1) | instid1(VALU_DEP_1)
	v_fma_f64 v[6:7], -v[6:7], v[12:13], v[10:11]
	s_wait_alu 0xfffd
	v_div_fmas_f64 v[6:7], v[6:7], v[8:9], v[12:13]
	s_delay_alu instid0(VALU_DEP_1) | instskip(NEXT) | instid1(VALU_DEP_1)
	v_div_fixup_f64 v[4:5], v[6:7], v[4:5], 1.0
	v_mul_f64_e32 v[2:3], v[2:3], v[4:5]
	v_add_co_u32 v4, vcc_lo, s6, v0
	s_wait_alu 0xfffd
	v_add_co_ci_u32_e64 v5, null, s7, v1, vcc_lo
	v_add_co_u32 v0, vcc_lo, s8, v0
	s_wait_alu 0xfffd
	v_add_co_ci_u32_e64 v1, null, s9, v1, vcc_lo
	global_load_b64 v[4:5], v[4:5], off
	v_min_num_f64_e32 v[2:3], s[0:1], v[2:3]
	s_wait_loadcnt 0x0
	s_delay_alu instid0(VALU_DEP_1)
	v_mul_f64_e32 v[2:3], v[4:5], v[2:3]
	global_store_b64 v[0:1], v[2:3], off
	s_endpgm
	.section	.rodata,"a",@progbits
	.p2align	6, 0x0
	.amdhsa_kernel _Z12ratt3_kernelIdEvPKT_S2_PS0_S2_S0_
		.amdhsa_group_segment_fixed_size 0
		.amdhsa_private_segment_fixed_size 0
		.amdhsa_kernarg_size 296
		.amdhsa_user_sgpr_count 2
		.amdhsa_user_sgpr_dispatch_ptr 0
		.amdhsa_user_sgpr_queue_ptr 0
		.amdhsa_user_sgpr_kernarg_segment_ptr 1
		.amdhsa_user_sgpr_dispatch_id 0
		.amdhsa_user_sgpr_private_segment_size 0
		.amdhsa_wavefront_size32 1
		.amdhsa_uses_dynamic_stack 0
		.amdhsa_enable_private_segment 0
		.amdhsa_system_sgpr_workgroup_id_x 1
		.amdhsa_system_sgpr_workgroup_id_y 0
		.amdhsa_system_sgpr_workgroup_id_z 0
		.amdhsa_system_sgpr_workgroup_info 0
		.amdhsa_system_vgpr_workitem_id 0
		.amdhsa_next_free_vgpr 65
		.amdhsa_next_free_sgpr 15
		.amdhsa_reserve_vcc 1
		.amdhsa_float_round_mode_32 0
		.amdhsa_float_round_mode_16_64 0
		.amdhsa_float_denorm_mode_32 3
		.amdhsa_float_denorm_mode_16_64 3
		.amdhsa_fp16_overflow 0
		.amdhsa_workgroup_processor_mode 1
		.amdhsa_memory_ordered 1
		.amdhsa_forward_progress 1
		.amdhsa_inst_pref_size 50
		.amdhsa_round_robin_scheduling 0
		.amdhsa_exception_fp_ieee_invalid_op 0
		.amdhsa_exception_fp_denorm_src 0
		.amdhsa_exception_fp_ieee_div_zero 0
		.amdhsa_exception_fp_ieee_overflow 0
		.amdhsa_exception_fp_ieee_underflow 0
		.amdhsa_exception_fp_ieee_inexact 0
		.amdhsa_exception_int_div_zero 0
	.end_amdhsa_kernel
	.section	.text._Z12ratt3_kernelIdEvPKT_S2_PS0_S2_S0_,"axG",@progbits,_Z12ratt3_kernelIdEvPKT_S2_PS0_S2_S0_,comdat
.Lfunc_end31:
	.size	_Z12ratt3_kernelIdEvPKT_S2_PS0_S2_S0_, .Lfunc_end31-_Z12ratt3_kernelIdEvPKT_S2_PS0_S2_S0_
                                        ; -- End function
	.set _Z12ratt3_kernelIdEvPKT_S2_PS0_S2_S0_.num_vgpr, 65
	.set _Z12ratt3_kernelIdEvPKT_S2_PS0_S2_S0_.num_agpr, 0
	.set _Z12ratt3_kernelIdEvPKT_S2_PS0_S2_S0_.numbered_sgpr, 15
	.set _Z12ratt3_kernelIdEvPKT_S2_PS0_S2_S0_.num_named_barrier, 0
	.set _Z12ratt3_kernelIdEvPKT_S2_PS0_S2_S0_.private_seg_size, 0
	.set _Z12ratt3_kernelIdEvPKT_S2_PS0_S2_S0_.uses_vcc, 1
	.set _Z12ratt3_kernelIdEvPKT_S2_PS0_S2_S0_.uses_flat_scratch, 0
	.set _Z12ratt3_kernelIdEvPKT_S2_PS0_S2_S0_.has_dyn_sized_stack, 0
	.set _Z12ratt3_kernelIdEvPKT_S2_PS0_S2_S0_.has_recursion, 0
	.set _Z12ratt3_kernelIdEvPKT_S2_PS0_S2_S0_.has_indirect_call, 0
	.section	.AMDGPU.csdata,"",@progbits
; Kernel info:
; codeLenInByte = 6380
; TotalNumSgprs: 17
; NumVgprs: 65
; ScratchSize: 0
; MemoryBound: 0
; FloatMode: 240
; IeeeMode: 1
; LDSByteSize: 0 bytes/workgroup (compile time only)
; SGPRBlocks: 0
; VGPRBlocks: 8
; NumSGPRsForWavesPerEU: 17
; NumVGPRsForWavesPerEU: 65
; Occupancy: 16
; WaveLimiterHint : 0
; COMPUTE_PGM_RSRC2:SCRATCH_EN: 0
; COMPUTE_PGM_RSRC2:USER_SGPR: 2
; COMPUTE_PGM_RSRC2:TRAP_HANDLER: 0
; COMPUTE_PGM_RSRC2:TGID_X_EN: 1
; COMPUTE_PGM_RSRC2:TGID_Y_EN: 0
; COMPUTE_PGM_RSRC2:TGID_Z_EN: 0
; COMPUTE_PGM_RSRC2:TIDIG_COMP_CNT: 0
	.section	.text._Z12ratt4_kernelIdEvPKT_S2_PS0_S2_S0_,"axG",@progbits,_Z12ratt4_kernelIdEvPKT_S2_PS0_S2_S0_,comdat
	.protected	_Z12ratt4_kernelIdEvPKT_S2_PS0_S2_S0_ ; -- Begin function _Z12ratt4_kernelIdEvPKT_S2_PS0_S2_S0_
	.globl	_Z12ratt4_kernelIdEvPKT_S2_PS0_S2_S0_
	.p2align	8
	.type	_Z12ratt4_kernelIdEvPKT_S2_PS0_S2_S0_,@function
_Z12ratt4_kernelIdEvPKT_S2_PS0_S2_S0_:  ; @_Z12ratt4_kernelIdEvPKT_S2_PS0_S2_S0_
; %bb.0:
	s_clause 0x2
	s_load_b256 s[4:11], s[0:1], 0x0
	s_load_b96 s[12:14], s[0:1], 0x20
	s_load_b32 s0, s[0:1], 0x34
	s_wait_kmcnt 0x0
	s_and_b32 s2, s0, 0xffff
	s_brev_b32 s0, 12
	v_mad_co_u64_u32 v[0:1], null, ttmp9, s2, v[0:1]
	s_mul_i32 s2, s14, s2
	s_mov_b32 s1, 0x4193d2c6
	s_wait_alu 0xfffe
	s_mul_i32 s3, s2, 3
	v_mov_b32_e32 v1, 0
	s_delay_alu instid0(VALU_DEP_1) | instskip(NEXT) | instid1(VALU_DEP_1)
	v_lshlrev_b64_e32 v[14:15], 3, v[0:1]
	v_add_co_u32 v2, vcc_lo, s4, v14
	s_delay_alu instid0(VALU_DEP_1) | instskip(SKIP_4) | instid1(VALU_DEP_1)
	v_add_co_ci_u32_e64 v3, null, s5, v15, vcc_lo
	s_mul_i32 s4, s2, 0xffffffd1
	global_load_b64 v[2:3], v[2:3], off
	s_wait_loadcnt 0x0
	v_mul_f64_e32 v[2:3], s[12:13], v[2:3]
	v_mul_f64_e32 v[2:3], s[0:1], v[2:3]
	s_mov_b32 s0, 0x4357691b
	s_mov_b32 s1, 0x479e17b8
	s_delay_alu instid0(VALU_DEP_1) | instskip(NEXT) | instid1(VALU_DEP_1)
	v_div_scale_f64 v[4:5], null, v[2:3], v[2:3], 1.0
	v_rcp_f64_e32 v[6:7], v[4:5]
	s_delay_alu instid0(TRANS32_DEP_1) | instskip(NEXT) | instid1(VALU_DEP_1)
	v_fma_f64 v[8:9], -v[4:5], v[6:7], 1.0
	v_fma_f64 v[6:7], v[6:7], v[8:9], v[6:7]
	s_delay_alu instid0(VALU_DEP_1) | instskip(NEXT) | instid1(VALU_DEP_1)
	v_fma_f64 v[8:9], -v[4:5], v[6:7], 1.0
	v_fma_f64 v[6:7], v[6:7], v[8:9], v[6:7]
	v_div_scale_f64 v[8:9], vcc_lo, 1.0, v[2:3], 1.0
	s_delay_alu instid0(VALU_DEP_1) | instskip(NEXT) | instid1(VALU_DEP_1)
	v_mul_f64_e32 v[10:11], v[8:9], v[6:7]
	v_fma_f64 v[4:5], -v[4:5], v[10:11], v[8:9]
	s_wait_alu 0xfffd
	s_delay_alu instid0(VALU_DEP_1) | instskip(NEXT) | instid1(VALU_DEP_1)
	v_div_fmas_f64 v[4:5], v[4:5], v[6:7], v[10:11]
	v_div_fixup_f64 v[2:3], v[4:5], v[2:3], 1.0
	s_wait_alu 0xfffe
	v_dual_mov_b32 v5, v1 :: v_dual_add_nc_u32 v4, s3, v0
	v_add_nc_u32_e32 v0, s2, v0
	s_delay_alu instid0(VALU_DEP_3) | instskip(NEXT) | instid1(VALU_DEP_3)
	v_mul_f64_e32 v[16:17], 0x412eec04, v[2:3]
	v_lshlrev_b64_e32 v[2:3], 3, v[4:5]
	v_mad_co_u64_u32 v[4:5], null, s2, 6, v[4:5]
	v_mov_b32_e32 v5, v1
	s_delay_alu instid0(VALU_DEP_3) | instskip(SKIP_1) | instid1(VALU_DEP_4)
	v_add_co_u32 v2, vcc_lo, s10, v2
	s_wait_alu 0xfffd
	v_add_co_ci_u32_e64 v3, null, s11, v3, vcc_lo
	s_delay_alu instid0(VALU_DEP_3)
	v_lshlrev_b64_e32 v[6:7], 3, v[4:5]
	v_mad_co_u64_u32 v[4:5], null, s2, -5, v[4:5]
	v_mov_b32_e32 v5, v1
	global_load_b64 v[18:19], v[2:3], off
	v_add_co_u32 v12, vcc_lo, s10, v6
	s_wait_alu 0xfffd
	v_add_co_ci_u32_e64 v13, null, s11, v7, vcc_lo
	v_lshlrev_b64_e32 v[6:7], 3, v[4:5]
	v_mad_co_u64_u32 v[4:5], null, s2, 11, v[4:5]
	v_mov_b32_e32 v5, v1
	global_load_b64 v[32:33], v[12:13], off
	v_add_co_u32 v6, vcc_lo, s10, v6
	s_wait_alu 0xfffd
	v_add_co_ci_u32_e64 v7, null, s11, v7, vcc_lo
	v_lshlrev_b64_e32 v[8:9], 3, v[4:5]
	v_mad_co_u64_u32 v[4:5], null, s2, 35, v[4:5]
	global_load_b64 v[22:23], v[6:7], off
	v_mov_b32_e32 v5, v1
	v_add_co_u32 v8, vcc_lo, s10, v8
	s_wait_alu 0xfffd
	v_add_co_ci_u32_e64 v9, null, s11, v9, vcc_lo
	s_delay_alu instid0(VALU_DEP_3)
	v_lshlrev_b64_e32 v[4:5], 3, v[4:5]
	s_clause 0x1
	global_load_b64 v[28:29], v[8:9], off
	global_load_b64 v[12:13], v[12:13], off
	s_wait_loadcnt 0x3
	v_mul_f64_e32 v[10:11], v[18:19], v[32:33]
	s_wait_loadcnt 0x1
	v_mul_f64_e32 v[20:21], v[22:23], v[28:29]
	s_delay_alu instid0(VALU_DEP_1) | instskip(NEXT) | instid1(VALU_DEP_1)
	v_div_scale_f64 v[24:25], null, v[20:21], v[20:21], 1.0
	v_rcp_f64_e32 v[26:27], v[24:25]
	s_delay_alu instid0(TRANS32_DEP_1) | instskip(NEXT) | instid1(VALU_DEP_1)
	v_fma_f64 v[30:31], -v[24:25], v[26:27], 1.0
	v_fma_f64 v[26:27], v[26:27], v[30:31], v[26:27]
	s_delay_alu instid0(VALU_DEP_1) | instskip(NEXT) | instid1(VALU_DEP_1)
	v_fma_f64 v[30:31], -v[24:25], v[26:27], 1.0
	v_fma_f64 v[26:27], v[26:27], v[30:31], v[26:27]
	v_div_scale_f64 v[30:31], vcc_lo, 1.0, v[20:21], 1.0
	s_delay_alu instid0(VALU_DEP_1) | instskip(NEXT) | instid1(VALU_DEP_1)
	v_mul_f64_e32 v[34:35], v[30:31], v[26:27]
	v_fma_f64 v[24:25], -v[24:25], v[34:35], v[30:31]
	s_wait_alu 0xfffd
	s_delay_alu instid0(VALU_DEP_1) | instskip(SKIP_2) | instid1(VALU_DEP_3)
	v_div_fmas_f64 v[24:25], v[24:25], v[26:27], v[34:35]
	v_mad_co_u64_u32 v[26:27], null, s2, 13, v[0:1]
	v_mov_b32_e32 v27, v1
	v_div_fixup_f64 v[20:21], v[24:25], v[20:21], 1.0
	v_add_co_u32 v24, vcc_lo, s6, v4
	s_wait_alu 0xfffd
	v_add_co_ci_u32_e64 v25, null, s7, v5, vcc_lo
	v_add_co_u32 v4, vcc_lo, s8, v4
	s_wait_alu 0xfffd
	v_add_co_ci_u32_e64 v5, null, s9, v5, vcc_lo
	global_load_b64 v[24:25], v[24:25], off
	v_mul_f64_e32 v[20:21], v[10:11], v[20:21]
	s_delay_alu instid0(VALU_DEP_1) | instskip(SKIP_1) | instid1(VALU_DEP_1)
	v_min_num_f64_e32 v[20:21], s[0:1], v[20:21]
	s_wait_loadcnt 0x0
	v_mul_f64_e32 v[20:21], v[24:25], v[20:21]
	v_lshlrev_b64_e32 v[24:25], 3, v[26:27]
	global_store_b64 v[4:5], v[20:21], off
	v_lshlrev_b64_e32 v[4:5], 3, v[0:1]
	s_delay_alu instid0(VALU_DEP_1) | instskip(SKIP_1) | instid1(VALU_DEP_2)
	v_add_co_u32 v20, vcc_lo, s10, v4
	s_wait_alu 0xfffd
	v_add_co_ci_u32_e64 v21, null, s11, v5, vcc_lo
	v_add_co_u32 v24, vcc_lo, s10, v24
	s_wait_alu 0xfffd
	v_add_co_ci_u32_e64 v25, null, s11, v25, vcc_lo
	s_clause 0x1
	global_load_b64 v[30:31], v[20:21], off
	global_load_b64 v[34:35], v[24:25], off
	s_wait_loadcnt 0x1
	v_mul_f64_e32 v[4:5], v[30:31], v[30:31]
	v_mul_f64_e32 v[28:29], v[28:29], v[30:31]
	s_wait_loadcnt 0x0
	s_delay_alu instid0(VALU_DEP_2) | instskip(NEXT) | instid1(VALU_DEP_1)
	v_mul_f64_e32 v[4:5], v[4:5], v[34:35]
	v_mul_f64_e32 v[4:5], v[16:17], v[4:5]
	s_delay_alu instid0(VALU_DEP_1) | instskip(NEXT) | instid1(VALU_DEP_1)
	v_div_scale_f64 v[34:35], null, v[4:5], v[4:5], 1.0
	v_rcp_f64_e32 v[36:37], v[34:35]
	s_delay_alu instid0(TRANS32_DEP_1) | instskip(NEXT) | instid1(VALU_DEP_1)
	v_fma_f64 v[38:39], -v[34:35], v[36:37], 1.0
	v_fma_f64 v[36:37], v[36:37], v[38:39], v[36:37]
	s_delay_alu instid0(VALU_DEP_1) | instskip(NEXT) | instid1(VALU_DEP_1)
	v_fma_f64 v[38:39], -v[34:35], v[36:37], 1.0
	v_fma_f64 v[36:37], v[36:37], v[38:39], v[36:37]
	v_div_scale_f64 v[38:39], vcc_lo, 1.0, v[4:5], 1.0
	s_delay_alu instid0(VALU_DEP_1) | instskip(NEXT) | instid1(VALU_DEP_1)
	v_mul_f64_e32 v[40:41], v[38:39], v[36:37]
	v_fma_f64 v[34:35], -v[34:35], v[40:41], v[38:39]
	s_wait_alu 0xfffd
	s_delay_alu instid0(VALU_DEP_1) | instskip(NEXT) | instid1(VALU_DEP_1)
	v_div_fmas_f64 v[34:35], v[34:35], v[36:37], v[40:41]
	v_div_fixup_f64 v[4:5], v[34:35], v[4:5], 1.0
	s_delay_alu instid0(VALU_DEP_1) | instskip(SKIP_2) | instid1(VALU_DEP_1)
	v_mul_f64_e32 v[4:5], v[10:11], v[4:5]
	v_mad_co_u64_u32 v[10:11], null, s2, 37, v[26:27]
	v_mov_b32_e32 v11, v1
	v_lshlrev_b64_e32 v[26:27], 3, v[10:11]
	v_mad_co_u64_u32 v[10:11], null, 0xffffffdd, s2, v[10:11]
	v_mov_b32_e32 v11, v1
	s_delay_alu instid0(VALU_DEP_3) | instskip(SKIP_1) | instid1(VALU_DEP_4)
	v_add_co_u32 v34, vcc_lo, s6, v26
	s_wait_alu 0xfffd
	v_add_co_ci_u32_e64 v35, null, s7, v27, vcc_lo
	v_add_co_u32 v26, vcc_lo, s8, v26
	s_wait_alu 0xfffd
	v_add_co_ci_u32_e64 v27, null, s9, v27, vcc_lo
	global_load_b64 v[34:35], v[34:35], off
	v_min_num_f64_e32 v[4:5], s[0:1], v[4:5]
	s_wait_loadcnt 0x0
	s_delay_alu instid0(VALU_DEP_1)
	v_mul_f64_e32 v[4:5], v[34:35], v[4:5]
	global_store_b64 v[26:27], v[4:5], off
	v_lshlrev_b64_e32 v[26:27], 3, v[10:11]
	v_mad_co_u64_u32 v[10:11], null, s2, 36, v[10:11]
	v_mov_b32_e32 v11, v1
	v_mul_f64_e32 v[4:5], v[32:33], v[22:23]
	s_delay_alu instid0(VALU_DEP_4)
	v_add_co_u32 v26, vcc_lo, s10, v26
	s_wait_alu 0xfffd
	v_add_co_ci_u32_e64 v27, null, s11, v27, vcc_lo
	v_add_nc_u32_e32 v0, s4, v10
	global_load_b64 v[34:35], v[26:27], off
	s_wait_loadcnt 0x0
	v_mul_f64_e32 v[36:37], v[30:31], v[34:35]
	v_mul_f64_e32 v[34:35], v[22:23], v[34:35]
	s_delay_alu instid0(VALU_DEP_2) | instskip(NEXT) | instid1(VALU_DEP_1)
	v_div_scale_f64 v[38:39], null, v[36:37], v[36:37], 1.0
	v_rcp_f64_e32 v[40:41], v[38:39]
	s_delay_alu instid0(TRANS32_DEP_1) | instskip(NEXT) | instid1(VALU_DEP_1)
	v_fma_f64 v[42:43], -v[38:39], v[40:41], 1.0
	v_fma_f64 v[40:41], v[40:41], v[42:43], v[40:41]
	s_delay_alu instid0(VALU_DEP_1) | instskip(NEXT) | instid1(VALU_DEP_1)
	v_fma_f64 v[42:43], -v[38:39], v[40:41], 1.0
	v_fma_f64 v[40:41], v[40:41], v[42:43], v[40:41]
	v_div_scale_f64 v[42:43], vcc_lo, 1.0, v[36:37], 1.0
	s_delay_alu instid0(VALU_DEP_1) | instskip(NEXT) | instid1(VALU_DEP_1)
	v_mul_f64_e32 v[44:45], v[42:43], v[40:41]
	v_fma_f64 v[38:39], -v[38:39], v[44:45], v[42:43]
	s_wait_alu 0xfffd
	s_delay_alu instid0(VALU_DEP_1) | instskip(SKIP_4) | instid1(VALU_DEP_3)
	v_div_fmas_f64 v[38:39], v[38:39], v[40:41], v[44:45]
	v_lshlrev_b64_e32 v[40:41], 3, v[10:11]
	v_lshlrev_b64_e32 v[10:11], 3, v[0:1]
	v_add_nc_u32_e32 v0, s3, v0
	s_mul_i32 s3, s2, 48
	v_add_co_u32 v42, vcc_lo, s6, v40
	s_wait_alu 0xfffd
	v_add_co_ci_u32_e64 v43, null, s7, v41, vcc_lo
	v_add_co_u32 v40, vcc_lo, s8, v40
	s_wait_alu 0xfffd
	v_add_co_ci_u32_e64 v41, null, s9, v41, vcc_lo
	global_load_b64 v[42:43], v[42:43], off
	v_add_co_u32 v10, vcc_lo, s10, v10
	s_wait_alu 0xfffd
	v_add_co_ci_u32_e64 v11, null, s11, v11, vcc_lo
	v_div_fixup_f64 v[36:37], v[38:39], v[36:37], 1.0
	s_delay_alu instid0(VALU_DEP_1) | instskip(NEXT) | instid1(VALU_DEP_1)
	v_mul_f64_e32 v[38:39], v[4:5], v[36:37]
	v_min_num_f64_e32 v[38:39], s[0:1], v[38:39]
	s_wait_loadcnt 0x0
	s_delay_alu instid0(VALU_DEP_1)
	v_mul_f64_e32 v[38:39], v[42:43], v[38:39]
	global_store_b64 v[40:41], v[38:39], off
	v_lshlrev_b64_e32 v[40:41], 3, v[0:1]
	global_load_b64 v[38:39], v[10:11], off
	v_add_co_u32 v40, vcc_lo, s10, v40
	s_wait_alu 0xfffd
	v_add_co_ci_u32_e64 v41, null, s11, v41, vcc_lo
	global_load_b64 v[40:41], v[40:41], off
	s_wait_loadcnt 0x0
	v_mul_f64_e32 v[42:43], v[38:39], v[40:41]
	s_delay_alu instid0(VALU_DEP_1) | instskip(NEXT) | instid1(VALU_DEP_1)
	v_div_scale_f64 v[44:45], null, v[42:43], v[42:43], 1.0
	v_rcp_f64_e32 v[46:47], v[44:45]
	s_delay_alu instid0(TRANS32_DEP_1) | instskip(NEXT) | instid1(VALU_DEP_1)
	v_fma_f64 v[48:49], -v[44:45], v[46:47], 1.0
	v_fma_f64 v[46:47], v[46:47], v[48:49], v[46:47]
	s_delay_alu instid0(VALU_DEP_1) | instskip(NEXT) | instid1(VALU_DEP_1)
	v_fma_f64 v[48:49], -v[44:45], v[46:47], 1.0
	v_fma_f64 v[46:47], v[46:47], v[48:49], v[46:47]
	v_div_scale_f64 v[48:49], vcc_lo, 1.0, v[42:43], 1.0
	s_delay_alu instid0(VALU_DEP_1) | instskip(NEXT) | instid1(VALU_DEP_1)
	v_mul_f64_e32 v[50:51], v[48:49], v[46:47]
	v_fma_f64 v[44:45], -v[44:45], v[50:51], v[48:49]
	s_wait_alu 0xfffd
	s_delay_alu instid0(VALU_DEP_1) | instskip(NEXT) | instid1(VALU_DEP_1)
	v_div_fmas_f64 v[44:45], v[44:45], v[46:47], v[50:51]
	v_div_fixup_f64 v[42:43], v[44:45], v[42:43], 1.0
	s_delay_alu instid0(VALU_DEP_1) | instskip(SKIP_2) | instid1(VALU_DEP_1)
	v_mul_f64_e32 v[4:5], v[4:5], v[42:43]
	v_mad_co_u64_u32 v[42:43], null, s2, 45, v[0:1]
	v_mov_b32_e32 v43, v1
	v_lshlrev_b64_e32 v[43:44], 3, v[42:43]
	v_add_nc_u32_e32 v0, s4, v42
	s_delay_alu instid0(VALU_DEP_2) | instskip(SKIP_1) | instid1(VALU_DEP_3)
	v_add_co_u32 v45, vcc_lo, s6, v43
	s_wait_alu 0xfffd
	v_add_co_ci_u32_e64 v46, null, s7, v44, vcc_lo
	v_add_co_u32 v43, vcc_lo, s8, v43
	s_wait_alu 0xfffd
	v_add_co_ci_u32_e64 v44, null, s9, v44, vcc_lo
	global_load_b64 v[45:46], v[45:46], off
	v_min_num_f64_e32 v[4:5], s[0:1], v[4:5]
	s_wait_loadcnt 0x0
	s_delay_alu instid0(VALU_DEP_1)
	v_mul_f64_e32 v[4:5], v[45:46], v[4:5]
	global_store_b64 v[43:44], v[4:5], off
	v_div_scale_f64 v[44:45], null, v[34:35], v[34:35], 1.0
	v_lshlrev_b64_e32 v[4:5], 3, v[0:1]
	s_wait_alu 0xfffe
	v_add_nc_u32_e32 v0, s3, v0
	s_delay_alu instid0(VALU_DEP_2) | instskip(SKIP_1) | instid1(VALU_DEP_3)
	v_add_co_u32 v4, vcc_lo, s10, v4
	s_wait_alu 0xfffd
	v_add_co_ci_u32_e64 v5, null, s11, v5, vcc_lo
	global_load_b64 v[42:43], v[4:5], off
	v_rcp_f64_e32 v[46:47], v[44:45]
	s_delay_alu instid0(TRANS32_DEP_1) | instskip(NEXT) | instid1(VALU_DEP_1)
	v_fma_f64 v[48:49], -v[44:45], v[46:47], 1.0
	v_fma_f64 v[46:47], v[46:47], v[48:49], v[46:47]
	s_delay_alu instid0(VALU_DEP_1) | instskip(NEXT) | instid1(VALU_DEP_1)
	v_fma_f64 v[48:49], -v[44:45], v[46:47], 1.0
	v_fma_f64 v[46:47], v[46:47], v[48:49], v[46:47]
	v_div_scale_f64 v[48:49], vcc_lo, 1.0, v[34:35], 1.0
	s_delay_alu instid0(VALU_DEP_1) | instskip(NEXT) | instid1(VALU_DEP_1)
	v_mul_f64_e32 v[50:51], v[48:49], v[46:47]
	v_fma_f64 v[44:45], -v[44:45], v[50:51], v[48:49]
	s_wait_alu 0xfffd
	s_delay_alu instid0(VALU_DEP_1) | instskip(SKIP_2) | instid1(VALU_DEP_2)
	v_div_fmas_f64 v[44:45], v[44:45], v[46:47], v[50:51]
	s_wait_loadcnt 0x0
	v_mul_f64_e32 v[42:43], v[32:33], v[42:43]
	v_div_fixup_f64 v[34:35], v[44:45], v[34:35], 1.0
	s_delay_alu instid0(VALU_DEP_1) | instskip(SKIP_1) | instid1(VALU_DEP_1)
	v_mul_f64_e32 v[34:35], v[34:35], v[42:43]
	v_lshlrev_b64_e32 v[42:43], 3, v[0:1]
	v_add_co_u32 v44, vcc_lo, s6, v42
	s_wait_alu 0xfffd
	s_delay_alu instid0(VALU_DEP_2)
	v_add_co_ci_u32_e64 v45, null, s7, v43, vcc_lo
	v_add_co_u32 v42, vcc_lo, s8, v42
	s_wait_alu 0xfffd
	v_add_co_ci_u32_e64 v43, null, s9, v43, vcc_lo
	global_load_b64 v[44:45], v[44:45], off
	v_min_num_f64_e32 v[34:35], s[0:1], v[34:35]
	s_wait_loadcnt 0x0
	s_delay_alu instid0(VALU_DEP_1) | instskip(SKIP_3) | instid1(VALU_DEP_1)
	v_mul_f64_e32 v[34:35], v[44:45], v[34:35]
	global_store_b64 v[42:43], v[34:35], off
	v_mad_co_u64_u32 v[34:35], null, 0xffffffd7, s2, v[0:1]
	v_mov_b32_e32 v35, v1
	v_lshlrev_b64_e32 v[42:43], 3, v[34:35]
	v_mad_co_u64_u32 v[34:35], null, s2, 12, v[34:35]
	v_mov_b32_e32 v35, v1
	s_delay_alu instid0(VALU_DEP_3) | instskip(SKIP_1) | instid1(VALU_DEP_4)
	v_add_co_u32 v42, vcc_lo, s10, v42
	s_wait_alu 0xfffd
	v_add_co_ci_u32_e64 v43, null, s11, v43, vcc_lo
	s_delay_alu instid0(VALU_DEP_3)
	v_lshlrev_b64_e32 v[48:49], 3, v[34:35]
	v_mad_co_u64_u32 v[34:35], null, s2, 30, v[34:35]
	global_load_b64 v[44:45], v[42:43], off
	v_mov_b32_e32 v35, v1
	v_add_co_u32 v48, vcc_lo, s10, v48
	s_wait_alu 0xfffd
	v_add_co_ci_u32_e64 v49, null, s11, v49, vcc_lo
	global_load_b64 v[48:49], v[48:49], off
	s_wait_loadcnt 0x1
	v_mul_f64_e32 v[46:47], v[32:33], v[44:45]
	s_wait_loadcnt 0x0
	v_div_scale_f64 v[50:51], null, v[48:49], v[48:49], 1.0
	s_delay_alu instid0(VALU_DEP_2) | instskip(NEXT) | instid1(VALU_DEP_2)
	v_mul_f64_e32 v[46:47], v[16:17], v[46:47]
	v_rcp_f64_e32 v[52:53], v[50:51]
	s_delay_alu instid0(TRANS32_DEP_1) | instskip(NEXT) | instid1(VALU_DEP_1)
	v_fma_f64 v[54:55], -v[50:51], v[52:53], 1.0
	v_fma_f64 v[52:53], v[52:53], v[54:55], v[52:53]
	s_delay_alu instid0(VALU_DEP_1) | instskip(NEXT) | instid1(VALU_DEP_1)
	v_fma_f64 v[54:55], -v[50:51], v[52:53], 1.0
	v_fma_f64 v[52:53], v[52:53], v[54:55], v[52:53]
	v_div_scale_f64 v[54:55], vcc_lo, 1.0, v[48:49], 1.0
	s_delay_alu instid0(VALU_DEP_1) | instskip(NEXT) | instid1(VALU_DEP_1)
	v_mul_f64_e32 v[56:57], v[54:55], v[52:53]
	v_fma_f64 v[50:51], -v[50:51], v[56:57], v[54:55]
	s_wait_alu 0xfffd
	s_delay_alu instid0(VALU_DEP_1) | instskip(NEXT) | instid1(VALU_DEP_1)
	v_div_fmas_f64 v[50:51], v[50:51], v[52:53], v[56:57]
	v_div_fixup_f64 v[48:49], v[50:51], v[48:49], 1.0
	s_delay_alu instid0(VALU_DEP_1) | instskip(SKIP_3) | instid1(VALU_DEP_3)
	v_mul_f64_e32 v[46:47], v[46:47], v[48:49]
	v_lshlrev_b64_e32 v[48:49], 3, v[34:35]
	v_mad_co_u64_u32 v[34:35], null, 0xffffffdb, s2, v[34:35]
	v_mov_b32_e32 v35, v1
	v_add_co_u32 v50, vcc_lo, s6, v48
	s_wait_alu 0xfffd
	s_delay_alu instid0(VALU_DEP_4)
	v_add_co_ci_u32_e64 v51, null, s7, v49, vcc_lo
	v_add_co_u32 v48, vcc_lo, s8, v48
	s_wait_alu 0xfffd
	v_add_co_ci_u32_e64 v49, null, s9, v49, vcc_lo
	global_load_b64 v[50:51], v[50:51], off
	v_min_num_f64_e32 v[46:47], s[0:1], v[46:47]
	s_wait_loadcnt 0x0
	s_delay_alu instid0(VALU_DEP_1)
	v_mul_f64_e32 v[46:47], v[50:51], v[46:47]
	global_store_b64 v[48:49], v[46:47], off
	v_lshlrev_b64_e32 v[48:49], 3, v[34:35]
	v_mul_f64_e32 v[46:47], v[32:33], v[40:41]
	v_mad_co_u64_u32 v[34:35], null, s2, 38, v[34:35]
	v_mov_b32_e32 v35, v1
	s_delay_alu instid0(VALU_DEP_4) | instskip(SKIP_2) | instid1(VALU_DEP_4)
	v_add_co_u32 v48, vcc_lo, s10, v48
	s_wait_alu 0xfffd
	v_add_co_ci_u32_e64 v49, null, s11, v49, vcc_lo
	v_add_nc_u32_e32 v0, s2, v34
	global_load_b64 v[48:49], v[48:49], off
	s_wait_loadcnt 0x0
	v_mul_f64_e32 v[50:51], v[30:31], v[48:49]
	s_delay_alu instid0(VALU_DEP_1) | instskip(NEXT) | instid1(VALU_DEP_1)
	v_div_scale_f64 v[52:53], null, v[50:51], v[50:51], 1.0
	v_rcp_f64_e32 v[54:55], v[52:53]
	s_delay_alu instid0(TRANS32_DEP_1) | instskip(NEXT) | instid1(VALU_DEP_1)
	v_fma_f64 v[56:57], -v[52:53], v[54:55], 1.0
	v_fma_f64 v[54:55], v[54:55], v[56:57], v[54:55]
	s_delay_alu instid0(VALU_DEP_1) | instskip(NEXT) | instid1(VALU_DEP_1)
	v_fma_f64 v[56:57], -v[52:53], v[54:55], 1.0
	v_fma_f64 v[54:55], v[54:55], v[56:57], v[54:55]
	v_div_scale_f64 v[56:57], vcc_lo, 1.0, v[50:51], 1.0
	s_delay_alu instid0(VALU_DEP_1) | instskip(NEXT) | instid1(VALU_DEP_1)
	v_mul_f64_e32 v[58:59], v[56:57], v[54:55]
	v_fma_f64 v[52:53], -v[52:53], v[58:59], v[56:57]
	s_wait_alu 0xfffd
	s_delay_alu instid0(VALU_DEP_1) | instskip(NEXT) | instid1(VALU_DEP_1)
	v_div_fmas_f64 v[52:53], v[52:53], v[54:55], v[58:59]
	v_div_fixup_f64 v[50:51], v[52:53], v[50:51], 1.0
	s_delay_alu instid0(VALU_DEP_1) | instskip(SKIP_3) | instid1(VALU_DEP_3)
	v_mul_f64_e32 v[46:47], v[46:47], v[50:51]
	v_lshlrev_b64_e32 v[50:51], 3, v[34:35]
	v_lshlrev_b64_e32 v[34:35], 3, v[0:1]
	v_add_nc_u32_e32 v0, s4, v0
	v_add_co_u32 v52, vcc_lo, s6, v50
	s_wait_alu 0xfffd
	s_delay_alu instid0(VALU_DEP_4)
	v_add_co_ci_u32_e64 v53, null, s7, v51, vcc_lo
	v_add_co_u32 v50, vcc_lo, s8, v50
	s_wait_alu 0xfffd
	v_add_co_ci_u32_e64 v51, null, s9, v51, vcc_lo
	global_load_b64 v[52:53], v[52:53], off
	v_min_num_f64_e32 v[46:47], s[0:1], v[46:47]
	s_wait_loadcnt 0x0
	s_delay_alu instid0(VALU_DEP_1)
	v_mul_f64_e32 v[46:47], v[52:53], v[46:47]
	global_store_b64 v[50:51], v[46:47], off
	v_add_co_u32 v50, vcc_lo, s10, v14
	s_wait_alu 0xfffd
	v_add_co_ci_u32_e64 v51, null, s11, v15, vcc_lo
	v_mul_f64_e32 v[46:47], v[32:33], v[32:33]
	global_load_b64 v[52:53], v[50:51], off
	s_wait_loadcnt 0x0
	v_mul_f64_e32 v[14:15], v[48:49], v[52:53]
	s_delay_alu instid0(VALU_DEP_1) | instskip(NEXT) | instid1(VALU_DEP_1)
	v_div_scale_f64 v[48:49], null, v[14:15], v[14:15], 1.0
	v_rcp_f64_e32 v[54:55], v[48:49]
	s_delay_alu instid0(TRANS32_DEP_1) | instskip(NEXT) | instid1(VALU_DEP_1)
	v_fma_f64 v[56:57], -v[48:49], v[54:55], 1.0
	v_fma_f64 v[54:55], v[54:55], v[56:57], v[54:55]
	s_delay_alu instid0(VALU_DEP_1) | instskip(NEXT) | instid1(VALU_DEP_1)
	v_fma_f64 v[56:57], -v[48:49], v[54:55], 1.0
	v_fma_f64 v[54:55], v[54:55], v[56:57], v[54:55]
	v_div_scale_f64 v[56:57], vcc_lo, 1.0, v[14:15], 1.0
	s_delay_alu instid0(VALU_DEP_1) | instskip(NEXT) | instid1(VALU_DEP_1)
	v_mul_f64_e32 v[58:59], v[56:57], v[54:55]
	v_fma_f64 v[48:49], -v[48:49], v[58:59], v[56:57]
	s_wait_alu 0xfffd
	s_delay_alu instid0(VALU_DEP_1) | instskip(NEXT) | instid1(VALU_DEP_1)
	v_div_fmas_f64 v[48:49], v[48:49], v[54:55], v[58:59]
	v_div_fixup_f64 v[14:15], v[48:49], v[14:15], 1.0
	s_delay_alu instid0(VALU_DEP_1)
	v_mul_f64_e32 v[14:15], v[46:47], v[14:15]
	v_add_co_u32 v46, vcc_lo, s6, v34
	s_wait_alu 0xfffd
	v_add_co_ci_u32_e64 v47, null, s7, v35, vcc_lo
	v_add_co_u32 v34, vcc_lo, s8, v34
	s_wait_alu 0xfffd
	v_add_co_ci_u32_e64 v35, null, s9, v35, vcc_lo
	global_load_b64 v[46:47], v[46:47], off
	v_min_num_f64_e32 v[14:15], s[0:1], v[14:15]
	s_wait_loadcnt 0x0
	s_delay_alu instid0(VALU_DEP_1) | instskip(SKIP_3) | instid1(VALU_DEP_2)
	v_mul_f64_e32 v[14:15], v[46:47], v[14:15]
	global_store_b64 v[34:35], v[14:15], off
	v_lshlrev_b64_e32 v[14:15], 3, v[0:1]
	v_add_nc_u32_e32 v0, s3, v0
	v_add_co_u32 v34, vcc_lo, s10, v14
	s_wait_alu 0xfffd
	s_delay_alu instid0(VALU_DEP_3) | instskip(SKIP_3) | instid1(TRANS32_DEP_1)
	v_add_co_ci_u32_e64 v35, null, s11, v15, vcc_lo
	v_div_scale_f64 v[14:15], null, v[32:33], v[32:33], 1.0
	global_load_b64 v[46:47], v[34:35], off
	v_rcp_f64_e32 v[48:49], v[14:15]
	v_fma_f64 v[54:55], -v[14:15], v[48:49], 1.0
	s_delay_alu instid0(VALU_DEP_1) | instskip(NEXT) | instid1(VALU_DEP_1)
	v_fma_f64 v[48:49], v[48:49], v[54:55], v[48:49]
	v_fma_f64 v[54:55], -v[14:15], v[48:49], 1.0
	s_delay_alu instid0(VALU_DEP_1) | instskip(SKIP_1) | instid1(VALU_DEP_1)
	v_fma_f64 v[48:49], v[48:49], v[54:55], v[48:49]
	v_div_scale_f64 v[54:55], vcc_lo, 1.0, v[32:33], 1.0
	v_mul_f64_e32 v[56:57], v[54:55], v[48:49]
	s_delay_alu instid0(VALU_DEP_1) | instskip(SKIP_1) | instid1(VALU_DEP_1)
	v_fma_f64 v[14:15], -v[14:15], v[56:57], v[54:55]
	s_wait_alu 0xfffd
	v_div_fmas_f64 v[14:15], v[14:15], v[48:49], v[56:57]
	s_wait_loadcnt 0x0
	v_mul_f64_e32 v[18:19], v[18:19], v[46:47]
	s_delay_alu instid0(VALU_DEP_2) | instskip(SKIP_2) | instid1(VALU_DEP_2)
	v_div_fixup_f64 v[14:15], v[14:15], v[32:33], 1.0
	v_lshlrev_b64_e32 v[32:33], 3, v[0:1]
	v_add_nc_u32_e32 v0, s2, v0
	v_add_co_u32 v48, vcc_lo, s6, v32
	s_wait_alu 0xfffd
	s_delay_alu instid0(VALU_DEP_3)
	v_add_co_ci_u32_e64 v49, null, s7, v33, vcc_lo
	v_add_co_u32 v32, vcc_lo, s8, v32
	s_wait_alu 0xfffd
	v_add_co_ci_u32_e64 v33, null, s9, v33, vcc_lo
	global_load_b64 v[48:49], v[48:49], off
	v_mul_f64_e32 v[14:15], v[14:15], v[46:47]
	s_delay_alu instid0(VALU_DEP_1) | instskip(SKIP_1) | instid1(VALU_DEP_1)
	v_min_num_f64_e32 v[14:15], s[0:1], v[14:15]
	s_wait_loadcnt 0x0
	v_mul_f64_e32 v[14:15], v[48:49], v[14:15]
	global_store_b64 v[32:33], v[14:15], off
	v_mul_f64_e32 v[32:33], v[40:41], v[52:53]
	v_mul_f64_e32 v[14:15], v[30:31], v[46:47]
	s_delay_alu instid0(VALU_DEP_2) | instskip(NEXT) | instid1(VALU_DEP_1)
	v_div_scale_f64 v[40:41], null, v[32:33], v[32:33], 1.0
	v_rcp_f64_e32 v[48:49], v[40:41]
	s_delay_alu instid0(TRANS32_DEP_1) | instskip(NEXT) | instid1(VALU_DEP_1)
	v_fma_f64 v[54:55], -v[40:41], v[48:49], 1.0
	v_fma_f64 v[48:49], v[48:49], v[54:55], v[48:49]
	s_delay_alu instid0(VALU_DEP_1) | instskip(NEXT) | instid1(VALU_DEP_1)
	v_fma_f64 v[54:55], -v[40:41], v[48:49], 1.0
	v_fma_f64 v[48:49], v[48:49], v[54:55], v[48:49]
	v_div_scale_f64 v[54:55], vcc_lo, 1.0, v[32:33], 1.0
	s_delay_alu instid0(VALU_DEP_1) | instskip(NEXT) | instid1(VALU_DEP_1)
	v_mul_f64_e32 v[56:57], v[54:55], v[48:49]
	v_fma_f64 v[40:41], -v[40:41], v[56:57], v[54:55]
	s_wait_alu 0xfffd
	s_delay_alu instid0(VALU_DEP_1) | instskip(SKIP_1) | instid1(VALU_DEP_2)
	v_div_fmas_f64 v[40:41], v[40:41], v[48:49], v[56:57]
	v_mul_f64_e32 v[48:49], v[44:45], v[52:53]
	v_div_fixup_f64 v[32:33], v[40:41], v[32:33], 1.0
	s_delay_alu instid0(VALU_DEP_2) | instskip(NEXT) | instid1(VALU_DEP_2)
	v_div_scale_f64 v[54:55], null, v[48:49], v[48:49], 1.0
	v_mul_f64_e32 v[14:15], v[32:33], v[14:15]
	v_lshlrev_b64_e32 v[32:33], 3, v[0:1]
	s_delay_alu instid0(VALU_DEP_3) | instskip(NEXT) | instid1(VALU_DEP_1)
	v_rcp_f64_e32 v[56:57], v[54:55]
	v_add_co_u32 v40, vcc_lo, s6, v32
	s_wait_alu 0xfffd
	s_delay_alu instid0(VALU_DEP_2)
	v_add_co_ci_u32_e64 v41, null, s7, v33, vcc_lo
	v_add_co_u32 v32, vcc_lo, s8, v32
	s_wait_alu 0xfffd
	v_add_co_ci_u32_e64 v33, null, s9, v33, vcc_lo
	global_load_b64 v[40:41], v[40:41], off
	v_min_num_f64_e32 v[14:15], s[0:1], v[14:15]
	v_fma_f64 v[58:59], -v[54:55], v[56:57], 1.0
	s_delay_alu instid0(VALU_DEP_1) | instskip(NEXT) | instid1(VALU_DEP_1)
	v_fma_f64 v[56:57], v[56:57], v[58:59], v[56:57]
	v_fma_f64 v[58:59], -v[54:55], v[56:57], 1.0
	s_delay_alu instid0(VALU_DEP_1)
	v_fma_f64 v[56:57], v[56:57], v[58:59], v[56:57]
	s_wait_loadcnt 0x0
	v_mul_f64_e32 v[14:15], v[40:41], v[14:15]
	global_store_b64 v[32:33], v[14:15], off
	v_mad_co_u64_u32 v[32:33], null, 0xffffffc7, s2, v[0:1]
	v_mov_b32_e32 v33, v1
	s_delay_alu instid0(VALU_DEP_1) | instskip(SKIP_2) | instid1(VALU_DEP_3)
	v_lshlrev_b64_e32 v[14:15], 3, v[32:33]
	v_mad_co_u64_u32 v[32:33], null, s2, 58, v[32:33]
	v_mov_b32_e32 v33, v1
	v_add_co_u32 v14, vcc_lo, s10, v14
	s_wait_alu 0xfffd
	s_delay_alu instid0(VALU_DEP_4) | instskip(SKIP_4) | instid1(VALU_DEP_1)
	v_add_co_ci_u32_e64 v15, null, s11, v15, vcc_lo
	v_div_scale_f64 v[58:59], vcc_lo, 1.0, v[48:49], 1.0
	v_add_nc_u32_e32 v0, s2, v32
	global_load_b64 v[40:41], v[14:15], off
	v_mul_f64_e32 v[60:61], v[58:59], v[56:57]
	v_fma_f64 v[54:55], -v[54:55], v[60:61], v[58:59]
	s_wait_alu 0xfffd
	s_delay_alu instid0(VALU_DEP_1) | instskip(NEXT) | instid1(VALU_DEP_1)
	v_div_fmas_f64 v[54:55], v[54:55], v[56:57], v[60:61]
	v_div_fixup_f64 v[48:49], v[54:55], v[48:49], 1.0
	v_lshlrev_b64_e32 v[54:55], 3, v[32:33]
	v_lshlrev_b64_e32 v[32:33], 3, v[0:1]
	v_add_nc_u32_e32 v0, s2, v0
	s_delay_alu instid0(VALU_DEP_3) | instskip(SKIP_1) | instid1(VALU_DEP_4)
	v_add_co_u32 v56, vcc_lo, s6, v54
	s_wait_alu 0xfffd
	v_add_co_ci_u32_e64 v57, null, s7, v55, vcc_lo
	v_add_co_u32 v54, vcc_lo, s8, v54
	s_wait_alu 0xfffd
	v_add_co_ci_u32_e64 v55, null, s9, v55, vcc_lo
	global_load_b64 v[56:57], v[56:57], off
	s_wait_loadcnt 0x1
	v_mul_f64_e32 v[40:41], v[46:47], v[40:41]
	s_delay_alu instid0(VALU_DEP_1) | instskip(NEXT) | instid1(VALU_DEP_1)
	v_mul_f64_e32 v[48:49], v[48:49], v[40:41]
	v_min_num_f64_e32 v[48:49], s[0:1], v[48:49]
	s_wait_loadcnt 0x0
	s_delay_alu instid0(VALU_DEP_1) | instskip(SKIP_2) | instid1(VALU_DEP_1)
	v_mul_f64_e32 v[48:49], v[56:57], v[48:49]
	global_store_b64 v[54:55], v[48:49], off
	v_div_scale_f64 v[48:49], null, v[28:29], v[28:29], 1.0
	v_rcp_f64_e32 v[54:55], v[48:49]
	s_delay_alu instid0(TRANS32_DEP_1) | instskip(NEXT) | instid1(VALU_DEP_1)
	v_fma_f64 v[56:57], -v[48:49], v[54:55], 1.0
	v_fma_f64 v[54:55], v[54:55], v[56:57], v[54:55]
	s_delay_alu instid0(VALU_DEP_1) | instskip(NEXT) | instid1(VALU_DEP_1)
	v_fma_f64 v[56:57], -v[48:49], v[54:55], 1.0
	v_fma_f64 v[54:55], v[54:55], v[56:57], v[54:55]
	v_div_scale_f64 v[56:57], vcc_lo, 1.0, v[28:29], 1.0
	s_delay_alu instid0(VALU_DEP_1) | instskip(NEXT) | instid1(VALU_DEP_1)
	v_mul_f64_e32 v[58:59], v[56:57], v[54:55]
	v_fma_f64 v[48:49], -v[48:49], v[58:59], v[56:57]
	s_wait_alu 0xfffd
	s_delay_alu instid0(VALU_DEP_1) | instskip(NEXT) | instid1(VALU_DEP_1)
	v_div_fmas_f64 v[48:49], v[48:49], v[54:55], v[58:59]
	v_div_fixup_f64 v[28:29], v[48:49], v[28:29], 1.0
	s_delay_alu instid0(VALU_DEP_1)
	v_mul_f64_e32 v[28:29], v[28:29], v[40:41]
	v_add_co_u32 v40, vcc_lo, s6, v32
	s_wait_alu 0xfffd
	v_add_co_ci_u32_e64 v41, null, s7, v33, vcc_lo
	v_add_co_u32 v32, vcc_lo, s8, v32
	s_wait_alu 0xfffd
	v_add_co_ci_u32_e64 v33, null, s9, v33, vcc_lo
	global_load_b64 v[40:41], v[40:41], off
	v_min_num_f64_e32 v[28:29], s[0:1], v[28:29]
	s_wait_loadcnt 0x0
	s_delay_alu instid0(VALU_DEP_1) | instskip(SKIP_4) | instid1(VALU_DEP_3)
	v_mul_f64_e32 v[28:29], v[40:41], v[28:29]
	global_store_b64 v[32:33], v[28:29], off
	v_mul_f64_e32 v[28:29], v[22:23], v[46:47]
	v_lshlrev_b64_e32 v[32:33], 3, v[0:1]
	v_mul_f64_e32 v[22:23], v[22:23], v[30:31]
	v_mul_f64_e32 v[28:29], v[36:37], v[28:29]
	s_delay_alu instid0(VALU_DEP_3) | instskip(SKIP_1) | instid1(VALU_DEP_4)
	v_add_co_u32 v36, vcc_lo, s6, v32
	s_wait_alu 0xfffd
	v_add_co_ci_u32_e64 v37, null, s7, v33, vcc_lo
	v_add_co_u32 v32, vcc_lo, s8, v32
	s_wait_alu 0xfffd
	v_add_co_ci_u32_e64 v33, null, s9, v33, vcc_lo
	global_load_b64 v[36:37], v[36:37], off
	v_mul_f64_e32 v[22:23], v[22:23], v[44:45]
	v_min_num_f64_e32 v[28:29], s[0:1], v[28:29]
	s_delay_alu instid0(VALU_DEP_2) | instskip(SKIP_1) | instid1(VALU_DEP_2)
	v_mul_f64_e32 v[22:23], v[16:17], v[22:23]
	s_wait_loadcnt 0x0
	v_mul_f64_e32 v[28:29], v[28:29], v[36:37]
	global_store_b64 v[32:33], v[28:29], off
	v_mad_co_u64_u32 v[32:33], null, 0xffffffcd, s2, v[0:1]
	v_mov_b32_e32 v33, v1
	v_mul_f64_e32 v[28:29], v[52:53], v[46:47]
	s_delay_alu instid0(VALU_DEP_2) | instskip(SKIP_2) | instid1(VALU_DEP_3)
	v_lshlrev_b64_e32 v[36:37], 3, v[32:33]
	v_mad_co_u64_u32 v[32:33], null, s2, 52, v[32:33]
	v_mov_b32_e32 v33, v1
	v_add_co_u32 v36, vcc_lo, s10, v36
	s_wait_alu 0xfffd
	s_delay_alu instid0(VALU_DEP_4) | instskip(NEXT) | instid1(VALU_DEP_4)
	v_add_co_ci_u32_e64 v37, null, s11, v37, vcc_lo
	v_add_nc_u32_e32 v0, s2, v32
	global_load_b64 v[36:37], v[36:37], off
	s_wait_loadcnt 0x0
	v_mul_f64_e32 v[36:37], v[30:31], v[36:37]
	s_delay_alu instid0(VALU_DEP_1) | instskip(NEXT) | instid1(VALU_DEP_1)
	v_div_scale_f64 v[40:41], null, v[36:37], v[36:37], 1.0
	v_rcp_f64_e32 v[48:49], v[40:41]
	s_delay_alu instid0(TRANS32_DEP_1) | instskip(NEXT) | instid1(VALU_DEP_1)
	v_fma_f64 v[52:53], -v[40:41], v[48:49], 1.0
	v_fma_f64 v[48:49], v[48:49], v[52:53], v[48:49]
	s_delay_alu instid0(VALU_DEP_1) | instskip(NEXT) | instid1(VALU_DEP_1)
	v_fma_f64 v[52:53], -v[40:41], v[48:49], 1.0
	v_fma_f64 v[48:49], v[48:49], v[52:53], v[48:49]
	v_div_scale_f64 v[52:53], vcc_lo, 1.0, v[36:37], 1.0
	s_delay_alu instid0(VALU_DEP_1) | instskip(NEXT) | instid1(VALU_DEP_1)
	v_mul_f64_e32 v[54:55], v[52:53], v[48:49]
	v_fma_f64 v[40:41], -v[40:41], v[54:55], v[52:53]
	s_wait_alu 0xfffd
	s_delay_alu instid0(VALU_DEP_1) | instskip(NEXT) | instid1(VALU_DEP_1)
	v_div_fmas_f64 v[40:41], v[40:41], v[48:49], v[54:55]
	v_div_fixup_f64 v[36:37], v[40:41], v[36:37], 1.0
	s_delay_alu instid0(VALU_DEP_1) | instskip(SKIP_1) | instid1(VALU_DEP_1)
	v_mul_f64_e32 v[28:29], v[28:29], v[36:37]
	v_lshlrev_b64_e32 v[36:37], 3, v[32:33]
	v_add_co_u32 v40, vcc_lo, s6, v36
	s_wait_alu 0xfffd
	s_delay_alu instid0(VALU_DEP_2)
	v_add_co_ci_u32_e64 v41, null, s7, v37, vcc_lo
	v_add_co_u32 v36, vcc_lo, s8, v36
	s_wait_alu 0xfffd
	v_add_co_ci_u32_e64 v37, null, s9, v37, vcc_lo
	global_load_b64 v[40:41], v[40:41], off
	v_min_num_f64_e32 v[28:29], s[0:1], v[28:29]
	s_wait_loadcnt 0x0
	s_delay_alu instid0(VALU_DEP_1) | instskip(SKIP_2) | instid1(VALU_DEP_1)
	v_mul_f64_e32 v[28:29], v[40:41], v[28:29]
	global_store_b64 v[36:37], v[28:29], off
	v_div_scale_f64 v[28:29], null, v[22:23], v[22:23], 1.0
	v_rcp_f64_e32 v[30:31], v[28:29]
	s_delay_alu instid0(TRANS32_DEP_1) | instskip(NEXT) | instid1(VALU_DEP_1)
	v_fma_f64 v[36:37], -v[28:29], v[30:31], 1.0
	v_fma_f64 v[30:31], v[30:31], v[36:37], v[30:31]
	s_delay_alu instid0(VALU_DEP_1) | instskip(NEXT) | instid1(VALU_DEP_1)
	v_fma_f64 v[36:37], -v[28:29], v[30:31], 1.0
	v_fma_f64 v[30:31], v[30:31], v[36:37], v[30:31]
	v_div_scale_f64 v[36:37], vcc_lo, 1.0, v[22:23], 1.0
	s_delay_alu instid0(VALU_DEP_1) | instskip(NEXT) | instid1(VALU_DEP_1)
	v_mul_f64_e32 v[40:41], v[36:37], v[30:31]
	v_fma_f64 v[28:29], -v[28:29], v[40:41], v[36:37]
	s_wait_alu 0xfffd
	s_delay_alu instid0(VALU_DEP_1) | instskip(NEXT) | instid1(VALU_DEP_1)
	v_div_fmas_f64 v[28:29], v[28:29], v[30:31], v[40:41]
	v_div_fixup_f64 v[22:23], v[28:29], v[22:23], 1.0
	v_lshlrev_b64_e32 v[28:29], 3, v[0:1]
	v_add_nc_u32_e32 v0, s2, v0
	s_delay_alu instid0(VALU_DEP_2) | instskip(SKIP_1) | instid1(VALU_DEP_3)
	v_add_co_u32 v30, vcc_lo, s6, v28
	s_wait_alu 0xfffd
	v_add_co_ci_u32_e64 v31, null, s7, v29, vcc_lo
	v_add_co_u32 v28, vcc_lo, s8, v28
	s_wait_alu 0xfffd
	v_add_co_ci_u32_e64 v29, null, s9, v29, vcc_lo
	global_load_b64 v[30:31], v[30:31], off
	v_mul_f64_e32 v[22:23], v[22:23], v[18:19]
	s_delay_alu instid0(VALU_DEP_1) | instskip(SKIP_1) | instid1(VALU_DEP_1)
	v_min_num_f64_e32 v[22:23], s[0:1], v[22:23]
	s_wait_loadcnt 0x0
	v_mul_f64_e32 v[22:23], v[22:23], v[30:31]
	global_store_b64 v[28:29], v[22:23], off
	v_mul_f64_e32 v[22:23], v[38:39], v[44:45]
	s_delay_alu instid0(VALU_DEP_1) | instskip(NEXT) | instid1(VALU_DEP_1)
	v_div_scale_f64 v[28:29], null, v[22:23], v[22:23], 1.0
	v_rcp_f64_e32 v[30:31], v[28:29]
	s_delay_alu instid0(TRANS32_DEP_1) | instskip(NEXT) | instid1(VALU_DEP_1)
	v_fma_f64 v[32:33], -v[28:29], v[30:31], 1.0
	v_fma_f64 v[30:31], v[30:31], v[32:33], v[30:31]
	s_delay_alu instid0(VALU_DEP_1) | instskip(NEXT) | instid1(VALU_DEP_1)
	v_fma_f64 v[32:33], -v[28:29], v[30:31], 1.0
	v_fma_f64 v[30:31], v[30:31], v[32:33], v[30:31]
	v_div_scale_f64 v[32:33], vcc_lo, 1.0, v[22:23], 1.0
	s_delay_alu instid0(VALU_DEP_1) | instskip(NEXT) | instid1(VALU_DEP_1)
	v_mul_f64_e32 v[36:37], v[32:33], v[30:31]
	v_fma_f64 v[28:29], -v[28:29], v[36:37], v[32:33]
	s_wait_alu 0xfffd
	s_delay_alu instid0(VALU_DEP_1) | instskip(NEXT) | instid1(VALU_DEP_1)
	v_div_fmas_f64 v[28:29], v[28:29], v[30:31], v[36:37]
	v_div_fixup_f64 v[22:23], v[28:29], v[22:23], 1.0
	s_delay_alu instid0(VALU_DEP_1) | instskip(SKIP_2) | instid1(VALU_DEP_2)
	v_mul_f64_e32 v[18:19], v[22:23], v[18:19]
	v_lshlrev_b64_e32 v[22:23], 3, v[0:1]
	v_add_nc_u32_e32 v0, s2, v0
	v_add_co_u32 v28, vcc_lo, s6, v22
	s_wait_alu 0xfffd
	s_delay_alu instid0(VALU_DEP_3)
	v_add_co_ci_u32_e64 v29, null, s7, v23, vcc_lo
	v_add_co_u32 v22, vcc_lo, s8, v22
	s_wait_alu 0xfffd
	v_add_co_ci_u32_e64 v23, null, s9, v23, vcc_lo
	global_load_b64 v[28:29], v[28:29], off
	v_min_num_f64_e32 v[18:19], s[0:1], v[18:19]
	s_wait_loadcnt 0x0
	s_delay_alu instid0(VALU_DEP_1) | instskip(SKIP_2) | instid1(VALU_DEP_1)
	v_mul_f64_e32 v[18:19], v[18:19], v[28:29]
	global_store_b64 v[22:23], v[18:19], off
	v_div_scale_f64 v[18:19], null, v[12:13], v[12:13], 1.0
	v_rcp_f64_e32 v[22:23], v[18:19]
	s_delay_alu instid0(TRANS32_DEP_1) | instskip(NEXT) | instid1(VALU_DEP_1)
	v_fma_f64 v[28:29], -v[18:19], v[22:23], 1.0
	v_fma_f64 v[22:23], v[22:23], v[28:29], v[22:23]
	s_delay_alu instid0(VALU_DEP_1) | instskip(NEXT) | instid1(VALU_DEP_1)
	v_fma_f64 v[28:29], -v[18:19], v[22:23], 1.0
	v_fma_f64 v[22:23], v[22:23], v[28:29], v[22:23]
	v_div_scale_f64 v[28:29], vcc_lo, 1.0, v[12:13], 1.0
	s_delay_alu instid0(VALU_DEP_1) | instskip(NEXT) | instid1(VALU_DEP_1)
	v_mul_f64_e32 v[30:31], v[28:29], v[22:23]
	v_fma_f64 v[18:19], -v[18:19], v[30:31], v[28:29]
	s_wait_alu 0xfffd
	s_delay_alu instid0(VALU_DEP_1) | instskip(SKIP_2) | instid1(VALU_DEP_2)
	v_div_fmas_f64 v[18:19], v[18:19], v[22:23], v[30:31]
	v_lshlrev_b64_e32 v[22:23], 3, v[0:1]
	v_add_nc_u32_e32 v0, s2, v0
	v_add_co_u32 v28, vcc_lo, s6, v22
	s_wait_alu 0xfffd
	s_delay_alu instid0(VALU_DEP_3)
	v_add_co_ci_u32_e64 v29, null, s7, v23, vcc_lo
	v_add_co_u32 v22, vcc_lo, s8, v22
	s_wait_alu 0xfffd
	v_add_co_ci_u32_e64 v23, null, s9, v23, vcc_lo
	global_load_b64 v[28:29], v[28:29], off
	v_div_fixup_f64 v[12:13], v[18:19], v[12:13], 1.0
	s_delay_alu instid0(VALU_DEP_1) | instskip(NEXT) | instid1(VALU_DEP_1)
	v_mul_f64_e32 v[18:19], v[46:47], v[12:13]
	v_min_num_f64_e32 v[18:19], s[0:1], v[18:19]
	s_wait_loadcnt 0x0
	s_delay_alu instid0(VALU_DEP_1) | instskip(SKIP_4) | instid1(VALU_DEP_2)
	v_mul_f64_e32 v[18:19], v[28:29], v[18:19]
	global_store_b64 v[22:23], v[18:19], off
	global_load_b64 v[18:19], v[34:35], off
	v_lshlrev_b64_e32 v[22:23], 3, v[0:1]
	v_add_nc_u32_e32 v0, s2, v0
	v_add_co_u32 v28, vcc_lo, s6, v22
	s_wait_alu 0xfffd
	s_delay_alu instid0(VALU_DEP_3)
	v_add_co_ci_u32_e64 v29, null, s7, v23, vcc_lo
	v_add_co_u32 v22, vcc_lo, s8, v22
	s_wait_alu 0xfffd
	v_add_co_ci_u32_e64 v23, null, s9, v23, vcc_lo
	global_load_b64 v[28:29], v[28:29], off
	s_wait_loadcnt 0x1
	v_mul_f64_e32 v[12:13], v[18:19], v[12:13]
	s_delay_alu instid0(VALU_DEP_1) | instskip(SKIP_1) | instid1(VALU_DEP_1)
	v_min_num_f64_e32 v[12:13], s[0:1], v[12:13]
	s_wait_loadcnt 0x0
	v_mul_f64_e32 v[28:29], v[28:29], v[12:13]
	global_store_b64 v[22:23], v[28:29], off
	v_lshlrev_b64_e32 v[22:23], 3, v[0:1]
	v_add_nc_u32_e32 v0, s2, v0
	s_delay_alu instid0(VALU_DEP_2) | instskip(SKIP_1) | instid1(VALU_DEP_3)
	v_add_co_u32 v28, vcc_lo, s6, v22
	s_wait_alu 0xfffd
	v_add_co_ci_u32_e64 v29, null, s7, v23, vcc_lo
	v_add_co_u32 v22, vcc_lo, s8, v22
	s_wait_alu 0xfffd
	v_add_co_ci_u32_e64 v23, null, s9, v23, vcc_lo
	global_load_b64 v[28:29], v[28:29], off
	s_wait_loadcnt 0x0
	v_mul_f64_e32 v[12:13], v[28:29], v[12:13]
	global_store_b64 v[22:23], v[12:13], off
	global_load_b64 v[12:13], v[24:25], off
	s_wait_loadcnt 0x0
	v_mul_f64_e32 v[18:19], v[18:19], v[12:13]
	s_clause 0x1
	global_load_b64 v[22:23], v[42:43], off
	global_load_b64 v[12:13], v[26:27], off
	s_wait_loadcnt 0x0
	v_mul_f64_e32 v[22:23], v[22:23], v[12:13]
	s_delay_alu instid0(VALU_DEP_1) | instskip(NEXT) | instid1(VALU_DEP_1)
	v_div_scale_f64 v[24:25], null, v[22:23], v[22:23], 1.0
	v_rcp_f64_e32 v[26:27], v[24:25]
	s_delay_alu instid0(TRANS32_DEP_1) | instskip(NEXT) | instid1(VALU_DEP_1)
	v_fma_f64 v[28:29], -v[24:25], v[26:27], 1.0
	v_fma_f64 v[26:27], v[26:27], v[28:29], v[26:27]
	s_delay_alu instid0(VALU_DEP_1) | instskip(NEXT) | instid1(VALU_DEP_1)
	v_fma_f64 v[28:29], -v[24:25], v[26:27], 1.0
	v_fma_f64 v[26:27], v[26:27], v[28:29], v[26:27]
	v_div_scale_f64 v[28:29], vcc_lo, 1.0, v[22:23], 1.0
	s_delay_alu instid0(VALU_DEP_1) | instskip(NEXT) | instid1(VALU_DEP_1)
	v_mul_f64_e32 v[30:31], v[28:29], v[26:27]
	v_fma_f64 v[24:25], -v[24:25], v[30:31], v[28:29]
	s_wait_alu 0xfffd
	s_delay_alu instid0(VALU_DEP_1) | instskip(NEXT) | instid1(VALU_DEP_1)
	v_div_fmas_f64 v[24:25], v[24:25], v[26:27], v[30:31]
	v_div_fixup_f64 v[22:23], v[24:25], v[22:23], 1.0
	s_delay_alu instid0(VALU_DEP_1) | instskip(SKIP_1) | instid1(VALU_DEP_1)
	v_mul_f64_e32 v[18:19], v[18:19], v[22:23]
	v_lshlrev_b64_e32 v[22:23], 3, v[0:1]
	v_add_co_u32 v24, vcc_lo, s6, v22
	s_wait_alu 0xfffd
	s_delay_alu instid0(VALU_DEP_2)
	v_add_co_ci_u32_e64 v25, null, s7, v23, vcc_lo
	v_add_co_u32 v22, vcc_lo, s8, v22
	s_wait_alu 0xfffd
	v_add_co_ci_u32_e64 v23, null, s9, v23, vcc_lo
	global_load_b64 v[24:25], v[24:25], off
	v_min_num_f64_e32 v[18:19], s[0:1], v[18:19]
	s_wait_loadcnt 0x0
	s_delay_alu instid0(VALU_DEP_1) | instskip(SKIP_4) | instid1(VALU_DEP_1)
	v_mul_f64_e32 v[18:19], v[24:25], v[18:19]
	global_store_b64 v[22:23], v[18:19], off
	global_load_b64 v[18:19], v[20:21], off
	v_mad_co_u64_u32 v[20:21], null, 0xffffffcc, s2, v[0:1]
	v_mov_b32_e32 v21, v1
	v_lshlrev_b64_e32 v[21:22], 3, v[20:21]
	s_delay_alu instid0(VALU_DEP_1) | instskip(SKIP_1) | instid1(VALU_DEP_2)
	v_add_co_u32 v21, vcc_lo, s10, v21
	s_wait_alu 0xfffd
	v_add_co_ci_u32_e64 v22, null, s11, v22, vcc_lo
	global_load_b64 v[21:22], v[21:22], off
	s_wait_loadcnt 0x1
	v_mul_f64_e32 v[18:19], v[18:19], v[12:13]
	s_wait_loadcnt 0x0
	v_div_scale_f64 v[23:24], null, v[21:22], v[21:22], 1.0
	s_delay_alu instid0(VALU_DEP_2) | instskip(NEXT) | instid1(VALU_DEP_2)
	v_mul_f64_e32 v[16:17], v[16:17], v[18:19]
	v_rcp_f64_e32 v[25:26], v[23:24]
	s_delay_alu instid0(TRANS32_DEP_1) | instskip(NEXT) | instid1(VALU_DEP_1)
	v_fma_f64 v[27:28], -v[23:24], v[25:26], 1.0
	v_fma_f64 v[25:26], v[25:26], v[27:28], v[25:26]
	s_delay_alu instid0(VALU_DEP_1) | instskip(NEXT) | instid1(VALU_DEP_1)
	v_fma_f64 v[27:28], -v[23:24], v[25:26], 1.0
	v_fma_f64 v[25:26], v[25:26], v[27:28], v[25:26]
	v_div_scale_f64 v[27:28], vcc_lo, 1.0, v[21:22], 1.0
	s_delay_alu instid0(VALU_DEP_1) | instskip(NEXT) | instid1(VALU_DEP_1)
	v_mul_f64_e32 v[29:30], v[27:28], v[25:26]
	v_fma_f64 v[23:24], -v[23:24], v[29:30], v[27:28]
	s_wait_alu 0xfffd
	s_delay_alu instid0(VALU_DEP_1) | instskip(NEXT) | instid1(VALU_DEP_1)
	v_div_fmas_f64 v[23:24], v[23:24], v[25:26], v[29:30]
	v_div_fixup_f64 v[21:22], v[23:24], v[21:22], 1.0
	s_delay_alu instid0(VALU_DEP_1) | instskip(NEXT) | instid1(VALU_DEP_1)
	v_mul_f64_e32 v[21:22], v[16:17], v[21:22]
	v_mad_co_u64_u32 v[16:17], null, s2, 53, v[20:21]
	v_mov_b32_e32 v17, v1
	s_delay_alu instid0(VALU_DEP_3) | instskip(NEXT) | instid1(VALU_DEP_2)
	v_min_num_f64_e32 v[20:21], s[0:1], v[21:22]
	v_lshlrev_b64_e32 v[23:24], 3, v[16:17]
	v_add_nc_u32_e32 v0, s2, v16
	s_delay_alu instid0(VALU_DEP_2) | instskip(SKIP_1) | instid1(VALU_DEP_3)
	v_add_co_u32 v25, vcc_lo, s6, v23
	s_wait_alu 0xfffd
	v_add_co_ci_u32_e64 v26, null, s7, v24, vcc_lo
	v_add_co_u32 v22, vcc_lo, s8, v23
	s_wait_alu 0xfffd
	v_add_co_ci_u32_e64 v23, null, s9, v24, vcc_lo
	global_load_b64 v[25:26], v[25:26], off
	s_wait_loadcnt 0x0
	v_mul_f64_e32 v[20:21], v[25:26], v[20:21]
	global_store_b64 v[22:23], v[20:21], off
	s_clause 0x6
	global_load_b64 v[20:21], v[50:51], off
	global_load_b64 v[8:9], v[8:9], off
	;; [unrolled: 1-line block ×7, first 2 shown]
	s_wait_loadcnt 0x5
	v_mul_f64_e32 v[20:21], v[20:21], v[8:9]
	s_wait_loadcnt 0x3
	v_mul_f64_e32 v[10:11], v[10:11], v[8:9]
	;; [unrolled: 2-line block ×5, first 2 shown]
	v_div_scale_f64 v[22:23], null, v[20:21], v[20:21], 1.0
	s_delay_alu instid0(VALU_DEP_1) | instskip(NEXT) | instid1(TRANS32_DEP_1)
	v_rcp_f64_e32 v[24:25], v[22:23]
	v_fma_f64 v[26:27], -v[22:23], v[24:25], 1.0
	s_delay_alu instid0(VALU_DEP_1) | instskip(NEXT) | instid1(VALU_DEP_1)
	v_fma_f64 v[24:25], v[24:25], v[26:27], v[24:25]
	v_fma_f64 v[26:27], -v[22:23], v[24:25], 1.0
	s_delay_alu instid0(VALU_DEP_1) | instskip(SKIP_1) | instid1(VALU_DEP_1)
	v_fma_f64 v[24:25], v[24:25], v[26:27], v[24:25]
	v_div_scale_f64 v[26:27], vcc_lo, 1.0, v[20:21], 1.0
	v_mul_f64_e32 v[28:29], v[26:27], v[24:25]
	s_delay_alu instid0(VALU_DEP_1) | instskip(SKIP_1) | instid1(VALU_DEP_1)
	v_fma_f64 v[22:23], -v[22:23], v[28:29], v[26:27]
	s_wait_alu 0xfffd
	v_div_fmas_f64 v[22:23], v[22:23], v[24:25], v[28:29]
	s_delay_alu instid0(VALU_DEP_1) | instskip(NEXT) | instid1(VALU_DEP_1)
	v_div_fixup_f64 v[20:21], v[22:23], v[20:21], 1.0
	v_mul_f64_e32 v[17:18], v[18:19], v[20:21]
	v_lshlrev_b64_e32 v[19:20], 3, v[0:1]
	v_add_nc_u32_e32 v0, s2, v0
	s_delay_alu instid0(VALU_DEP_2) | instskip(SKIP_1) | instid1(VALU_DEP_3)
	v_add_co_u32 v21, vcc_lo, s6, v19
	s_wait_alu 0xfffd
	v_add_co_ci_u32_e64 v22, null, s7, v20, vcc_lo
	global_load_b64 v[21:22], v[21:22], off
	v_min_num_f64_e32 v[16:17], s[0:1], v[17:18]
	v_add_co_u32 v18, vcc_lo, s8, v19
	s_wait_alu 0xfffd
	v_add_co_ci_u32_e64 v19, null, s9, v20, vcc_lo
	s_wait_loadcnt 0x0
	s_delay_alu instid0(VALU_DEP_3) | instskip(SKIP_3) | instid1(VALU_DEP_2)
	v_mul_f64_e32 v[16:17], v[21:22], v[16:17]
	global_store_b64 v[18:19], v[16:17], off
	v_mul_f64_e32 v[16:17], v[6:7], v[8:9]
	v_mul_f64_e32 v[6:7], v[6:7], v[12:13]
	v_div_scale_f64 v[18:19], null, v[16:17], v[16:17], 1.0
	s_delay_alu instid0(VALU_DEP_1) | instskip(NEXT) | instid1(TRANS32_DEP_1)
	v_rcp_f64_e32 v[20:21], v[18:19]
	v_fma_f64 v[22:23], -v[18:19], v[20:21], 1.0
	s_delay_alu instid0(VALU_DEP_1) | instskip(NEXT) | instid1(VALU_DEP_1)
	v_fma_f64 v[20:21], v[20:21], v[22:23], v[20:21]
	v_fma_f64 v[22:23], -v[18:19], v[20:21], 1.0
	s_delay_alu instid0(VALU_DEP_1) | instskip(SKIP_1) | instid1(VALU_DEP_1)
	v_fma_f64 v[20:21], v[20:21], v[22:23], v[20:21]
	v_div_scale_f64 v[22:23], vcc_lo, 1.0, v[16:17], 1.0
	v_mul_f64_e32 v[24:25], v[22:23], v[20:21]
	s_delay_alu instid0(VALU_DEP_1) | instskip(SKIP_1) | instid1(VALU_DEP_1)
	v_fma_f64 v[18:19], -v[18:19], v[24:25], v[22:23]
	s_wait_alu 0xfffd
	v_div_fmas_f64 v[18:19], v[18:19], v[20:21], v[24:25]
	s_delay_alu instid0(VALU_DEP_1) | instskip(NEXT) | instid1(VALU_DEP_1)
	v_div_fixup_f64 v[16:17], v[18:19], v[16:17], 1.0
	v_mul_f64_e32 v[14:15], v[14:15], v[16:17]
	v_lshlrev_b64_e32 v[16:17], 3, v[0:1]
	v_add_nc_u32_e32 v0, s2, v0
	s_delay_alu instid0(VALU_DEP_2) | instskip(SKIP_1) | instid1(VALU_DEP_3)
	v_add_co_u32 v18, vcc_lo, s6, v16
	s_wait_alu 0xfffd
	v_add_co_ci_u32_e64 v19, null, s7, v17, vcc_lo
	v_add_co_u32 v16, vcc_lo, s8, v16
	s_wait_alu 0xfffd
	v_add_co_ci_u32_e64 v17, null, s9, v17, vcc_lo
	global_load_b64 v[18:19], v[18:19], off
	v_min_num_f64_e32 v[14:15], s[0:1], v[14:15]
	s_wait_loadcnt 0x0
	s_delay_alu instid0(VALU_DEP_1) | instskip(SKIP_2) | instid1(VALU_DEP_1)
	v_mul_f64_e32 v[14:15], v[18:19], v[14:15]
	global_store_b64 v[16:17], v[14:15], off
	v_div_scale_f64 v[14:15], null, v[10:11], v[10:11], 1.0
	v_rcp_f64_e32 v[16:17], v[14:15]
	s_delay_alu instid0(TRANS32_DEP_1) | instskip(NEXT) | instid1(VALU_DEP_1)
	v_fma_f64 v[18:19], -v[14:15], v[16:17], 1.0
	v_fma_f64 v[16:17], v[16:17], v[18:19], v[16:17]
	s_delay_alu instid0(VALU_DEP_1) | instskip(NEXT) | instid1(VALU_DEP_1)
	v_fma_f64 v[18:19], -v[14:15], v[16:17], 1.0
	v_fma_f64 v[16:17], v[16:17], v[18:19], v[16:17]
	v_div_scale_f64 v[18:19], vcc_lo, 1.0, v[10:11], 1.0
	s_delay_alu instid0(VALU_DEP_1) | instskip(NEXT) | instid1(VALU_DEP_1)
	v_mul_f64_e32 v[20:21], v[18:19], v[16:17]
	v_fma_f64 v[14:15], -v[14:15], v[20:21], v[18:19]
	s_wait_alu 0xfffd
	s_delay_alu instid0(VALU_DEP_1) | instskip(NEXT) | instid1(VALU_DEP_1)
	v_div_fmas_f64 v[14:15], v[14:15], v[16:17], v[20:21]
	v_div_fixup_f64 v[10:11], v[14:15], v[10:11], 1.0
	s_delay_alu instid0(VALU_DEP_1) | instskip(SKIP_2) | instid1(VALU_DEP_2)
	v_mul_f64_e32 v[6:7], v[6:7], v[10:11]
	v_lshlrev_b64_e32 v[10:11], 3, v[0:1]
	v_add_nc_u32_e32 v0, s2, v0
	v_add_co_u32 v14, vcc_lo, s6, v10
	s_wait_alu 0xfffd
	s_delay_alu instid0(VALU_DEP_3)
	v_add_co_ci_u32_e64 v15, null, s7, v11, vcc_lo
	v_add_co_u32 v10, vcc_lo, s8, v10
	s_wait_alu 0xfffd
	v_add_co_ci_u32_e64 v11, null, s9, v11, vcc_lo
	global_load_b64 v[14:15], v[14:15], off
	v_lshlrev_b64_e32 v[0:1], 3, v[0:1]
	v_min_num_f64_e32 v[6:7], s[0:1], v[6:7]
	s_wait_loadcnt 0x0
	s_delay_alu instid0(VALU_DEP_1) | instskip(SKIP_2) | instid1(VALU_DEP_1)
	v_mul_f64_e32 v[6:7], v[14:15], v[6:7]
	global_store_b64 v[10:11], v[6:7], off
	v_div_scale_f64 v[6:7], null, v[4:5], v[4:5], 1.0
	v_rcp_f64_e32 v[8:9], v[6:7]
	s_delay_alu instid0(TRANS32_DEP_1) | instskip(NEXT) | instid1(VALU_DEP_1)
	v_fma_f64 v[10:11], -v[6:7], v[8:9], 1.0
	v_fma_f64 v[8:9], v[8:9], v[10:11], v[8:9]
	s_delay_alu instid0(VALU_DEP_1) | instskip(NEXT) | instid1(VALU_DEP_1)
	v_fma_f64 v[10:11], -v[6:7], v[8:9], 1.0
	v_fma_f64 v[8:9], v[8:9], v[10:11], v[8:9]
	v_div_scale_f64 v[10:11], vcc_lo, 1.0, v[4:5], 1.0
	s_delay_alu instid0(VALU_DEP_1) | instskip(NEXT) | instid1(VALU_DEP_1)
	v_mul_f64_e32 v[12:13], v[10:11], v[8:9]
	v_fma_f64 v[6:7], -v[6:7], v[12:13], v[10:11]
	s_wait_alu 0xfffd
	s_delay_alu instid0(VALU_DEP_1) | instskip(NEXT) | instid1(VALU_DEP_1)
	v_div_fmas_f64 v[6:7], v[6:7], v[8:9], v[12:13]
	v_div_fixup_f64 v[4:5], v[6:7], v[4:5], 1.0
	s_delay_alu instid0(VALU_DEP_1)
	v_mul_f64_e32 v[2:3], v[2:3], v[4:5]
	v_add_co_u32 v4, vcc_lo, s6, v0
	s_wait_alu 0xfffd
	v_add_co_ci_u32_e64 v5, null, s7, v1, vcc_lo
	v_add_co_u32 v0, vcc_lo, s8, v0
	s_wait_alu 0xfffd
	v_add_co_ci_u32_e64 v1, null, s9, v1, vcc_lo
	global_load_b64 v[4:5], v[4:5], off
	v_min_num_f64_e32 v[2:3], s[0:1], v[2:3]
	s_wait_loadcnt 0x0
	s_delay_alu instid0(VALU_DEP_1)
	v_mul_f64_e32 v[2:3], v[4:5], v[2:3]
	global_store_b64 v[0:1], v[2:3], off
	s_endpgm
	.section	.rodata,"a",@progbits
	.p2align	6, 0x0
	.amdhsa_kernel _Z12ratt4_kernelIdEvPKT_S2_PS0_S2_S0_
		.amdhsa_group_segment_fixed_size 0
		.amdhsa_private_segment_fixed_size 0
		.amdhsa_kernarg_size 296
		.amdhsa_user_sgpr_count 2
		.amdhsa_user_sgpr_dispatch_ptr 0
		.amdhsa_user_sgpr_queue_ptr 0
		.amdhsa_user_sgpr_kernarg_segment_ptr 1
		.amdhsa_user_sgpr_dispatch_id 0
		.amdhsa_user_sgpr_private_segment_size 0
		.amdhsa_wavefront_size32 1
		.amdhsa_uses_dynamic_stack 0
		.amdhsa_enable_private_segment 0
		.amdhsa_system_sgpr_workgroup_id_x 1
		.amdhsa_system_sgpr_workgroup_id_y 0
		.amdhsa_system_sgpr_workgroup_id_z 0
		.amdhsa_system_sgpr_workgroup_info 0
		.amdhsa_system_vgpr_workitem_id 0
		.amdhsa_next_free_vgpr 62
		.amdhsa_next_free_sgpr 15
		.amdhsa_reserve_vcc 1
		.amdhsa_float_round_mode_32 0
		.amdhsa_float_round_mode_16_64 0
		.amdhsa_float_denorm_mode_32 3
		.amdhsa_float_denorm_mode_16_64 3
		.amdhsa_fp16_overflow 0
		.amdhsa_workgroup_processor_mode 1
		.amdhsa_memory_ordered 1
		.amdhsa_forward_progress 1
		.amdhsa_inst_pref_size 50
		.amdhsa_round_robin_scheduling 0
		.amdhsa_exception_fp_ieee_invalid_op 0
		.amdhsa_exception_fp_denorm_src 0
		.amdhsa_exception_fp_ieee_div_zero 0
		.amdhsa_exception_fp_ieee_overflow 0
		.amdhsa_exception_fp_ieee_underflow 0
		.amdhsa_exception_fp_ieee_inexact 0
		.amdhsa_exception_int_div_zero 0
	.end_amdhsa_kernel
	.section	.text._Z12ratt4_kernelIdEvPKT_S2_PS0_S2_S0_,"axG",@progbits,_Z12ratt4_kernelIdEvPKT_S2_PS0_S2_S0_,comdat
.Lfunc_end32:
	.size	_Z12ratt4_kernelIdEvPKT_S2_PS0_S2_S0_, .Lfunc_end32-_Z12ratt4_kernelIdEvPKT_S2_PS0_S2_S0_
                                        ; -- End function
	.set _Z12ratt4_kernelIdEvPKT_S2_PS0_S2_S0_.num_vgpr, 62
	.set _Z12ratt4_kernelIdEvPKT_S2_PS0_S2_S0_.num_agpr, 0
	.set _Z12ratt4_kernelIdEvPKT_S2_PS0_S2_S0_.numbered_sgpr, 15
	.set _Z12ratt4_kernelIdEvPKT_S2_PS0_S2_S0_.num_named_barrier, 0
	.set _Z12ratt4_kernelIdEvPKT_S2_PS0_S2_S0_.private_seg_size, 0
	.set _Z12ratt4_kernelIdEvPKT_S2_PS0_S2_S0_.uses_vcc, 1
	.set _Z12ratt4_kernelIdEvPKT_S2_PS0_S2_S0_.uses_flat_scratch, 0
	.set _Z12ratt4_kernelIdEvPKT_S2_PS0_S2_S0_.has_dyn_sized_stack, 0
	.set _Z12ratt4_kernelIdEvPKT_S2_PS0_S2_S0_.has_recursion, 0
	.set _Z12ratt4_kernelIdEvPKT_S2_PS0_S2_S0_.has_indirect_call, 0
	.section	.AMDGPU.csdata,"",@progbits
; Kernel info:
; codeLenInByte = 6364
; TotalNumSgprs: 17
; NumVgprs: 62
; ScratchSize: 0
; MemoryBound: 0
; FloatMode: 240
; IeeeMode: 1
; LDSByteSize: 0 bytes/workgroup (compile time only)
; SGPRBlocks: 0
; VGPRBlocks: 7
; NumSGPRsForWavesPerEU: 17
; NumVGPRsForWavesPerEU: 62
; Occupancy: 16
; WaveLimiterHint : 0
; COMPUTE_PGM_RSRC2:SCRATCH_EN: 0
; COMPUTE_PGM_RSRC2:USER_SGPR: 2
; COMPUTE_PGM_RSRC2:TRAP_HANDLER: 0
; COMPUTE_PGM_RSRC2:TGID_X_EN: 1
; COMPUTE_PGM_RSRC2:TGID_Y_EN: 0
; COMPUTE_PGM_RSRC2:TGID_Z_EN: 0
; COMPUTE_PGM_RSRC2:TIDIG_COMP_CNT: 0
	.section	.text._Z12ratt5_kernelIdEvPKT_S2_PS0_S2_S0_,"axG",@progbits,_Z12ratt5_kernelIdEvPKT_S2_PS0_S2_S0_,comdat
	.protected	_Z12ratt5_kernelIdEvPKT_S2_PS0_S2_S0_ ; -- Begin function _Z12ratt5_kernelIdEvPKT_S2_PS0_S2_S0_
	.globl	_Z12ratt5_kernelIdEvPKT_S2_PS0_S2_S0_
	.p2align	8
	.type	_Z12ratt5_kernelIdEvPKT_S2_PS0_S2_S0_,@function
_Z12ratt5_kernelIdEvPKT_S2_PS0_S2_S0_:  ; @_Z12ratt5_kernelIdEvPKT_S2_PS0_S2_S0_
; %bb.0:
	s_clause 0x2
	s_load_b256 s[4:11], s[0:1], 0x0
	s_load_b96 s[12:14], s[0:1], 0x20
	s_load_b32 s0, s[0:1], 0x34
	s_wait_kmcnt 0x0
	s_and_b32 s2, s0, 0xffff
	s_brev_b32 s0, 12
	v_mad_co_u64_u32 v[0:1], null, ttmp9, s2, v[0:1]
	s_mul_i32 s2, s14, s2
	v_mov_b32_e32 v1, 0
	s_mov_b32 s1, 0x4193d2c6
	s_wait_alu 0xfffe
	s_mul_i32 s3, s2, 0x46
	s_delay_alu instid0(VALU_DEP_1) | instskip(NEXT) | instid1(VALU_DEP_1)
	v_lshlrev_b64_e32 v[12:13], 3, v[0:1]
	v_add_co_u32 v2, vcc_lo, s4, v12
	s_delay_alu instid0(VALU_DEP_1)
	v_add_co_ci_u32_e64 v3, null, s5, v13, vcc_lo
	s_mul_i32 s4, s2, 0xffffffbf
	s_mul_i32 s5, s2, 0xffffffbb
	global_load_b64 v[2:3], v[2:3], off
	s_wait_loadcnt 0x0
	v_mul_f64_e32 v[2:3], s[12:13], v[2:3]
	s_mul_i32 s12, s2, 0x45
	s_delay_alu instid0(VALU_DEP_1) | instskip(SKIP_2) | instid1(VALU_DEP_1)
	v_mul_f64_e32 v[2:3], s[0:1], v[2:3]
	s_mov_b32 s0, 0x4357691b
	s_mov_b32 s1, 0x479e17b8
	v_div_scale_f64 v[4:5], null, v[2:3], v[2:3], 1.0
	s_delay_alu instid0(VALU_DEP_1) | instskip(NEXT) | instid1(TRANS32_DEP_1)
	v_rcp_f64_e32 v[6:7], v[4:5]
	v_fma_f64 v[8:9], -v[4:5], v[6:7], 1.0
	s_delay_alu instid0(VALU_DEP_1) | instskip(NEXT) | instid1(VALU_DEP_1)
	v_fma_f64 v[6:7], v[6:7], v[8:9], v[6:7]
	v_fma_f64 v[8:9], -v[4:5], v[6:7], 1.0
	s_delay_alu instid0(VALU_DEP_1) | instskip(SKIP_1) | instid1(VALU_DEP_1)
	v_fma_f64 v[6:7], v[6:7], v[8:9], v[6:7]
	v_div_scale_f64 v[8:9], vcc_lo, 1.0, v[2:3], 1.0
	v_mul_f64_e32 v[10:11], v[8:9], v[6:7]
	s_delay_alu instid0(VALU_DEP_1) | instskip(SKIP_1) | instid1(VALU_DEP_1)
	v_fma_f64 v[4:5], -v[4:5], v[10:11], v[8:9]
	s_wait_alu 0xfffd
	v_div_fmas_f64 v[4:5], v[4:5], v[6:7], v[10:11]
	s_delay_alu instid0(VALU_DEP_1) | instskip(NEXT) | instid1(VALU_DEP_1)
	v_div_fixup_f64 v[2:3], v[4:5], v[2:3], 1.0
	v_mul_f64_e32 v[14:15], 0x412eec04, v[2:3]
	v_mad_co_u64_u32 v[2:3], null, s2, 6, v[0:1]
	v_dual_mov_b32 v3, v1 :: v_dual_add_nc_u32 v0, s2, v0
	s_delay_alu instid0(VALU_DEP_1) | instskip(NEXT) | instid1(VALU_DEP_1)
	v_lshlrev_b64_e32 v[4:5], 3, v[2:3]
	v_add_co_u32 v4, vcc_lo, s10, v4
	s_wait_alu 0xfffd
	s_delay_alu instid0(VALU_DEP_2) | instskip(SKIP_3) | instid1(VALU_DEP_1)
	v_add_co_ci_u32_e64 v5, null, s11, v5, vcc_lo
	global_load_b64 v[24:25], v[4:5], off
	v_mad_co_u64_u32 v[4:5], null, s2, 10, v[2:3]
	v_mov_b32_e32 v5, v1
	v_lshlrev_b64_e32 v[2:3], 3, v[4:5]
	v_mad_co_u64_u32 v[4:5], null, s2, -9, v[4:5]
	v_mov_b32_e32 v5, v1
	s_delay_alu instid0(VALU_DEP_3) | instskip(SKIP_1) | instid1(VALU_DEP_4)
	v_add_co_u32 v2, vcc_lo, s10, v2
	s_wait_alu 0xfffd
	v_add_co_ci_u32_e64 v3, null, s11, v3, vcc_lo
	s_delay_alu instid0(VALU_DEP_3)
	v_lshlrev_b64_e32 v[8:9], 3, v[4:5]
	v_lshl_add_u32 v4, s2, 3, v4
	global_load_b64 v[18:19], v[2:3], off
	v_add_co_u32 v8, vcc_lo, s10, v8
	s_wait_alu 0xfffd
	v_add_co_ci_u32_e64 v9, null, s11, v9, vcc_lo
	global_load_b64 v[32:33], v[8:9], off
	v_lshlrev_b64_e32 v[8:9], 3, v[4:5]
	s_delay_alu instid0(VALU_DEP_1) | instskip(SKIP_1) | instid1(VALU_DEP_2)
	v_add_co_u32 v8, vcc_lo, s10, v8
	s_wait_alu 0xfffd
	v_add_co_ci_u32_e64 v9, null, s11, v9, vcc_lo
	global_load_b64 v[20:21], v[8:9], off
	s_wait_loadcnt 0x2
	v_mul_f64_e32 v[6:7], v[24:25], v[18:19]
	s_wait_loadcnt 0x0
	v_mul_f64_e32 v[8:9], v[32:33], v[20:21]
	s_delay_alu instid0(VALU_DEP_1) | instskip(NEXT) | instid1(VALU_DEP_1)
	v_div_scale_f64 v[10:11], null, v[8:9], v[8:9], 1.0
	v_rcp_f64_e32 v[16:17], v[10:11]
	s_delay_alu instid0(TRANS32_DEP_1) | instskip(NEXT) | instid1(VALU_DEP_1)
	v_fma_f64 v[22:23], -v[10:11], v[16:17], 1.0
	v_fma_f64 v[16:17], v[16:17], v[22:23], v[16:17]
	s_delay_alu instid0(VALU_DEP_1) | instskip(NEXT) | instid1(VALU_DEP_1)
	v_fma_f64 v[22:23], -v[10:11], v[16:17], 1.0
	v_fma_f64 v[16:17], v[16:17], v[22:23], v[16:17]
	v_div_scale_f64 v[22:23], vcc_lo, 1.0, v[8:9], 1.0
	s_delay_alu instid0(VALU_DEP_1) | instskip(NEXT) | instid1(VALU_DEP_1)
	v_mul_f64_e32 v[26:27], v[22:23], v[16:17]
	v_fma_f64 v[10:11], -v[10:11], v[26:27], v[22:23]
	s_wait_alu 0xfffd
	s_delay_alu instid0(VALU_DEP_1) | instskip(NEXT) | instid1(VALU_DEP_1)
	v_div_fmas_f64 v[10:11], v[10:11], v[16:17], v[26:27]
	v_div_fixup_f64 v[8:9], v[10:11], v[8:9], 1.0
	s_delay_alu instid0(VALU_DEP_1) | instskip(NEXT) | instid1(VALU_DEP_1)
	v_mul_f64_e32 v[5:6], v[6:7], v[8:9]
	v_mad_co_u64_u32 v[7:8], null, s2, 60, v[4:5]
	v_mov_b32_e32 v8, v1
	s_wait_alu 0xfffe
	s_delay_alu instid0(VALU_DEP_3) | instskip(NEXT) | instid1(VALU_DEP_2)
	v_min_num_f64_e32 v[4:5], s[0:1], v[5:6]
	v_lshlrev_b64_e32 v[8:9], 3, v[7:8]
	s_delay_alu instid0(VALU_DEP_1) | instskip(SKIP_1) | instid1(VALU_DEP_2)
	v_add_co_u32 v10, vcc_lo, s6, v8
	s_wait_alu 0xfffd
	v_add_co_ci_u32_e64 v11, null, s7, v9, vcc_lo
	v_add_co_u32 v8, vcc_lo, s8, v8
	s_wait_alu 0xfffd
	v_add_co_ci_u32_e64 v9, null, s9, v9, vcc_lo
	global_load_b64 v[10:11], v[10:11], off
	s_wait_loadcnt 0x0
	v_mul_f64_e32 v[4:5], v[10:11], v[4:5]
	global_store_b64 v[8:9], v[4:5], off
	v_mad_co_u64_u32 v[4:5], null, 0xffffffbd, s2, v[7:8]
	v_mov_b32_e32 v5, v1
	v_lshlrev_b64_e32 v[6:7], 3, v[0:1]
	s_delay_alu instid0(VALU_DEP_2) | instskip(NEXT) | instid1(VALU_DEP_1)
	v_lshlrev_b64_e32 v[4:5], 3, v[4:5]
	v_add_co_u32 v4, vcc_lo, s10, v4
	s_wait_alu 0xfffd
	s_delay_alu instid0(VALU_DEP_2) | instskip(NEXT) | instid1(VALU_DEP_4)
	v_add_co_ci_u32_e64 v5, null, s11, v5, vcc_lo
	v_add_co_u32 v16, vcc_lo, s10, v6
	s_wait_alu 0xfffd
	v_add_co_ci_u32_e64 v17, null, s11, v7, vcc_lo
	v_mad_co_u64_u32 v[6:7], null, s2, 24, v[0:1]
	v_mov_b32_e32 v7, v1
	s_clause 0x1
	global_load_b64 v[28:29], v[4:5], off
	global_load_b64 v[22:23], v[16:17], off
	v_lshlrev_b64_e32 v[7:8], 3, v[6:7]
	s_delay_alu instid0(VALU_DEP_1) | instskip(SKIP_1) | instid1(VALU_DEP_2)
	v_add_co_u32 v7, vcc_lo, s10, v7
	s_wait_alu 0xfffd
	v_add_co_ci_u32_e64 v8, null, s11, v8, vcc_lo
	s_clause 0x1
	global_load_b64 v[7:8], v[7:8], off
	global_load_b64 v[16:17], v[16:17], off
	s_wait_loadcnt 0x3
	v_mul_f64_e32 v[4:5], v[18:19], v[28:29]
	s_wait_loadcnt 0x1
	v_mul_f64_e32 v[7:8], v[22:23], v[7:8]
	s_delay_alu instid0(VALU_DEP_1) | instskip(NEXT) | instid1(VALU_DEP_1)
	v_div_scale_f64 v[9:10], null, v[7:8], v[7:8], 1.0
	v_rcp_f64_e32 v[26:27], v[9:10]
	s_delay_alu instid0(TRANS32_DEP_1) | instskip(NEXT) | instid1(VALU_DEP_1)
	v_fma_f64 v[30:31], -v[9:10], v[26:27], 1.0
	v_fma_f64 v[26:27], v[26:27], v[30:31], v[26:27]
	s_delay_alu instid0(VALU_DEP_1) | instskip(NEXT) | instid1(VALU_DEP_1)
	v_fma_f64 v[30:31], -v[9:10], v[26:27], 1.0
	v_fma_f64 v[26:27], v[26:27], v[30:31], v[26:27]
	v_div_scale_f64 v[30:31], vcc_lo, 1.0, v[7:8], 1.0
	s_delay_alu instid0(VALU_DEP_1) | instskip(NEXT) | instid1(VALU_DEP_1)
	v_mul_f64_e32 v[34:35], v[30:31], v[26:27]
	v_fma_f64 v[9:10], -v[9:10], v[34:35], v[30:31]
	s_wait_alu 0xfffd
	s_delay_alu instid0(VALU_DEP_1) | instskip(NEXT) | instid1(VALU_DEP_1)
	v_div_fmas_f64 v[9:10], v[9:10], v[26:27], v[34:35]
	v_div_fixup_f64 v[7:8], v[9:10], v[7:8], 1.0
	s_delay_alu instid0(VALU_DEP_1) | instskip(SKIP_2) | instid1(VALU_DEP_1)
	v_mul_f64_e32 v[4:5], v[4:5], v[7:8]
	v_mad_co_u64_u32 v[6:7], null, s2, 51, v[6:7]
	v_mov_b32_e32 v7, v1
	v_lshlrev_b64_e32 v[7:8], 3, v[6:7]
	v_add_nc_u32_e32 v0, s4, v6
	s_delay_alu instid0(VALU_DEP_2) | instskip(SKIP_1) | instid1(VALU_DEP_3)
	v_add_co_u32 v9, vcc_lo, s6, v7
	s_wait_alu 0xfffd
	v_add_co_ci_u32_e64 v10, null, s7, v8, vcc_lo
	v_add_co_u32 v7, vcc_lo, s8, v7
	s_wait_alu 0xfffd
	v_add_co_ci_u32_e64 v8, null, s9, v8, vcc_lo
	global_load_b64 v[9:10], v[9:10], off
	v_min_num_f64_e32 v[4:5], s[0:1], v[4:5]
	s_wait_loadcnt 0x0
	s_delay_alu instid0(VALU_DEP_1) | instskip(SKIP_3) | instid1(VALU_DEP_1)
	v_mul_f64_e32 v[4:5], v[9:10], v[4:5]
	global_store_b64 v[7:8], v[4:5], off
	v_lshlrev_b64_e32 v[4:5], 3, v[0:1]
	v_add_nc_u32_e32 v0, s2, v0
	v_lshlrev_b64_e32 v[6:7], 3, v[0:1]
	s_delay_alu instid0(VALU_DEP_3) | instskip(SKIP_1) | instid1(VALU_DEP_4)
	v_add_co_u32 v26, vcc_lo, s10, v4
	s_wait_alu 0xfffd
	v_add_co_ci_u32_e64 v27, null, s11, v5, vcc_lo
	s_delay_alu instid0(VALU_DEP_3)
	v_add_co_u32 v6, vcc_lo, s10, v6
	s_wait_alu 0xfffd
	v_add_co_ci_u32_e64 v7, null, s11, v7, vcc_lo
	s_clause 0x1
	global_load_b64 v[30:31], v[26:27], off
	global_load_b64 v[34:35], v[6:7], off
	s_wait_loadcnt 0x1
	v_mul_f64_e32 v[4:5], v[22:23], v[30:31]
	v_mul_f64_e32 v[32:33], v[32:33], v[30:31]
	s_wait_loadcnt 0x0
	v_div_scale_f64 v[6:7], null, v[34:35], v[34:35], 1.0
	s_delay_alu instid0(VALU_DEP_3) | instskip(NEXT) | instid1(VALU_DEP_2)
	v_mul_f64_e32 v[4:5], v[14:15], v[4:5]
	v_rcp_f64_e32 v[8:9], v[6:7]
	s_delay_alu instid0(TRANS32_DEP_1) | instskip(NEXT) | instid1(VALU_DEP_1)
	v_fma_f64 v[10:11], -v[6:7], v[8:9], 1.0
	v_fma_f64 v[8:9], v[8:9], v[10:11], v[8:9]
	s_delay_alu instid0(VALU_DEP_1) | instskip(NEXT) | instid1(VALU_DEP_1)
	v_fma_f64 v[10:11], -v[6:7], v[8:9], 1.0
	v_fma_f64 v[8:9], v[8:9], v[10:11], v[8:9]
	v_div_scale_f64 v[10:11], vcc_lo, 1.0, v[34:35], 1.0
	s_delay_alu instid0(VALU_DEP_1) | instskip(NEXT) | instid1(VALU_DEP_1)
	v_mul_f64_e32 v[36:37], v[10:11], v[8:9]
	v_fma_f64 v[6:7], -v[6:7], v[36:37], v[10:11]
	s_wait_alu 0xfffd
	s_delay_alu instid0(VALU_DEP_1) | instskip(NEXT) | instid1(VALU_DEP_1)
	v_div_fmas_f64 v[6:7], v[6:7], v[8:9], v[36:37]
	v_div_fixup_f64 v[6:7], v[6:7], v[34:35], 1.0
	s_delay_alu instid0(VALU_DEP_1) | instskip(SKIP_2) | instid1(VALU_DEP_1)
	v_mul_f64_e32 v[4:5], v[4:5], v[6:7]
	v_mad_co_u64_u32 v[6:7], null, 0x41, s2, v[0:1]
	v_mov_b32_e32 v7, v1
	v_lshlrev_b64_e32 v[8:9], 3, v[6:7]
	v_mad_co_u64_u32 v[6:7], null, 0xffffffb5, s2, v[6:7]
	v_mov_b32_e32 v7, v1
	s_delay_alu instid0(VALU_DEP_3) | instskip(SKIP_1) | instid1(VALU_DEP_4)
	v_add_co_u32 v10, vcc_lo, s6, v8
	s_wait_alu 0xfffd
	v_add_co_ci_u32_e64 v11, null, s7, v9, vcc_lo
	v_add_co_u32 v8, vcc_lo, s8, v8
	s_wait_alu 0xfffd
	v_add_co_ci_u32_e64 v9, null, s9, v9, vcc_lo
	global_load_b64 v[10:11], v[10:11], off
	v_min_num_f64_e32 v[4:5], s[0:1], v[4:5]
	s_wait_loadcnt 0x0
	s_delay_alu instid0(VALU_DEP_1)
	v_mul_f64_e32 v[4:5], v[10:11], v[4:5]
	v_mul_f64_e32 v[10:11], v[18:19], v[22:23]
	global_store_b64 v[8:9], v[4:5], off
	v_div_scale_f64 v[36:37], null, v[10:11], v[10:11], 1.0
	v_lshlrev_b64_e32 v[4:5], 3, v[6:7]
	v_mad_co_u64_u32 v[6:7], null, 0x4c, s2, v[6:7]
	v_mov_b32_e32 v7, v1
	s_delay_alu instid0(VALU_DEP_3) | instskip(SKIP_1) | instid1(VALU_DEP_4)
	v_add_co_u32 v4, vcc_lo, s10, v4
	s_wait_alu 0xfffd
	v_add_co_ci_u32_e64 v5, null, s11, v5, vcc_lo
	global_load_b64 v[42:43], v[4:5], off
	v_rcp_f64_e32 v[38:39], v[36:37]
	s_delay_alu instid0(TRANS32_DEP_1) | instskip(NEXT) | instid1(VALU_DEP_1)
	v_fma_f64 v[40:41], -v[36:37], v[38:39], 1.0
	v_fma_f64 v[38:39], v[38:39], v[40:41], v[38:39]
	s_delay_alu instid0(VALU_DEP_1) | instskip(NEXT) | instid1(VALU_DEP_1)
	v_fma_f64 v[40:41], -v[36:37], v[38:39], 1.0
	v_fma_f64 v[38:39], v[38:39], v[40:41], v[38:39]
	v_div_scale_f64 v[40:41], vcc_lo, 1.0, v[10:11], 1.0
	s_delay_alu instid0(VALU_DEP_1) | instskip(NEXT) | instid1(VALU_DEP_1)
	v_mul_f64_e32 v[44:45], v[40:41], v[38:39]
	v_fma_f64 v[36:37], -v[36:37], v[44:45], v[40:41]
	s_wait_alu 0xfffd
	s_delay_alu instid0(VALU_DEP_1) | instskip(SKIP_2) | instid1(VALU_DEP_2)
	v_div_fmas_f64 v[36:37], v[36:37], v[38:39], v[44:45]
	s_wait_loadcnt 0x0
	v_mul_f64_e32 v[8:9], v[30:31], v[42:43]
	v_div_fixup_f64 v[10:11], v[36:37], v[10:11], 1.0
	s_delay_alu instid0(VALU_DEP_1) | instskip(SKIP_3) | instid1(VALU_DEP_3)
	v_mul_f64_e32 v[8:9], v[10:11], v[8:9]
	v_lshlrev_b64_e32 v[10:11], 3, v[6:7]
	v_mad_co_u64_u32 v[6:7], null, 0xffffffb6, s2, v[6:7]
	v_mov_b32_e32 v7, v1
	v_add_co_u32 v36, vcc_lo, s6, v10
	s_wait_alu 0xfffd
	s_delay_alu instid0(VALU_DEP_4)
	v_add_co_ci_u32_e64 v37, null, s7, v11, vcc_lo
	v_add_co_u32 v10, vcc_lo, s8, v10
	s_wait_alu 0xfffd
	v_add_co_ci_u32_e64 v11, null, s9, v11, vcc_lo
	global_load_b64 v[36:37], v[36:37], off
	v_add_nc_u32_e32 v0, s2, v6
	v_min_num_f64_e32 v[8:9], s[0:1], v[8:9]
	s_wait_loadcnt 0x0
	s_delay_alu instid0(VALU_DEP_1) | instskip(SKIP_2) | instid1(VALU_DEP_1)
	v_mul_f64_e32 v[8:9], v[36:37], v[8:9]
	global_store_b64 v[10:11], v[8:9], off
	v_lshlrev_b64_e32 v[7:8], 3, v[6:7]
	v_add_co_u32 v10, vcc_lo, s10, v7
	v_lshlrev_b64_e32 v[6:7], 3, v[0:1]
	v_lshl_add_u32 v0, s2, 2, v0
	s_wait_alu 0xfffd
	s_delay_alu instid0(VALU_DEP_4) | instskip(NEXT) | instid1(VALU_DEP_2)
	v_add_co_ci_u32_e64 v11, null, s11, v8, vcc_lo
	v_lshlrev_b64_e32 v[8:9], 3, v[0:1]
	s_delay_alu instid0(VALU_DEP_4)
	v_add_co_u32 v6, vcc_lo, s10, v6
	s_wait_alu 0xfffd
	v_add_co_ci_u32_e64 v7, null, s11, v7, vcc_lo
	global_load_b64 v[44:45], v[10:11], off
	v_add_co_u32 v8, vcc_lo, s10, v8
	s_wait_alu 0xfffd
	v_add_co_ci_u32_e64 v9, null, s11, v9, vcc_lo
	global_load_b64 v[46:47], v[6:7], off
	v_add_nc_u32_e32 v0, s3, v0
	global_load_b64 v[38:39], v[8:9], off
	s_wait_loadcnt 0x2
	v_mul_f64_e32 v[36:37], v[30:31], v[44:45]
	s_wait_loadcnt 0x0
	v_mul_f64_e32 v[8:9], v[46:47], v[38:39]
	s_delay_alu instid0(VALU_DEP_1) | instskip(NEXT) | instid1(VALU_DEP_1)
	v_div_scale_f64 v[40:41], null, v[8:9], v[8:9], 1.0
	v_rcp_f64_e32 v[48:49], v[40:41]
	s_delay_alu instid0(TRANS32_DEP_1) | instskip(NEXT) | instid1(VALU_DEP_1)
	v_fma_f64 v[50:51], -v[40:41], v[48:49], 1.0
	v_fma_f64 v[48:49], v[48:49], v[50:51], v[48:49]
	s_delay_alu instid0(VALU_DEP_1) | instskip(NEXT) | instid1(VALU_DEP_1)
	v_fma_f64 v[50:51], -v[40:41], v[48:49], 1.0
	v_fma_f64 v[48:49], v[48:49], v[50:51], v[48:49]
	v_div_scale_f64 v[50:51], vcc_lo, 1.0, v[8:9], 1.0
	s_delay_alu instid0(VALU_DEP_1) | instskip(NEXT) | instid1(VALU_DEP_1)
	v_mul_f64_e32 v[52:53], v[50:51], v[48:49]
	v_fma_f64 v[40:41], -v[40:41], v[52:53], v[50:51]
	s_wait_alu 0xfffd
	s_delay_alu instid0(VALU_DEP_1) | instskip(NEXT) | instid1(VALU_DEP_1)
	v_div_fmas_f64 v[40:41], v[40:41], v[48:49], v[52:53]
	v_div_fixup_f64 v[8:9], v[40:41], v[8:9], 1.0
	v_lshlrev_b64_e32 v[40:41], 3, v[0:1]
	v_add_nc_u32_e32 v0, s5, v0
	s_delay_alu instid0(VALU_DEP_2) | instskip(SKIP_1) | instid1(VALU_DEP_3)
	v_add_co_u32 v48, vcc_lo, s6, v40
	s_wait_alu 0xfffd
	v_add_co_ci_u32_e64 v49, null, s7, v41, vcc_lo
	v_add_co_u32 v40, vcc_lo, s8, v40
	s_wait_alu 0xfffd
	v_add_co_ci_u32_e64 v41, null, s9, v41, vcc_lo
	global_load_b64 v[48:49], v[48:49], off
	v_mul_f64_e32 v[8:9], v[36:37], v[8:9]
	s_delay_alu instid0(VALU_DEP_1) | instskip(SKIP_1) | instid1(VALU_DEP_1)
	v_min_num_f64_e32 v[8:9], s[0:1], v[8:9]
	s_wait_loadcnt 0x0
	v_mul_f64_e32 v[8:9], v[48:49], v[8:9]
	global_store_b64 v[40:41], v[8:9], off
	v_lshlrev_b64_e32 v[8:9], 3, v[0:1]
	v_add_nc_u32_e32 v0, s3, v0
	s_delay_alu instid0(VALU_DEP_2) | instskip(SKIP_1) | instid1(VALU_DEP_3)
	v_add_co_u32 v8, vcc_lo, s10, v8
	s_wait_alu 0xfffd
	v_add_co_ci_u32_e64 v9, null, s11, v9, vcc_lo
	global_load_b64 v[40:41], v[8:9], off
	s_wait_loadcnt 0x0
	v_mul_f64_e32 v[46:47], v[46:47], v[40:41]
	s_delay_alu instid0(VALU_DEP_1) | instskip(NEXT) | instid1(VALU_DEP_1)
	v_div_scale_f64 v[48:49], null, v[46:47], v[46:47], 1.0
	v_rcp_f64_e32 v[50:51], v[48:49]
	s_delay_alu instid0(TRANS32_DEP_1) | instskip(NEXT) | instid1(VALU_DEP_1)
	v_fma_f64 v[52:53], -v[48:49], v[50:51], 1.0
	v_fma_f64 v[50:51], v[50:51], v[52:53], v[50:51]
	s_delay_alu instid0(VALU_DEP_1) | instskip(NEXT) | instid1(VALU_DEP_1)
	v_fma_f64 v[52:53], -v[48:49], v[50:51], 1.0
	v_fma_f64 v[50:51], v[50:51], v[52:53], v[50:51]
	v_div_scale_f64 v[52:53], vcc_lo, 1.0, v[46:47], 1.0
	s_delay_alu instid0(VALU_DEP_1) | instskip(NEXT) | instid1(VALU_DEP_1)
	v_mul_f64_e32 v[54:55], v[52:53], v[50:51]
	v_fma_f64 v[48:49], -v[48:49], v[54:55], v[52:53]
	s_wait_alu 0xfffd
	s_delay_alu instid0(VALU_DEP_1) | instskip(NEXT) | instid1(VALU_DEP_1)
	v_div_fmas_f64 v[48:49], v[48:49], v[50:51], v[54:55]
	v_div_fixup_f64 v[46:47], v[48:49], v[46:47], 1.0
	s_delay_alu instid0(VALU_DEP_1) | instskip(SKIP_1) | instid1(VALU_DEP_1)
	v_mul_f64_e32 v[36:37], v[36:37], v[46:47]
	v_lshlrev_b64_e32 v[46:47], 3, v[0:1]
	v_add_co_u32 v48, vcc_lo, s6, v46
	s_wait_alu 0xfffd
	s_delay_alu instid0(VALU_DEP_2)
	v_add_co_ci_u32_e64 v49, null, s7, v47, vcc_lo
	v_add_co_u32 v46, vcc_lo, s8, v46
	s_wait_alu 0xfffd
	v_add_co_ci_u32_e64 v47, null, s9, v47, vcc_lo
	global_load_b64 v[48:49], v[48:49], off
	v_min_num_f64_e32 v[36:37], s[0:1], v[36:37]
	s_wait_loadcnt 0x0
	s_delay_alu instid0(VALU_DEP_1) | instskip(SKIP_3) | instid1(VALU_DEP_1)
	v_mul_f64_e32 v[36:37], v[48:49], v[36:37]
	global_store_b64 v[46:47], v[36:37], off
	v_mad_co_u64_u32 v[36:37], null, 0xffffffb3, s2, v[0:1]
	v_mov_b32_e32 v37, v1
	v_mad_co_u64_u32 v[50:51], null, s2, 14, v[36:37]
	v_mov_b32_e32 v51, v1
	v_lshlrev_b64_e32 v[46:47], 3, v[36:37]
	s_delay_alu instid0(VALU_DEP_2) | instskip(NEXT) | instid1(VALU_DEP_2)
	v_lshlrev_b64_e32 v[36:37], 3, v[50:51]
	v_add_co_u32 v46, vcc_lo, s10, v46
	s_wait_alu 0xfffd
	s_delay_alu instid0(VALU_DEP_3) | instskip(SKIP_1) | instid1(VALU_DEP_4)
	v_add_co_ci_u32_e64 v47, null, s11, v47, vcc_lo
	v_lshl_add_u32 v0, s2, 6, v50
	v_add_co_u32 v36, vcc_lo, s10, v36
	s_wait_alu 0xfffd
	v_add_co_ci_u32_e64 v37, null, s11, v37, vcc_lo
	s_clause 0x1
	global_load_b64 v[46:47], v[46:47], off
	global_load_b64 v[51:52], v[36:37], off
	s_wait_loadcnt 0x1
	v_mul_f64_e32 v[48:49], v[30:31], v[46:47]
	v_mul_f64_e32 v[46:47], v[34:35], v[46:47]
	s_wait_loadcnt 0x0
	v_mul_f64_e32 v[42:43], v[42:43], v[51:52]
	s_delay_alu instid0(VALU_DEP_1) | instskip(NEXT) | instid1(VALU_DEP_1)
	v_div_scale_f64 v[53:54], null, v[42:43], v[42:43], 1.0
	v_rcp_f64_e32 v[55:56], v[53:54]
	s_delay_alu instid0(TRANS32_DEP_1) | instskip(NEXT) | instid1(VALU_DEP_1)
	v_fma_f64 v[57:58], -v[53:54], v[55:56], 1.0
	v_fma_f64 v[55:56], v[55:56], v[57:58], v[55:56]
	s_delay_alu instid0(VALU_DEP_1) | instskip(NEXT) | instid1(VALU_DEP_1)
	v_fma_f64 v[57:58], -v[53:54], v[55:56], 1.0
	v_fma_f64 v[55:56], v[55:56], v[57:58], v[55:56]
	v_div_scale_f64 v[57:58], vcc_lo, 1.0, v[42:43], 1.0
	s_delay_alu instid0(VALU_DEP_1) | instskip(NEXT) | instid1(VALU_DEP_1)
	v_mul_f64_e32 v[59:60], v[57:58], v[55:56]
	v_fma_f64 v[53:54], -v[53:54], v[59:60], v[57:58]
	s_wait_alu 0xfffd
	s_delay_alu instid0(VALU_DEP_1) | instskip(NEXT) | instid1(VALU_DEP_1)
	v_div_fmas_f64 v[53:54], v[53:54], v[55:56], v[59:60]
	v_div_fixup_f64 v[42:43], v[53:54], v[42:43], 1.0
	v_lshlrev_b64_e32 v[53:54], 3, v[0:1]
	v_add_nc_u32_e32 v0, s2, v0
	s_delay_alu instid0(VALU_DEP_2) | instskip(SKIP_1) | instid1(VALU_DEP_3)
	v_add_co_u32 v55, vcc_lo, s6, v53
	s_wait_alu 0xfffd
	v_add_co_ci_u32_e64 v56, null, s7, v54, vcc_lo
	v_add_co_u32 v53, vcc_lo, s8, v53
	s_wait_alu 0xfffd
	v_add_co_ci_u32_e64 v54, null, s9, v54, vcc_lo
	global_load_b64 v[55:56], v[55:56], off
	v_mul_f64_e32 v[42:43], v[48:49], v[42:43]
	s_delay_alu instid0(VALU_DEP_1) | instskip(SKIP_1) | instid1(VALU_DEP_1)
	v_min_num_f64_e32 v[42:43], s[0:1], v[42:43]
	s_wait_loadcnt 0x0
	v_mul_f64_e32 v[42:43], v[55:56], v[42:43]
	global_store_b64 v[53:54], v[42:43], off
	v_mul_f64_e32 v[42:43], v[18:19], v[44:45]
	v_mul_f64_e32 v[44:45], v[44:45], v[51:52]
	v_mul_f64_e32 v[18:19], v[18:19], v[30:31]
	s_delay_alu instid0(VALU_DEP_3) | instskip(NEXT) | instid1(VALU_DEP_1)
	v_div_scale_f64 v[53:54], null, v[42:43], v[42:43], 1.0
	v_rcp_f64_e32 v[55:56], v[53:54]
	s_delay_alu instid0(TRANS32_DEP_1) | instskip(NEXT) | instid1(VALU_DEP_1)
	v_fma_f64 v[57:58], -v[53:54], v[55:56], 1.0
	v_fma_f64 v[55:56], v[55:56], v[57:58], v[55:56]
	s_delay_alu instid0(VALU_DEP_1) | instskip(NEXT) | instid1(VALU_DEP_1)
	v_fma_f64 v[57:58], -v[53:54], v[55:56], 1.0
	v_fma_f64 v[55:56], v[55:56], v[57:58], v[55:56]
	v_div_scale_f64 v[57:58], vcc_lo, 1.0, v[42:43], 1.0
	s_delay_alu instid0(VALU_DEP_1) | instskip(NEXT) | instid1(VALU_DEP_1)
	v_mul_f64_e32 v[59:60], v[57:58], v[55:56]
	v_fma_f64 v[53:54], -v[53:54], v[59:60], v[57:58]
	s_wait_alu 0xfffd
	s_delay_alu instid0(VALU_DEP_1) | instskip(NEXT) | instid1(VALU_DEP_1)
	v_div_fmas_f64 v[53:54], v[53:54], v[55:56], v[59:60]
	v_div_fixup_f64 v[42:43], v[53:54], v[42:43], 1.0
	s_delay_alu instid0(VALU_DEP_1) | instskip(SKIP_2) | instid1(VALU_DEP_2)
	v_mul_f64_e32 v[42:43], v[42:43], v[48:49]
	v_lshlrev_b64_e32 v[48:49], 3, v[0:1]
	v_add_nc_u32_e32 v0, s2, v0
	v_add_co_u32 v53, vcc_lo, s6, v48
	s_wait_alu 0xfffd
	s_delay_alu instid0(VALU_DEP_3)
	v_add_co_ci_u32_e64 v54, null, s7, v49, vcc_lo
	v_add_co_u32 v48, vcc_lo, s8, v48
	s_wait_alu 0xfffd
	v_add_co_ci_u32_e64 v49, null, s9, v49, vcc_lo
	global_load_b64 v[53:54], v[53:54], off
	v_min_num_f64_e32 v[42:43], s[0:1], v[42:43]
	s_wait_loadcnt 0x0
	s_delay_alu instid0(VALU_DEP_1) | instskip(SKIP_4) | instid1(VALU_DEP_3)
	v_mul_f64_e32 v[42:43], v[42:43], v[53:54]
	global_store_b64 v[48:49], v[42:43], off
	v_div_scale_f64 v[48:49], null, v[46:47], v[46:47], 1.0
	v_mul_f64_e32 v[42:43], v[24:25], v[30:31]
	v_mul_f64_e32 v[24:25], v[24:25], v[34:35]
	v_rcp_f64_e32 v[53:54], v[48:49]
	s_delay_alu instid0(TRANS32_DEP_1) | instskip(NEXT) | instid1(VALU_DEP_1)
	v_fma_f64 v[55:56], -v[48:49], v[53:54], 1.0
	v_fma_f64 v[53:54], v[53:54], v[55:56], v[53:54]
	s_delay_alu instid0(VALU_DEP_1) | instskip(NEXT) | instid1(VALU_DEP_1)
	v_fma_f64 v[55:56], -v[48:49], v[53:54], 1.0
	v_fma_f64 v[53:54], v[53:54], v[55:56], v[53:54]
	v_div_scale_f64 v[55:56], vcc_lo, 1.0, v[46:47], 1.0
	s_delay_alu instid0(VALU_DEP_1) | instskip(NEXT) | instid1(VALU_DEP_1)
	v_mul_f64_e32 v[57:58], v[55:56], v[53:54]
	v_fma_f64 v[48:49], -v[48:49], v[57:58], v[55:56]
	s_wait_alu 0xfffd
	s_delay_alu instid0(VALU_DEP_1) | instskip(NEXT) | instid1(VALU_DEP_1)
	v_div_fmas_f64 v[48:49], v[48:49], v[53:54], v[57:58]
	v_div_fixup_f64 v[46:47], v[48:49], v[46:47], 1.0
	v_lshlrev_b64_e32 v[48:49], 3, v[0:1]
	v_add_nc_u32_e32 v0, s2, v0
	s_delay_alu instid0(VALU_DEP_2) | instskip(SKIP_1) | instid1(VALU_DEP_3)
	v_add_co_u32 v53, vcc_lo, s6, v48
	s_wait_alu 0xfffd
	v_add_co_ci_u32_e64 v54, null, s7, v49, vcc_lo
	v_add_co_u32 v48, vcc_lo, s8, v48
	s_wait_alu 0xfffd
	v_add_co_ci_u32_e64 v49, null, s9, v49, vcc_lo
	global_load_b64 v[53:54], v[53:54], off
	v_mul_f64_e32 v[46:47], v[42:43], v[46:47]
	s_delay_alu instid0(VALU_DEP_1) | instskip(SKIP_1) | instid1(VALU_DEP_1)
	v_min_num_f64_e32 v[46:47], s[0:1], v[46:47]
	s_wait_loadcnt 0x0
	v_mul_f64_e32 v[46:47], v[46:47], v[53:54]
	global_store_b64 v[48:49], v[46:47], off
	v_div_scale_f64 v[46:47], null, v[44:45], v[44:45], 1.0
	s_delay_alu instid0(VALU_DEP_1) | instskip(NEXT) | instid1(TRANS32_DEP_1)
	v_rcp_f64_e32 v[48:49], v[46:47]
	v_fma_f64 v[50:51], -v[46:47], v[48:49], 1.0
	s_delay_alu instid0(VALU_DEP_1) | instskip(NEXT) | instid1(VALU_DEP_1)
	v_fma_f64 v[48:49], v[48:49], v[50:51], v[48:49]
	v_fma_f64 v[50:51], -v[46:47], v[48:49], 1.0
	s_delay_alu instid0(VALU_DEP_1) | instskip(SKIP_1) | instid1(VALU_DEP_1)
	v_fma_f64 v[48:49], v[48:49], v[50:51], v[48:49]
	v_div_scale_f64 v[50:51], vcc_lo, 1.0, v[44:45], 1.0
	v_mul_f64_e32 v[52:53], v[50:51], v[48:49]
	s_delay_alu instid0(VALU_DEP_1) | instskip(SKIP_1) | instid1(VALU_DEP_1)
	v_fma_f64 v[46:47], -v[46:47], v[52:53], v[50:51]
	s_wait_alu 0xfffd
	v_div_fmas_f64 v[46:47], v[46:47], v[48:49], v[52:53]
	s_delay_alu instid0(VALU_DEP_1) | instskip(NEXT) | instid1(VALU_DEP_1)
	v_div_fixup_f64 v[44:45], v[46:47], v[44:45], 1.0
	v_mul_f64_e32 v[42:43], v[42:43], v[44:45]
	v_lshlrev_b64_e32 v[44:45], 3, v[0:1]
	v_add_nc_u32_e32 v0, s2, v0
	s_delay_alu instid0(VALU_DEP_2) | instskip(SKIP_1) | instid1(VALU_DEP_3)
	v_add_co_u32 v46, vcc_lo, s6, v44
	s_wait_alu 0xfffd
	v_add_co_ci_u32_e64 v47, null, s7, v45, vcc_lo
	v_add_co_u32 v44, vcc_lo, s8, v44
	s_wait_alu 0xfffd
	v_add_co_ci_u32_e64 v45, null, s9, v45, vcc_lo
	global_load_b64 v[46:47], v[46:47], off
	v_min_num_f64_e32 v[42:43], s[0:1], v[42:43]
	s_wait_loadcnt 0x0
	s_delay_alu instid0(VALU_DEP_1) | instskip(SKIP_2) | instid1(VALU_DEP_1)
	v_mul_f64_e32 v[42:43], v[42:43], v[46:47]
	global_store_b64 v[44:45], v[42:43], off
	v_div_scale_f64 v[42:43], null, v[24:25], v[24:25], 1.0
	v_rcp_f64_e32 v[44:45], v[42:43]
	s_delay_alu instid0(TRANS32_DEP_1) | instskip(NEXT) | instid1(VALU_DEP_1)
	v_fma_f64 v[46:47], -v[42:43], v[44:45], 1.0
	v_fma_f64 v[44:45], v[44:45], v[46:47], v[44:45]
	s_delay_alu instid0(VALU_DEP_1) | instskip(NEXT) | instid1(VALU_DEP_1)
	v_fma_f64 v[46:47], -v[42:43], v[44:45], 1.0
	v_fma_f64 v[44:45], v[44:45], v[46:47], v[44:45]
	v_div_scale_f64 v[46:47], vcc_lo, 1.0, v[24:25], 1.0
	s_delay_alu instid0(VALU_DEP_1) | instskip(NEXT) | instid1(VALU_DEP_1)
	v_mul_f64_e32 v[48:49], v[46:47], v[44:45]
	v_fma_f64 v[42:43], -v[42:43], v[48:49], v[46:47]
	s_wait_alu 0xfffd
	s_delay_alu instid0(VALU_DEP_1) | instskip(NEXT) | instid1(VALU_DEP_1)
	v_div_fmas_f64 v[42:43], v[42:43], v[44:45], v[48:49]
	v_div_fixup_f64 v[24:25], v[42:43], v[24:25], 1.0
	s_delay_alu instid0(VALU_DEP_1) | instskip(SKIP_3) | instid1(VALU_DEP_2)
	v_mul_f64_e32 v[24:25], v[32:33], v[24:25]
	v_lshlrev_b64_e32 v[32:33], 3, v[0:1]
	v_add_nc_u32_e32 v0, s4, v0
	s_mul_i32 s4, s2, 0xffffffbc
	v_add_co_u32 v42, vcc_lo, s6, v32
	s_wait_alu 0xfffd
	s_delay_alu instid0(VALU_DEP_3)
	v_add_co_ci_u32_e64 v43, null, s7, v33, vcc_lo
	v_add_co_u32 v32, vcc_lo, s8, v32
	s_wait_alu 0xfffd
	v_add_co_ci_u32_e64 v33, null, s9, v33, vcc_lo
	global_load_b64 v[42:43], v[42:43], off
	v_min_num_f64_e32 v[24:25], s[0:1], v[24:25]
	s_wait_loadcnt 0x0
	s_delay_alu instid0(VALU_DEP_1) | instskip(SKIP_3) | instid1(VALU_DEP_1)
	v_mul_f64_e32 v[24:25], v[24:25], v[42:43]
	global_store_b64 v[32:33], v[24:25], off
	v_mul_f64_e32 v[24:25], v[28:29], v[30:31]
	v_lshlrev_b64_e32 v[28:29], 3, v[0:1]
	v_add_co_u32 v28, vcc_lo, s10, v28
	s_wait_alu 0xfffd
	s_delay_alu instid0(VALU_DEP_2) | instskip(SKIP_3) | instid1(VALU_DEP_1)
	v_add_co_ci_u32_e64 v29, null, s11, v29, vcc_lo
	global_load_b64 v[28:29], v[28:29], off
	s_wait_loadcnt 0x0
	v_mul_f64_e32 v[28:29], v[22:23], v[28:29]
	v_div_scale_f64 v[32:33], null, v[28:29], v[28:29], 1.0
	s_delay_alu instid0(VALU_DEP_1) | instskip(NEXT) | instid1(TRANS32_DEP_1)
	v_rcp_f64_e32 v[42:43], v[32:33]
	v_fma_f64 v[44:45], -v[32:33], v[42:43], 1.0
	s_delay_alu instid0(VALU_DEP_1) | instskip(NEXT) | instid1(VALU_DEP_1)
	v_fma_f64 v[42:43], v[42:43], v[44:45], v[42:43]
	v_fma_f64 v[44:45], -v[32:33], v[42:43], 1.0
	s_delay_alu instid0(VALU_DEP_1) | instskip(SKIP_1) | instid1(VALU_DEP_1)
	v_fma_f64 v[42:43], v[42:43], v[44:45], v[42:43]
	v_div_scale_f64 v[44:45], vcc_lo, 1.0, v[28:29], 1.0
	v_mul_f64_e32 v[46:47], v[44:45], v[42:43]
	s_delay_alu instid0(VALU_DEP_1) | instskip(SKIP_1) | instid1(VALU_DEP_1)
	v_fma_f64 v[32:33], -v[32:33], v[46:47], v[44:45]
	s_wait_alu 0xfffd
	v_div_fmas_f64 v[32:33], v[32:33], v[42:43], v[46:47]
	s_delay_alu instid0(VALU_DEP_1) | instskip(NEXT) | instid1(VALU_DEP_1)
	v_div_fixup_f64 v[28:29], v[32:33], v[28:29], 1.0
	v_mul_f64_e32 v[24:25], v[24:25], v[28:29]
	v_mad_co_u64_u32 v[28:29], null, 0x42, s2, v[0:1]
	v_mov_b32_e32 v29, v1
	s_delay_alu instid0(VALU_DEP_1) | instskip(SKIP_2) | instid1(VALU_DEP_3)
	v_lshlrev_b64_e32 v[32:33], 3, v[28:29]
	v_mad_co_u64_u32 v[28:29], null, 0xffffffb7, s2, v[28:29]
	v_mov_b32_e32 v29, v1
	v_add_co_u32 v42, vcc_lo, s6, v32
	s_wait_alu 0xfffd
	s_delay_alu instid0(VALU_DEP_4)
	v_add_co_ci_u32_e64 v43, null, s7, v33, vcc_lo
	v_add_co_u32 v32, vcc_lo, s8, v32
	s_wait_alu 0xfffd
	v_add_co_ci_u32_e64 v33, null, s9, v33, vcc_lo
	global_load_b64 v[42:43], v[42:43], off
	v_min_num_f64_e32 v[24:25], s[0:1], v[24:25]
	s_wait_loadcnt 0x0
	s_delay_alu instid0(VALU_DEP_1)
	v_mul_f64_e32 v[24:25], v[42:43], v[24:25]
	global_store_b64 v[32:33], v[24:25], off
	v_lshlrev_b64_e32 v[32:33], 3, v[28:29]
	v_mad_co_u64_u32 v[28:29], null, 0x4a, s2, v[28:29]
	v_mov_b32_e32 v29, v1
	v_mul_f64_e32 v[24:25], v[20:21], v[30:31]
	v_mul_f64_e32 v[20:21], v[20:21], v[34:35]
	v_add_co_u32 v32, vcc_lo, s10, v32
	s_wait_alu 0xfffd
	v_add_co_ci_u32_e64 v33, null, s11, v33, vcc_lo
	global_load_b64 v[42:43], v[32:33], off
	s_wait_loadcnt 0x0
	v_mul_f64_e32 v[42:43], v[34:35], v[42:43]
	s_delay_alu instid0(VALU_DEP_1) | instskip(NEXT) | instid1(VALU_DEP_1)
	v_div_scale_f64 v[44:45], null, v[42:43], v[42:43], 1.0
	v_rcp_f64_e32 v[46:47], v[44:45]
	s_delay_alu instid0(TRANS32_DEP_1) | instskip(NEXT) | instid1(VALU_DEP_1)
	v_fma_f64 v[48:49], -v[44:45], v[46:47], 1.0
	v_fma_f64 v[46:47], v[46:47], v[48:49], v[46:47]
	s_delay_alu instid0(VALU_DEP_1) | instskip(NEXT) | instid1(VALU_DEP_1)
	v_fma_f64 v[48:49], -v[44:45], v[46:47], 1.0
	v_fma_f64 v[46:47], v[46:47], v[48:49], v[46:47]
	v_div_scale_f64 v[48:49], vcc_lo, 1.0, v[42:43], 1.0
	s_delay_alu instid0(VALU_DEP_1) | instskip(NEXT) | instid1(VALU_DEP_1)
	v_mul_f64_e32 v[50:51], v[48:49], v[46:47]
	v_fma_f64 v[44:45], -v[44:45], v[50:51], v[48:49]
	s_wait_alu 0xfffd
	s_delay_alu instid0(VALU_DEP_1) | instskip(NEXT) | instid1(VALU_DEP_1)
	v_div_fmas_f64 v[44:45], v[44:45], v[46:47], v[50:51]
	v_div_fixup_f64 v[42:43], v[44:45], v[42:43], 1.0
	v_lshlrev_b64_e32 v[44:45], 3, v[28:29]
	v_mad_co_u64_u32 v[28:29], null, 0xffffffc4, s2, v[28:29]
	v_mov_b32_e32 v29, v1
	s_delay_alu instid0(VALU_DEP_3) | instskip(SKIP_1) | instid1(VALU_DEP_4)
	v_add_co_u32 v46, vcc_lo, s6, v44
	s_wait_alu 0xfffd
	v_add_co_ci_u32_e64 v47, null, s7, v45, vcc_lo
	v_add_co_u32 v44, vcc_lo, s8, v44
	s_wait_alu 0xfffd
	v_add_co_ci_u32_e64 v45, null, s9, v45, vcc_lo
	global_load_b64 v[46:47], v[46:47], off
	v_mul_f64_e32 v[42:43], v[24:25], v[42:43]
	v_mul_f64_e32 v[24:25], v[14:15], v[24:25]
	s_delay_alu instid0(VALU_DEP_2) | instskip(SKIP_1) | instid1(VALU_DEP_1)
	v_min_num_f64_e32 v[42:43], s[0:1], v[42:43]
	s_wait_loadcnt 0x0
	v_mul_f64_e32 v[42:43], v[46:47], v[42:43]
	global_store_b64 v[44:45], v[42:43], off
	v_lshlrev_b64_e32 v[42:43], 3, v[28:29]
	v_mad_co_u64_u32 v[28:29], null, s2, 61, v[28:29]
	v_mov_b32_e32 v29, v1
	s_delay_alu instid0(VALU_DEP_3) | instskip(SKIP_1) | instid1(VALU_DEP_4)
	v_add_co_u32 v42, vcc_lo, s10, v42
	s_wait_alu 0xfffd
	v_add_co_ci_u32_e64 v43, null, s11, v43, vcc_lo
	s_delay_alu instid0(VALU_DEP_4) | instskip(SKIP_3) | instid1(VALU_DEP_1)
	v_add_nc_u32_e32 v0, s2, v28
	global_load_b64 v[42:43], v[42:43], off
	s_wait_loadcnt 0x0
	v_div_scale_f64 v[44:45], null, v[42:43], v[42:43], 1.0
	v_rcp_f64_e32 v[46:47], v[44:45]
	s_delay_alu instid0(TRANS32_DEP_1) | instskip(NEXT) | instid1(VALU_DEP_1)
	v_fma_f64 v[48:49], -v[44:45], v[46:47], 1.0
	v_fma_f64 v[46:47], v[46:47], v[48:49], v[46:47]
	s_delay_alu instid0(VALU_DEP_1) | instskip(NEXT) | instid1(VALU_DEP_1)
	v_fma_f64 v[48:49], -v[44:45], v[46:47], 1.0
	v_fma_f64 v[46:47], v[46:47], v[48:49], v[46:47]
	v_div_scale_f64 v[48:49], vcc_lo, 1.0, v[42:43], 1.0
	s_delay_alu instid0(VALU_DEP_1) | instskip(NEXT) | instid1(VALU_DEP_1)
	v_mul_f64_e32 v[50:51], v[48:49], v[46:47]
	v_fma_f64 v[44:45], -v[44:45], v[50:51], v[48:49]
	s_wait_alu 0xfffd
	s_delay_alu instid0(VALU_DEP_1) | instskip(NEXT) | instid1(VALU_DEP_1)
	v_div_fmas_f64 v[44:45], v[44:45], v[46:47], v[50:51]
	v_div_fixup_f64 v[42:43], v[44:45], v[42:43], 1.0
	s_delay_alu instid0(VALU_DEP_1) | instskip(SKIP_1) | instid1(VALU_DEP_1)
	v_mul_f64_e32 v[24:25], v[24:25], v[42:43]
	v_lshlrev_b64_e32 v[42:43], 3, v[28:29]
	v_add_co_u32 v44, vcc_lo, s6, v42
	s_wait_alu 0xfffd
	s_delay_alu instid0(VALU_DEP_2)
	v_add_co_ci_u32_e64 v45, null, s7, v43, vcc_lo
	v_add_co_u32 v42, vcc_lo, s8, v42
	s_wait_alu 0xfffd
	v_add_co_ci_u32_e64 v43, null, s9, v43, vcc_lo
	global_load_b64 v[44:45], v[44:45], off
	v_min_num_f64_e32 v[24:25], s[0:1], v[24:25]
	s_wait_loadcnt 0x0
	s_delay_alu instid0(VALU_DEP_1) | instskip(SKIP_2) | instid1(VALU_DEP_1)
	v_mul_f64_e32 v[24:25], v[44:45], v[24:25]
	global_store_b64 v[42:43], v[24:25], off
	v_div_scale_f64 v[24:25], null, v[20:21], v[20:21], 1.0
	v_rcp_f64_e32 v[34:35], v[24:25]
	s_delay_alu instid0(TRANS32_DEP_1) | instskip(NEXT) | instid1(VALU_DEP_1)
	v_fma_f64 v[42:43], -v[24:25], v[34:35], 1.0
	v_fma_f64 v[34:35], v[34:35], v[42:43], v[34:35]
	s_delay_alu instid0(VALU_DEP_1) | instskip(NEXT) | instid1(VALU_DEP_1)
	v_fma_f64 v[42:43], -v[24:25], v[34:35], 1.0
	v_fma_f64 v[34:35], v[34:35], v[42:43], v[34:35]
	v_div_scale_f64 v[42:43], vcc_lo, 1.0, v[20:21], 1.0
	s_delay_alu instid0(VALU_DEP_1) | instskip(NEXT) | instid1(VALU_DEP_1)
	v_mul_f64_e32 v[44:45], v[42:43], v[34:35]
	v_fma_f64 v[24:25], -v[24:25], v[44:45], v[42:43]
	s_wait_alu 0xfffd
	s_delay_alu instid0(VALU_DEP_1) | instskip(NEXT) | instid1(VALU_DEP_1)
	v_div_fmas_f64 v[24:25], v[24:25], v[34:35], v[44:45]
	v_div_fixup_f64 v[20:21], v[24:25], v[20:21], 1.0
	s_delay_alu instid0(VALU_DEP_1) | instskip(SKIP_3) | instid1(VALU_DEP_2)
	v_mul_f64_e32 v[18:19], v[18:19], v[20:21]
	v_lshlrev_b64_e32 v[20:21], 3, v[0:1]
	s_wait_alu 0xfffe
	v_add_nc_u32_e32 v0, s4, v0
	v_add_co_u32 v24, vcc_lo, s6, v20
	s_wait_alu 0xfffd
	s_delay_alu instid0(VALU_DEP_3)
	v_add_co_ci_u32_e64 v25, null, s7, v21, vcc_lo
	v_add_co_u32 v20, vcc_lo, s8, v20
	s_wait_alu 0xfffd
	v_add_co_ci_u32_e64 v21, null, s9, v21, vcc_lo
	global_load_b64 v[24:25], v[24:25], off
	v_min_num_f64_e32 v[18:19], s[0:1], v[18:19]
	s_wait_loadcnt 0x0
	s_delay_alu instid0(VALU_DEP_1) | instskip(SKIP_4) | instid1(VALU_DEP_3)
	v_mul_f64_e32 v[18:19], v[18:19], v[24:25]
	global_store_b64 v[20:21], v[18:19], off
	v_lshlrev_b64_e32 v[20:21], 3, v[0:1]
	v_mul_f64_e32 v[18:19], v[30:31], v[38:39]
	v_add_nc_u32_e32 v0, s12, v0
	v_add_co_u32 v20, vcc_lo, s10, v20
	s_wait_alu 0xfffd
	s_delay_alu instid0(VALU_DEP_4) | instskip(SKIP_3) | instid1(VALU_DEP_1)
	v_add_co_ci_u32_e64 v21, null, s11, v21, vcc_lo
	global_load_b64 v[20:21], v[20:21], off
	s_wait_loadcnt 0x0
	v_mul_f64_e32 v[22:23], v[22:23], v[20:21]
	v_div_scale_f64 v[24:25], null, v[22:23], v[22:23], 1.0
	s_delay_alu instid0(VALU_DEP_1) | instskip(NEXT) | instid1(TRANS32_DEP_1)
	v_rcp_f64_e32 v[28:29], v[24:25]
	v_fma_f64 v[34:35], -v[24:25], v[28:29], 1.0
	s_delay_alu instid0(VALU_DEP_1) | instskip(NEXT) | instid1(VALU_DEP_1)
	v_fma_f64 v[28:29], v[28:29], v[34:35], v[28:29]
	v_fma_f64 v[34:35], -v[24:25], v[28:29], 1.0
	s_delay_alu instid0(VALU_DEP_1) | instskip(SKIP_1) | instid1(VALU_DEP_1)
	v_fma_f64 v[28:29], v[28:29], v[34:35], v[28:29]
	v_div_scale_f64 v[34:35], vcc_lo, 1.0, v[22:23], 1.0
	v_mul_f64_e32 v[38:39], v[34:35], v[28:29]
	s_delay_alu instid0(VALU_DEP_1) | instskip(SKIP_1) | instid1(VALU_DEP_1)
	v_fma_f64 v[24:25], -v[24:25], v[38:39], v[34:35]
	s_wait_alu 0xfffd
	v_div_fmas_f64 v[24:25], v[24:25], v[28:29], v[38:39]
	s_delay_alu instid0(VALU_DEP_1) | instskip(SKIP_2) | instid1(VALU_DEP_2)
	v_div_fixup_f64 v[22:23], v[24:25], v[22:23], 1.0
	v_lshlrev_b64_e32 v[24:25], 3, v[0:1]
	v_add_nc_u32_e32 v0, s2, v0
	v_add_co_u32 v28, vcc_lo, s6, v24
	s_wait_alu 0xfffd
	s_delay_alu instid0(VALU_DEP_3)
	v_add_co_ci_u32_e64 v29, null, s7, v25, vcc_lo
	v_add_co_u32 v24, vcc_lo, s8, v24
	s_wait_alu 0xfffd
	v_add_co_ci_u32_e64 v25, null, s9, v25, vcc_lo
	global_load_b64 v[28:29], v[28:29], off
	v_mul_f64_e32 v[18:19], v[18:19], v[22:23]
	s_delay_alu instid0(VALU_DEP_1) | instskip(SKIP_1) | instid1(VALU_DEP_1)
	v_min_num_f64_e32 v[18:19], s[0:1], v[18:19]
	s_wait_loadcnt 0x0
	v_mul_f64_e32 v[18:19], v[28:29], v[18:19]
	global_store_b64 v[24:25], v[18:19], off
	v_mul_f64_e32 v[18:19], v[30:31], v[40:41]
	s_delay_alu instid0(VALU_DEP_1) | instskip(SKIP_2) | instid1(VALU_DEP_2)
	v_mul_f64_e32 v[18:19], v[18:19], v[22:23]
	v_lshlrev_b64_e32 v[22:23], 3, v[0:1]
	v_add_nc_u32_e32 v0, s4, v0
	v_add_co_u32 v24, vcc_lo, s6, v22
	s_wait_alu 0xfffd
	s_delay_alu instid0(VALU_DEP_3)
	v_add_co_ci_u32_e64 v25, null, s7, v23, vcc_lo
	v_add_co_u32 v22, vcc_lo, s8, v22
	s_wait_alu 0xfffd
	v_add_co_ci_u32_e64 v23, null, s9, v23, vcc_lo
	global_load_b64 v[24:25], v[24:25], off
	v_min_num_f64_e32 v[18:19], s[0:1], v[18:19]
	s_wait_loadcnt 0x0
	s_delay_alu instid0(VALU_DEP_1) | instskip(SKIP_2) | instid1(VALU_DEP_2)
	v_mul_f64_e32 v[18:19], v[24:25], v[18:19]
	v_lshlrev_b64_e32 v[24:25], 3, v[0:1]
	v_add_nc_u32_e32 v0, s12, v0
	v_add_co_u32 v24, vcc_lo, s10, v24
	s_wait_alu 0xfffd
	s_delay_alu instid0(VALU_DEP_3)
	v_add_co_ci_u32_e64 v25, null, s11, v25, vcc_lo
	global_load_b64 v[24:25], v[24:25], off
	global_store_b64 v[22:23], v[18:19], off
	global_load_b64 v[18:19], v[26:27], off
	s_wait_loadcnt 0x1
	v_div_scale_f64 v[26:27], null, v[24:25], v[24:25], 1.0
	s_wait_loadcnt 0x0
	v_mul_f64_e32 v[22:23], v[18:19], v[18:19]
	s_delay_alu instid0(VALU_DEP_2) | instskip(NEXT) | instid1(VALU_DEP_1)
	v_rcp_f64_e32 v[28:29], v[26:27]
	v_mul_f64_e32 v[14:15], v[14:15], v[22:23]
	s_delay_alu instid0(TRANS32_DEP_1) | instskip(NEXT) | instid1(VALU_DEP_1)
	v_fma_f64 v[30:31], -v[26:27], v[28:29], 1.0
	v_fma_f64 v[28:29], v[28:29], v[30:31], v[28:29]
	s_delay_alu instid0(VALU_DEP_1) | instskip(NEXT) | instid1(VALU_DEP_1)
	v_fma_f64 v[30:31], -v[26:27], v[28:29], 1.0
	v_fma_f64 v[28:29], v[28:29], v[30:31], v[28:29]
	v_div_scale_f64 v[30:31], vcc_lo, 1.0, v[24:25], 1.0
	s_delay_alu instid0(VALU_DEP_1) | instskip(NEXT) | instid1(VALU_DEP_1)
	v_mul_f64_e32 v[34:35], v[30:31], v[28:29]
	v_fma_f64 v[26:27], -v[26:27], v[34:35], v[30:31]
	s_wait_alu 0xfffd
	s_delay_alu instid0(VALU_DEP_1) | instskip(NEXT) | instid1(VALU_DEP_1)
	v_div_fmas_f64 v[26:27], v[26:27], v[28:29], v[34:35]
	v_div_fixup_f64 v[24:25], v[26:27], v[24:25], 1.0
	s_delay_alu instid0(VALU_DEP_1) | instskip(SKIP_1) | instid1(VALU_DEP_1)
	v_mul_f64_e32 v[14:15], v[14:15], v[24:25]
	v_lshlrev_b64_e32 v[24:25], 3, v[0:1]
	v_add_co_u32 v26, vcc_lo, s6, v24
	s_wait_alu 0xfffd
	s_delay_alu instid0(VALU_DEP_2)
	v_add_co_ci_u32_e64 v27, null, s7, v25, vcc_lo
	v_add_co_u32 v24, vcc_lo, s8, v24
	s_wait_alu 0xfffd
	v_add_co_ci_u32_e64 v25, null, s9, v25, vcc_lo
	global_load_b64 v[26:27], v[26:27], off
	v_min_num_f64_e32 v[14:15], s[0:1], v[14:15]
	s_wait_loadcnt 0x0
	s_delay_alu instid0(VALU_DEP_1) | instskip(SKIP_3) | instid1(VALU_DEP_1)
	v_mul_f64_e32 v[14:15], v[26:27], v[14:15]
	global_store_b64 v[24:25], v[14:15], off
	v_mad_co_u64_u32 v[14:15], null, 0xffffffba, s2, v[0:1]
	v_mov_b32_e32 v15, v1
	v_lshlrev_b64_e32 v[24:25], 3, v[14:15]
	v_mad_co_u64_u32 v[14:15], null, 0x47, s2, v[14:15]
	v_mov_b32_e32 v15, v1
	s_delay_alu instid0(VALU_DEP_3) | instskip(SKIP_1) | instid1(VALU_DEP_4)
	v_add_co_u32 v24, vcc_lo, s10, v24
	s_wait_alu 0xfffd
	v_add_co_ci_u32_e64 v25, null, s11, v25, vcc_lo
	s_delay_alu instid0(VALU_DEP_4) | instskip(SKIP_3) | instid1(VALU_DEP_1)
	v_add_nc_u32_e32 v0, s5, v14
	global_load_b64 v[24:25], v[24:25], off
	s_wait_loadcnt 0x0
	v_mul_f64_e32 v[24:25], v[16:17], v[24:25]
	v_div_scale_f64 v[26:27], null, v[24:25], v[24:25], 1.0
	s_delay_alu instid0(VALU_DEP_1) | instskip(NEXT) | instid1(TRANS32_DEP_1)
	v_rcp_f64_e32 v[28:29], v[26:27]
	v_fma_f64 v[30:31], -v[26:27], v[28:29], 1.0
	s_delay_alu instid0(VALU_DEP_1) | instskip(NEXT) | instid1(VALU_DEP_1)
	v_fma_f64 v[28:29], v[28:29], v[30:31], v[28:29]
	v_fma_f64 v[30:31], -v[26:27], v[28:29], 1.0
	s_delay_alu instid0(VALU_DEP_1) | instskip(SKIP_1) | instid1(VALU_DEP_1)
	v_fma_f64 v[28:29], v[28:29], v[30:31], v[28:29]
	v_div_scale_f64 v[30:31], vcc_lo, 1.0, v[24:25], 1.0
	v_mul_f64_e32 v[34:35], v[30:31], v[28:29]
	s_delay_alu instid0(VALU_DEP_1) | instskip(SKIP_1) | instid1(VALU_DEP_1)
	v_fma_f64 v[26:27], -v[26:27], v[34:35], v[30:31]
	s_wait_alu 0xfffd
	v_div_fmas_f64 v[26:27], v[26:27], v[28:29], v[34:35]
	s_delay_alu instid0(VALU_DEP_1) | instskip(NEXT) | instid1(VALU_DEP_1)
	v_div_fixup_f64 v[24:25], v[26:27], v[24:25], 1.0
	v_mul_f64_e32 v[22:23], v[22:23], v[24:25]
	v_lshlrev_b64_e32 v[24:25], 3, v[14:15]
	v_lshlrev_b64_e32 v[14:15], 3, v[0:1]
	v_add_nc_u32_e32 v0, s3, v0
	s_delay_alu instid0(VALU_DEP_3) | instskip(SKIP_1) | instid1(VALU_DEP_4)
	v_add_co_u32 v26, vcc_lo, s6, v24
	s_wait_alu 0xfffd
	v_add_co_ci_u32_e64 v27, null, s7, v25, vcc_lo
	v_add_co_u32 v24, vcc_lo, s8, v24
	s_wait_alu 0xfffd
	v_add_co_ci_u32_e64 v25, null, s9, v25, vcc_lo
	global_load_b64 v[26:27], v[26:27], off
	v_add_co_u32 v14, vcc_lo, s10, v14
	s_wait_alu 0xfffd
	v_add_co_ci_u32_e64 v15, null, s11, v15, vcc_lo
	global_load_b64 v[14:15], v[14:15], off
	v_min_num_f64_e32 v[22:23], s[0:1], v[22:23]
	s_wait_loadcnt 0x1
	s_delay_alu instid0(VALU_DEP_1)
	v_mul_f64_e32 v[22:23], v[26:27], v[22:23]
	s_wait_loadcnt 0x0
	v_mul_f64_e32 v[14:15], v[18:19], v[14:15]
	global_store_b64 v[24:25], v[22:23], off
	global_load_b64 v[22:23], v[32:33], off
	s_wait_loadcnt 0x0
	v_mul_f64_e32 v[20:21], v[22:23], v[20:21]
	s_delay_alu instid0(VALU_DEP_1) | instskip(NEXT) | instid1(VALU_DEP_1)
	v_div_scale_f64 v[22:23], null, v[20:21], v[20:21], 1.0
	v_rcp_f64_e32 v[24:25], v[22:23]
	s_delay_alu instid0(TRANS32_DEP_1) | instskip(NEXT) | instid1(VALU_DEP_1)
	v_fma_f64 v[26:27], -v[22:23], v[24:25], 1.0
	v_fma_f64 v[24:25], v[24:25], v[26:27], v[24:25]
	s_delay_alu instid0(VALU_DEP_1) | instskip(NEXT) | instid1(VALU_DEP_1)
	v_fma_f64 v[26:27], -v[22:23], v[24:25], 1.0
	v_fma_f64 v[24:25], v[24:25], v[26:27], v[24:25]
	v_div_scale_f64 v[26:27], vcc_lo, 1.0, v[20:21], 1.0
	s_delay_alu instid0(VALU_DEP_1) | instskip(NEXT) | instid1(VALU_DEP_1)
	v_mul_f64_e32 v[28:29], v[26:27], v[24:25]
	v_fma_f64 v[22:23], -v[22:23], v[28:29], v[26:27]
	s_wait_alu 0xfffd
	s_delay_alu instid0(VALU_DEP_1) | instskip(NEXT) | instid1(VALU_DEP_1)
	v_div_fmas_f64 v[22:23], v[22:23], v[24:25], v[28:29]
	v_div_fixup_f64 v[20:21], v[22:23], v[20:21], 1.0
	s_delay_alu instid0(VALU_DEP_1) | instskip(SKIP_2) | instid1(VALU_DEP_2)
	v_mul_f64_e32 v[14:15], v[14:15], v[20:21]
	v_lshlrev_b64_e32 v[20:21], 3, v[0:1]
	v_add_nc_u32_e32 v0, s2, v0
	v_add_co_u32 v22, vcc_lo, s6, v20
	s_wait_alu 0xfffd
	s_delay_alu instid0(VALU_DEP_3)
	v_add_co_ci_u32_e64 v23, null, s7, v21, vcc_lo
	v_add_co_u32 v20, vcc_lo, s8, v20
	s_wait_alu 0xfffd
	v_add_co_ci_u32_e64 v21, null, s9, v21, vcc_lo
	global_load_b64 v[22:23], v[22:23], off
	v_add_co_u32 v12, vcc_lo, s10, v12
	s_wait_alu 0xfffd
	v_add_co_ci_u32_e64 v13, null, s11, v13, vcc_lo
	v_min_num_f64_e32 v[14:15], s[0:1], v[14:15]
	s_wait_loadcnt 0x0
	s_delay_alu instid0(VALU_DEP_1)
	v_mul_f64_e32 v[14:15], v[22:23], v[14:15]
	global_store_b64 v[20:21], v[14:15], off
	s_clause 0x3
	global_load_b64 v[14:15], v[36:37], off
	global_load_b64 v[12:13], v[12:13], off
	;; [unrolled: 1-line block ×4, first 2 shown]
	s_wait_loadcnt 0x3
	v_mul_f64_e32 v[16:17], v[16:17], v[14:15]
	s_wait_loadcnt 0x1
	v_mul_f64_e32 v[12:13], v[12:13], v[2:3]
	s_delay_alu instid0(VALU_DEP_1) | instskip(NEXT) | instid1(VALU_DEP_1)
	v_div_scale_f64 v[20:21], null, v[12:13], v[12:13], 1.0
	v_rcp_f64_e32 v[22:23], v[20:21]
	s_delay_alu instid0(TRANS32_DEP_1) | instskip(NEXT) | instid1(VALU_DEP_1)
	v_fma_f64 v[24:25], -v[20:21], v[22:23], 1.0
	v_fma_f64 v[22:23], v[22:23], v[24:25], v[22:23]
	s_delay_alu instid0(VALU_DEP_1) | instskip(NEXT) | instid1(VALU_DEP_1)
	v_fma_f64 v[24:25], -v[20:21], v[22:23], 1.0
	v_fma_f64 v[22:23], v[22:23], v[24:25], v[22:23]
	v_div_scale_f64 v[24:25], vcc_lo, 1.0, v[12:13], 1.0
	s_delay_alu instid0(VALU_DEP_1) | instskip(NEXT) | instid1(VALU_DEP_1)
	v_mul_f64_e32 v[26:27], v[24:25], v[22:23]
	v_fma_f64 v[20:21], -v[20:21], v[26:27], v[24:25]
	s_wait_alu 0xfffd
	s_delay_alu instid0(VALU_DEP_1) | instskip(NEXT) | instid1(VALU_DEP_1)
	v_div_fmas_f64 v[20:21], v[20:21], v[22:23], v[26:27]
	v_div_fixup_f64 v[12:13], v[20:21], v[12:13], 1.0
	v_lshlrev_b64_e32 v[20:21], 3, v[0:1]
	v_add_nc_u32_e32 v0, s2, v0
	s_delay_alu instid0(VALU_DEP_2) | instskip(SKIP_1) | instid1(VALU_DEP_3)
	v_add_co_u32 v22, vcc_lo, s6, v20
	s_wait_alu 0xfffd
	v_add_co_ci_u32_e64 v23, null, s7, v21, vcc_lo
	v_add_co_u32 v20, vcc_lo, s8, v20
	s_wait_alu 0xfffd
	v_add_co_ci_u32_e64 v21, null, s9, v21, vcc_lo
	global_load_b64 v[22:23], v[22:23], off
	v_mul_f64_e32 v[12:13], v[16:17], v[12:13]
	s_delay_alu instid0(VALU_DEP_1) | instskip(SKIP_1) | instid1(VALU_DEP_1)
	v_min_num_f64_e32 v[12:13], s[0:1], v[12:13]
	s_wait_loadcnt 0x0
	v_mul_f64_e32 v[12:13], v[22:23], v[12:13]
	global_store_b64 v[20:21], v[12:13], off
	v_mul_f64_e32 v[12:13], v[10:11], v[18:19]
	s_delay_alu instid0(VALU_DEP_1) | instskip(NEXT) | instid1(VALU_DEP_1)
	v_div_scale_f64 v[18:19], null, v[12:13], v[12:13], 1.0
	v_rcp_f64_e32 v[20:21], v[18:19]
	s_delay_alu instid0(TRANS32_DEP_1) | instskip(NEXT) | instid1(VALU_DEP_1)
	v_fma_f64 v[22:23], -v[18:19], v[20:21], 1.0
	v_fma_f64 v[20:21], v[20:21], v[22:23], v[20:21]
	s_delay_alu instid0(VALU_DEP_1) | instskip(NEXT) | instid1(VALU_DEP_1)
	v_fma_f64 v[22:23], -v[18:19], v[20:21], 1.0
	v_fma_f64 v[20:21], v[20:21], v[22:23], v[20:21]
	v_div_scale_f64 v[22:23], vcc_lo, 1.0, v[12:13], 1.0
	s_delay_alu instid0(VALU_DEP_1) | instskip(NEXT) | instid1(VALU_DEP_1)
	v_mul_f64_e32 v[24:25], v[22:23], v[20:21]
	v_fma_f64 v[18:19], -v[18:19], v[24:25], v[22:23]
	s_wait_alu 0xfffd
	s_delay_alu instid0(VALU_DEP_1) | instskip(NEXT) | instid1(VALU_DEP_1)
	v_div_fmas_f64 v[18:19], v[18:19], v[20:21], v[24:25]
	v_div_fixup_f64 v[12:13], v[18:19], v[12:13], 1.0
	v_lshlrev_b64_e32 v[18:19], 3, v[0:1]
	v_add_nc_u32_e32 v0, s2, v0
	s_delay_alu instid0(VALU_DEP_2) | instskip(SKIP_1) | instid1(VALU_DEP_3)
	v_add_co_u32 v20, vcc_lo, s6, v18
	s_wait_alu 0xfffd
	v_add_co_ci_u32_e64 v21, null, s7, v19, vcc_lo
	v_add_co_u32 v18, vcc_lo, s8, v18
	s_wait_alu 0xfffd
	v_add_co_ci_u32_e64 v19, null, s9, v19, vcc_lo
	global_load_b64 v[20:21], v[20:21], off
	v_mul_f64_e32 v[12:13], v[16:17], v[12:13]
	s_delay_alu instid0(VALU_DEP_1) | instskip(SKIP_1) | instid1(VALU_DEP_1)
	v_min_num_f64_e32 v[12:13], s[0:1], v[12:13]
	s_wait_loadcnt 0x0
	v_mul_f64_e32 v[12:13], v[20:21], v[12:13]
	global_store_b64 v[18:19], v[12:13], off
	s_clause 0x2
	global_load_b64 v[6:7], v[6:7], off
	global_load_b64 v[8:9], v[8:9], off
	;; [unrolled: 1-line block ×3, first 2 shown]
	s_wait_loadcnt 0x1
	v_mul_f64_e32 v[8:9], v[6:7], v[8:9]
	s_wait_loadcnt 0x0
	v_mul_f64_e32 v[4:5], v[4:5], v[14:15]
	s_delay_alu instid0(VALU_DEP_2) | instskip(NEXT) | instid1(VALU_DEP_1)
	v_div_scale_f64 v[12:13], null, v[8:9], v[8:9], 1.0
	v_rcp_f64_e32 v[18:19], v[12:13]
	s_delay_alu instid0(TRANS32_DEP_1) | instskip(NEXT) | instid1(VALU_DEP_1)
	v_fma_f64 v[20:21], -v[12:13], v[18:19], 1.0
	v_fma_f64 v[18:19], v[18:19], v[20:21], v[18:19]
	s_delay_alu instid0(VALU_DEP_1) | instskip(NEXT) | instid1(VALU_DEP_1)
	v_fma_f64 v[20:21], -v[12:13], v[18:19], 1.0
	v_fma_f64 v[18:19], v[18:19], v[20:21], v[18:19]
	v_div_scale_f64 v[20:21], vcc_lo, 1.0, v[8:9], 1.0
	s_delay_alu instid0(VALU_DEP_1) | instskip(NEXT) | instid1(VALU_DEP_1)
	v_mul_f64_e32 v[22:23], v[20:21], v[18:19]
	v_fma_f64 v[12:13], -v[12:13], v[22:23], v[20:21]
	s_wait_alu 0xfffd
	s_delay_alu instid0(VALU_DEP_1) | instskip(NEXT) | instid1(VALU_DEP_1)
	v_div_fmas_f64 v[12:13], v[12:13], v[18:19], v[22:23]
	v_div_fixup_f64 v[8:9], v[12:13], v[8:9], 1.0
	v_lshlrev_b64_e32 v[12:13], 3, v[0:1]
	v_add_nc_u32_e32 v0, s2, v0
	s_delay_alu instid0(VALU_DEP_3) | instskip(NEXT) | instid1(VALU_DEP_3)
	v_mul_f64_e32 v[8:9], v[16:17], v[8:9]
	v_add_co_u32 v16, vcc_lo, s6, v12
	s_wait_alu 0xfffd
	s_delay_alu instid0(VALU_DEP_4)
	v_add_co_ci_u32_e64 v17, null, s7, v13, vcc_lo
	v_add_co_u32 v12, vcc_lo, s8, v12
	s_wait_alu 0xfffd
	v_add_co_ci_u32_e64 v13, null, s9, v13, vcc_lo
	global_load_b64 v[16:17], v[16:17], off
	v_min_num_f64_e32 v[8:9], s[0:1], v[8:9]
	s_wait_loadcnt 0x0
	s_delay_alu instid0(VALU_DEP_1) | instskip(SKIP_3) | instid1(VALU_DEP_2)
	v_mul_f64_e32 v[8:9], v[16:17], v[8:9]
	global_store_b64 v[12:13], v[8:9], off
	v_mul_f64_e32 v[8:9], v[10:11], v[2:3]
	v_mul_f64_e32 v[2:3], v[6:7], v[2:3]
	v_div_scale_f64 v[12:13], null, v[8:9], v[8:9], 1.0
	s_delay_alu instid0(VALU_DEP_2) | instskip(NEXT) | instid1(VALU_DEP_2)
	v_div_scale_f64 v[6:7], null, v[2:3], v[2:3], 1.0
	v_rcp_f64_e32 v[16:17], v[12:13]
	s_delay_alu instid0(TRANS32_DEP_1) | instskip(NEXT) | instid1(VALU_DEP_1)
	v_fma_f64 v[18:19], -v[12:13], v[16:17], 1.0
	v_fma_f64 v[16:17], v[16:17], v[18:19], v[16:17]
	s_delay_alu instid0(VALU_DEP_1) | instskip(NEXT) | instid1(VALU_DEP_1)
	v_fma_f64 v[18:19], -v[12:13], v[16:17], 1.0
	v_fma_f64 v[16:17], v[16:17], v[18:19], v[16:17]
	v_div_scale_f64 v[18:19], vcc_lo, 1.0, v[8:9], 1.0
	s_delay_alu instid0(VALU_DEP_1) | instskip(NEXT) | instid1(VALU_DEP_1)
	v_mul_f64_e32 v[20:21], v[18:19], v[16:17]
	v_fma_f64 v[12:13], -v[12:13], v[20:21], v[18:19]
	s_wait_alu 0xfffd
	s_delay_alu instid0(VALU_DEP_1) | instskip(NEXT) | instid1(VALU_DEP_1)
	v_div_fmas_f64 v[12:13], v[12:13], v[16:17], v[20:21]
	v_div_fixup_f64 v[8:9], v[12:13], v[8:9], 1.0
	s_delay_alu instid0(VALU_DEP_1) | instskip(SKIP_2) | instid1(VALU_DEP_2)
	v_mul_f64_e32 v[4:5], v[4:5], v[8:9]
	v_lshlrev_b64_e32 v[8:9], 3, v[0:1]
	v_add_nc_u32_e32 v0, s2, v0
	v_add_co_u32 v12, vcc_lo, s6, v8
	s_wait_alu 0xfffd
	s_delay_alu instid0(VALU_DEP_3)
	v_add_co_ci_u32_e64 v13, null, s7, v9, vcc_lo
	v_add_co_u32 v8, vcc_lo, s8, v8
	s_wait_alu 0xfffd
	v_add_co_ci_u32_e64 v9, null, s9, v9, vcc_lo
	global_load_b64 v[12:13], v[12:13], off
	v_lshlrev_b64_e32 v[0:1], 3, v[0:1]
	v_min_num_f64_e32 v[4:5], s[0:1], v[4:5]
	s_wait_loadcnt 0x0
	s_delay_alu instid0(VALU_DEP_1) | instskip(SKIP_3) | instid1(TRANS32_DEP_1)
	v_mul_f64_e32 v[4:5], v[12:13], v[4:5]
	global_store_b64 v[8:9], v[4:5], off
	v_rcp_f64_e32 v[8:9], v[6:7]
	v_mul_f64_e32 v[4:5], v[10:11], v[14:15]
	v_fma_f64 v[10:11], -v[6:7], v[8:9], 1.0
	s_delay_alu instid0(VALU_DEP_1) | instskip(NEXT) | instid1(VALU_DEP_1)
	v_fma_f64 v[8:9], v[8:9], v[10:11], v[8:9]
	v_fma_f64 v[10:11], -v[6:7], v[8:9], 1.0
	s_delay_alu instid0(VALU_DEP_1) | instskip(SKIP_1) | instid1(VALU_DEP_1)
	v_fma_f64 v[8:9], v[8:9], v[10:11], v[8:9]
	v_div_scale_f64 v[10:11], vcc_lo, 1.0, v[2:3], 1.0
	v_mul_f64_e32 v[12:13], v[10:11], v[8:9]
	s_delay_alu instid0(VALU_DEP_1) | instskip(SKIP_1) | instid1(VALU_DEP_1)
	v_fma_f64 v[6:7], -v[6:7], v[12:13], v[10:11]
	s_wait_alu 0xfffd
	v_div_fmas_f64 v[6:7], v[6:7], v[8:9], v[12:13]
	s_delay_alu instid0(VALU_DEP_1) | instskip(NEXT) | instid1(VALU_DEP_1)
	v_div_fixup_f64 v[2:3], v[6:7], v[2:3], 1.0
	v_mul_f64_e32 v[2:3], v[4:5], v[2:3]
	v_add_co_u32 v4, vcc_lo, s6, v0
	s_wait_alu 0xfffd
	v_add_co_ci_u32_e64 v5, null, s7, v1, vcc_lo
	v_add_co_u32 v0, vcc_lo, s8, v0
	s_wait_alu 0xfffd
	v_add_co_ci_u32_e64 v1, null, s9, v1, vcc_lo
	global_load_b64 v[4:5], v[4:5], off
	v_min_num_f64_e32 v[2:3], s[0:1], v[2:3]
	s_wait_loadcnt 0x0
	s_delay_alu instid0(VALU_DEP_1)
	v_mul_f64_e32 v[2:3], v[4:5], v[2:3]
	global_store_b64 v[0:1], v[2:3], off
	s_endpgm
	.section	.rodata,"a",@progbits
	.p2align	6, 0x0
	.amdhsa_kernel _Z12ratt5_kernelIdEvPKT_S2_PS0_S2_S0_
		.amdhsa_group_segment_fixed_size 0
		.amdhsa_private_segment_fixed_size 0
		.amdhsa_kernarg_size 296
		.amdhsa_user_sgpr_count 2
		.amdhsa_user_sgpr_dispatch_ptr 0
		.amdhsa_user_sgpr_queue_ptr 0
		.amdhsa_user_sgpr_kernarg_segment_ptr 1
		.amdhsa_user_sgpr_dispatch_id 0
		.amdhsa_user_sgpr_private_segment_size 0
		.amdhsa_wavefront_size32 1
		.amdhsa_uses_dynamic_stack 0
		.amdhsa_enable_private_segment 0
		.amdhsa_system_sgpr_workgroup_id_x 1
		.amdhsa_system_sgpr_workgroup_id_y 0
		.amdhsa_system_sgpr_workgroup_id_z 0
		.amdhsa_system_sgpr_workgroup_info 0
		.amdhsa_system_vgpr_workitem_id 0
		.amdhsa_next_free_vgpr 61
		.amdhsa_next_free_sgpr 15
		.amdhsa_reserve_vcc 1
		.amdhsa_float_round_mode_32 0
		.amdhsa_float_round_mode_16_64 0
		.amdhsa_float_denorm_mode_32 3
		.amdhsa_float_denorm_mode_16_64 3
		.amdhsa_fp16_overflow 0
		.amdhsa_workgroup_processor_mode 1
		.amdhsa_memory_ordered 1
		.amdhsa_forward_progress 1
		.amdhsa_inst_pref_size 54
		.amdhsa_round_robin_scheduling 0
		.amdhsa_exception_fp_ieee_invalid_op 0
		.amdhsa_exception_fp_denorm_src 0
		.amdhsa_exception_fp_ieee_div_zero 0
		.amdhsa_exception_fp_ieee_overflow 0
		.amdhsa_exception_fp_ieee_underflow 0
		.amdhsa_exception_fp_ieee_inexact 0
		.amdhsa_exception_int_div_zero 0
	.end_amdhsa_kernel
	.section	.text._Z12ratt5_kernelIdEvPKT_S2_PS0_S2_S0_,"axG",@progbits,_Z12ratt5_kernelIdEvPKT_S2_PS0_S2_S0_,comdat
.Lfunc_end33:
	.size	_Z12ratt5_kernelIdEvPKT_S2_PS0_S2_S0_, .Lfunc_end33-_Z12ratt5_kernelIdEvPKT_S2_PS0_S2_S0_
                                        ; -- End function
	.set _Z12ratt5_kernelIdEvPKT_S2_PS0_S2_S0_.num_vgpr, 61
	.set _Z12ratt5_kernelIdEvPKT_S2_PS0_S2_S0_.num_agpr, 0
	.set _Z12ratt5_kernelIdEvPKT_S2_PS0_S2_S0_.numbered_sgpr, 15
	.set _Z12ratt5_kernelIdEvPKT_S2_PS0_S2_S0_.num_named_barrier, 0
	.set _Z12ratt5_kernelIdEvPKT_S2_PS0_S2_S0_.private_seg_size, 0
	.set _Z12ratt5_kernelIdEvPKT_S2_PS0_S2_S0_.uses_vcc, 1
	.set _Z12ratt5_kernelIdEvPKT_S2_PS0_S2_S0_.uses_flat_scratch, 0
	.set _Z12ratt5_kernelIdEvPKT_S2_PS0_S2_S0_.has_dyn_sized_stack, 0
	.set _Z12ratt5_kernelIdEvPKT_S2_PS0_S2_S0_.has_recursion, 0
	.set _Z12ratt5_kernelIdEvPKT_S2_PS0_S2_S0_.has_indirect_call, 0
	.section	.AMDGPU.csdata,"",@progbits
; Kernel info:
; codeLenInByte = 6900
; TotalNumSgprs: 17
; NumVgprs: 61
; ScratchSize: 0
; MemoryBound: 0
; FloatMode: 240
; IeeeMode: 1
; LDSByteSize: 0 bytes/workgroup (compile time only)
; SGPRBlocks: 0
; VGPRBlocks: 7
; NumSGPRsForWavesPerEU: 17
; NumVGPRsForWavesPerEU: 61
; Occupancy: 16
; WaveLimiterHint : 0
; COMPUTE_PGM_RSRC2:SCRATCH_EN: 0
; COMPUTE_PGM_RSRC2:USER_SGPR: 2
; COMPUTE_PGM_RSRC2:TRAP_HANDLER: 0
; COMPUTE_PGM_RSRC2:TGID_X_EN: 1
; COMPUTE_PGM_RSRC2:TGID_Y_EN: 0
; COMPUTE_PGM_RSRC2:TGID_Z_EN: 0
; COMPUTE_PGM_RSRC2:TIDIG_COMP_CNT: 0
	.section	.text._Z12ratt6_kernelIdEvPKT_S2_PS0_S2_S0_,"axG",@progbits,_Z12ratt6_kernelIdEvPKT_S2_PS0_S2_S0_,comdat
	.protected	_Z12ratt6_kernelIdEvPKT_S2_PS0_S2_S0_ ; -- Begin function _Z12ratt6_kernelIdEvPKT_S2_PS0_S2_S0_
	.globl	_Z12ratt6_kernelIdEvPKT_S2_PS0_S2_S0_
	.p2align	8
	.type	_Z12ratt6_kernelIdEvPKT_S2_PS0_S2_S0_,@function
_Z12ratt6_kernelIdEvPKT_S2_PS0_S2_S0_:  ; @_Z12ratt6_kernelIdEvPKT_S2_PS0_S2_S0_
; %bb.0:
	s_clause 0x2
	s_load_b256 s[4:11], s[0:1], 0x0
	s_load_b96 s[12:14], s[0:1], 0x20
	s_load_b32 s0, s[0:1], 0x34
	s_wait_kmcnt 0x0
	s_and_b32 s2, s0, 0xffff
	s_brev_b32 s0, 12
	v_mad_co_u64_u32 v[0:1], null, ttmp9, s2, v[0:1]
	s_mul_i32 s2, s14, s2
	v_mov_b32_e32 v1, 0
	s_mov_b32 s1, 0x4193d2c6
	s_wait_alu 0xfffe
	s_mul_i32 s3, s2, -11
	s_delay_alu instid0(VALU_DEP_1) | instskip(NEXT) | instid1(VALU_DEP_1)
	v_lshlrev_b64_e32 v[6:7], 3, v[0:1]
	v_add_co_u32 v2, vcc_lo, s4, v6
	s_delay_alu instid0(VALU_DEP_1)
	v_add_co_ci_u32_e64 v3, null, s5, v7, vcc_lo
	s_mul_i32 s4, s2, 11
	s_mul_i32 s5, s2, 0x60
	global_load_b64 v[2:3], v[2:3], off
	s_wait_loadcnt 0x0
	v_mul_f64_e32 v[2:3], s[12:13], v[2:3]
	s_delay_alu instid0(VALU_DEP_1) | instskip(SKIP_2) | instid1(VALU_DEP_1)
	v_mul_f64_e32 v[2:3], s[0:1], v[2:3]
	s_mov_b32 s0, 0x4357691b
	s_mov_b32 s1, 0x479e17b8
	v_div_scale_f64 v[4:5], null, v[2:3], v[2:3], 1.0
	s_delay_alu instid0(VALU_DEP_1) | instskip(NEXT) | instid1(TRANS32_DEP_1)
	v_rcp_f64_e32 v[8:9], v[4:5]
	v_fma_f64 v[10:11], -v[4:5], v[8:9], 1.0
	s_delay_alu instid0(VALU_DEP_1) | instskip(NEXT) | instid1(VALU_DEP_1)
	v_fma_f64 v[8:9], v[8:9], v[10:11], v[8:9]
	v_fma_f64 v[10:11], -v[4:5], v[8:9], 1.0
	s_delay_alu instid0(VALU_DEP_1) | instskip(SKIP_1) | instid1(VALU_DEP_1)
	v_fma_f64 v[8:9], v[8:9], v[10:11], v[8:9]
	v_div_scale_f64 v[10:11], vcc_lo, 1.0, v[2:3], 1.0
	v_mul_f64_e32 v[12:13], v[10:11], v[8:9]
	s_delay_alu instid0(VALU_DEP_1) | instskip(SKIP_1) | instid1(VALU_DEP_1)
	v_fma_f64 v[4:5], -v[4:5], v[12:13], v[10:11]
	s_wait_alu 0xfffd
	v_div_fmas_f64 v[4:5], v[4:5], v[8:9], v[12:13]
	v_mad_co_u64_u32 v[8:9], null, s2, 3, v[0:1]
	v_dual_mov_b32 v9, v1 :: v_dual_mov_b32 v12, v1
	s_delay_alu instid0(VALU_DEP_3) | instskip(NEXT) | instid1(VALU_DEP_1)
	v_div_fixup_f64 v[2:3], v[4:5], v[2:3], 1.0
	v_mul_f64_e32 v[4:5], 0x412eec04, v[2:3]
	s_delay_alu instid0(VALU_DEP_3) | instskip(SKIP_2) | instid1(VALU_DEP_3)
	v_lshlrev_b64_e32 v[2:3], 3, v[8:9]
	v_mad_co_u64_u32 v[8:9], null, s2, 14, v[8:9]
	v_mov_b32_e32 v9, v1
	v_add_co_u32 v2, vcc_lo, s10, v2
	s_wait_alu 0xfffd
	s_delay_alu instid0(VALU_DEP_4) | instskip(SKIP_1) | instid1(VALU_DEP_4)
	v_add_co_ci_u32_e64 v3, null, s11, v3, vcc_lo
	s_wait_alu 0xfffe
	v_add_nc_u32_e32 v11, s3, v8
	global_load_b64 v[18:19], v[2:3], off
	v_lshlrev_b64_e32 v[13:14], 3, v[11:12]
	v_mad_co_u64_u32 v[11:12], null, s2, 10, v[11:12]
	v_mov_b32_e32 v12, v1
	v_lshlrev_b64_e32 v[9:10], 3, v[8:9]
	s_delay_alu instid0(VALU_DEP_2) | instskip(NEXT) | instid1(VALU_DEP_2)
	v_lshlrev_b64_e32 v[15:16], 3, v[11:12]
	v_add_co_u32 v9, vcc_lo, s10, v9
	s_wait_alu 0xfffd
	s_delay_alu instid0(VALU_DEP_3)
	v_add_co_ci_u32_e64 v10, null, s11, v10, vcc_lo
	v_add_co_u32 v13, vcc_lo, s10, v13
	s_wait_alu 0xfffd
	v_add_co_ci_u32_e64 v14, null, s11, v14, vcc_lo
	v_add_co_u32 v15, vcc_lo, s10, v15
	s_wait_alu 0xfffd
	v_add_co_ci_u32_e64 v16, null, s11, v16, vcc_lo
	s_clause 0x2
	global_load_b64 v[9:10], v[9:10], off
	global_load_b64 v[13:14], v[13:14], off
	;; [unrolled: 1-line block ×3, first 2 shown]
	s_wait_loadcnt 0x2
	v_mul_f64_e32 v[9:10], v[18:19], v[9:10]
	s_wait_loadcnt 0x0
	v_mul_f64_e32 v[12:13], v[13:14], v[15:16]
	s_delay_alu instid0(VALU_DEP_1) | instskip(NEXT) | instid1(VALU_DEP_1)
	v_div_scale_f64 v[14:15], null, v[12:13], v[12:13], 1.0
	v_rcp_f64_e32 v[16:17], v[14:15]
	s_delay_alu instid0(TRANS32_DEP_1) | instskip(NEXT) | instid1(VALU_DEP_1)
	v_fma_f64 v[20:21], -v[14:15], v[16:17], 1.0
	v_fma_f64 v[16:17], v[16:17], v[20:21], v[16:17]
	s_delay_alu instid0(VALU_DEP_1) | instskip(NEXT) | instid1(VALU_DEP_1)
	v_fma_f64 v[20:21], -v[14:15], v[16:17], 1.0
	v_fma_f64 v[16:17], v[16:17], v[20:21], v[16:17]
	v_div_scale_f64 v[20:21], vcc_lo, 1.0, v[12:13], 1.0
	s_delay_alu instid0(VALU_DEP_1) | instskip(NEXT) | instid1(VALU_DEP_1)
	v_mul_f64_e32 v[22:23], v[20:21], v[16:17]
	v_fma_f64 v[14:15], -v[14:15], v[22:23], v[20:21]
	s_wait_alu 0xfffd
	s_delay_alu instid0(VALU_DEP_1) | instskip(NEXT) | instid1(VALU_DEP_1)
	v_div_fmas_f64 v[14:15], v[14:15], v[16:17], v[22:23]
	v_div_fixup_f64 v[12:13], v[14:15], v[12:13], 1.0
	s_delay_alu instid0(VALU_DEP_1) | instskip(SKIP_2) | instid1(VALU_DEP_1)
	v_mul_f64_e32 v[8:9], v[9:10], v[12:13]
	v_mad_co_u64_u32 v[10:11], null, 0x54, s2, v[11:12]
	v_mov_b32_e32 v11, v1
	v_lshlrev_b64_e32 v[10:11], 3, v[10:11]
	s_delay_alu instid0(VALU_DEP_1) | instskip(SKIP_1) | instid1(VALU_DEP_2)
	v_add_co_u32 v12, vcc_lo, s6, v10
	s_wait_alu 0xfffd
	v_add_co_ci_u32_e64 v13, null, s7, v11, vcc_lo
	v_add_co_u32 v10, vcc_lo, s8, v10
	s_wait_alu 0xfffd
	v_add_co_ci_u32_e64 v11, null, s9, v11, vcc_lo
	global_load_b64 v[12:13], v[12:13], off
	v_min_num_f64_e32 v[8:9], s[0:1], v[8:9]
	s_wait_loadcnt 0x0
	s_delay_alu instid0(VALU_DEP_1) | instskip(SKIP_3) | instid1(VALU_DEP_2)
	v_mul_f64_e32 v[8:9], v[12:13], v[8:9]
	global_store_b64 v[10:11], v[8:9], off
	v_dual_mov_b32 v9, v1 :: v_dual_add_nc_u32 v8, s2, v0
	v_add_nc_u32_e32 v0, s4, v0
	v_lshlrev_b64_e32 v[9:10], 3, v[8:9]
	v_add_nc_u32_e32 v8, s4, v8
	s_mul_i32 s4, s2, 0x62
	s_delay_alu instid0(VALU_DEP_2) | instskip(SKIP_4) | instid1(VALU_DEP_3)
	v_add_co_u32 v12, vcc_lo, s10, v9
	v_mov_b32_e32 v9, v1
	s_wait_alu 0xfffd
	v_add_co_ci_u32_e64 v13, null, s11, v10, vcc_lo
	v_lshlrev_b64_e32 v[10:11], 3, v[0:1]
	v_lshlrev_b64_e32 v[8:9], 3, v[8:9]
	global_load_b64 v[14:15], v[12:13], off
	v_add_co_u32 v8, vcc_lo, s10, v8
	s_wait_alu 0xfffd
	v_add_co_ci_u32_e64 v9, null, s11, v9, vcc_lo
	v_add_co_u32 v6, vcc_lo, s10, v6
	s_wait_alu 0xfffd
	v_add_co_ci_u32_e64 v7, null, s11, v7, vcc_lo
	;; [unrolled: 3-line block ×3, first 2 shown]
	s_clause 0x2
	global_load_b64 v[24:25], v[8:9], off
	global_load_b64 v[26:27], v[10:11], off
	;; [unrolled: 1-line block ×3, first 2 shown]
	s_wait_loadcnt 0x2
	v_mul_f64_e32 v[8:9], v[14:15], v[24:25]
	s_wait_loadcnt 0x0
	v_mul_f64_e32 v[6:7], v[6:7], v[26:27]
	s_delay_alu instid0(VALU_DEP_1) | instskip(NEXT) | instid1(VALU_DEP_1)
	v_div_scale_f64 v[16:17], null, v[6:7], v[6:7], 1.0
	v_rcp_f64_e32 v[20:21], v[16:17]
	s_delay_alu instid0(TRANS32_DEP_1) | instskip(NEXT) | instid1(VALU_DEP_1)
	v_fma_f64 v[22:23], -v[16:17], v[20:21], 1.0
	v_fma_f64 v[20:21], v[20:21], v[22:23], v[20:21]
	s_delay_alu instid0(VALU_DEP_1) | instskip(NEXT) | instid1(VALU_DEP_1)
	v_fma_f64 v[22:23], -v[16:17], v[20:21], 1.0
	v_fma_f64 v[20:21], v[20:21], v[22:23], v[20:21]
	v_div_scale_f64 v[22:23], vcc_lo, 1.0, v[6:7], 1.0
	s_delay_alu instid0(VALU_DEP_1) | instskip(NEXT) | instid1(VALU_DEP_1)
	v_mul_f64_e32 v[28:29], v[22:23], v[20:21]
	v_fma_f64 v[16:17], -v[16:17], v[28:29], v[22:23]
	s_wait_alu 0xfffd
	s_delay_alu instid0(VALU_DEP_1) | instskip(NEXT) | instid1(VALU_DEP_1)
	v_div_fmas_f64 v[16:17], v[16:17], v[20:21], v[28:29]
	v_div_fixup_f64 v[6:7], v[16:17], v[6:7], 1.0
	s_delay_alu instid0(VALU_DEP_1) | instskip(SKIP_2) | instid1(VALU_DEP_1)
	v_mul_f64_e32 v[6:7], v[8:9], v[6:7]
	v_mad_co_u64_u32 v[8:9], null, 0x5a, s2, v[0:1]
	v_mov_b32_e32 v9, v1
	v_lshlrev_b64_e32 v[16:17], 3, v[8:9]
	v_mad_co_u64_u32 v[8:9], null, 0xffffff9d, s2, v[8:9]
	v_mov_b32_e32 v9, v1
	s_delay_alu instid0(VALU_DEP_3) | instskip(SKIP_1) | instid1(VALU_DEP_4)
	v_add_co_u32 v20, vcc_lo, s6, v16
	s_wait_alu 0xfffd
	v_add_co_ci_u32_e64 v21, null, s7, v17, vcc_lo
	v_add_co_u32 v16, vcc_lo, s8, v16
	s_wait_alu 0xfffd
	v_add_co_ci_u32_e64 v17, null, s9, v17, vcc_lo
	global_load_b64 v[20:21], v[20:21], off
	v_lshl_add_u32 v0, s2, 1, v8
	v_min_num_f64_e32 v[6:7], s[0:1], v[6:7]
	s_wait_loadcnt 0x0
	s_delay_alu instid0(VALU_DEP_1)
	v_mul_f64_e32 v[6:7], v[20:21], v[6:7]
	global_store_b64 v[16:17], v[6:7], off
	v_lshlrev_b64_e32 v[6:7], 3, v[8:9]
	v_lshlrev_b64_e32 v[8:9], 3, v[0:1]
	s_wait_alu 0xfffe
	v_add_nc_u32_e32 v0, s4, v0
	s_delay_alu instid0(VALU_DEP_3)
	v_add_co_u32 v6, vcc_lo, s10, v6
	s_wait_alu 0xfffd
	v_add_co_ci_u32_e64 v7, null, s11, v7, vcc_lo
	v_add_co_u32 v16, vcc_lo, s10, v8
	s_wait_alu 0xfffd
	v_add_co_ci_u32_e64 v17, null, s11, v9, vcc_lo
	s_clause 0x1
	global_load_b64 v[20:21], v[6:7], off
	global_load_b64 v[22:23], v[16:17], off
	s_wait_loadcnt 0x1
	v_mul_f64_e32 v[28:29], v[24:25], v[20:21]
	s_wait_loadcnt 0x0
	v_mul_f64_e32 v[8:9], v[26:27], v[22:23]
	s_delay_alu instid0(VALU_DEP_1) | instskip(NEXT) | instid1(VALU_DEP_1)
	v_div_scale_f64 v[30:31], null, v[8:9], v[8:9], 1.0
	v_rcp_f64_e32 v[32:33], v[30:31]
	s_delay_alu instid0(TRANS32_DEP_1) | instskip(NEXT) | instid1(VALU_DEP_1)
	v_fma_f64 v[34:35], -v[30:31], v[32:33], 1.0
	v_fma_f64 v[32:33], v[32:33], v[34:35], v[32:33]
	s_delay_alu instid0(VALU_DEP_1) | instskip(NEXT) | instid1(VALU_DEP_1)
	v_fma_f64 v[34:35], -v[30:31], v[32:33], 1.0
	v_fma_f64 v[32:33], v[32:33], v[34:35], v[32:33]
	v_div_scale_f64 v[34:35], vcc_lo, 1.0, v[8:9], 1.0
	s_delay_alu instid0(VALU_DEP_1) | instskip(NEXT) | instid1(VALU_DEP_1)
	v_mul_f64_e32 v[36:37], v[34:35], v[32:33]
	v_fma_f64 v[30:31], -v[30:31], v[36:37], v[34:35]
	s_wait_alu 0xfffd
	s_delay_alu instid0(VALU_DEP_1) | instskip(NEXT) | instid1(VALU_DEP_1)
	v_div_fmas_f64 v[30:31], v[30:31], v[32:33], v[36:37]
	v_div_fixup_f64 v[8:9], v[30:31], v[8:9], 1.0
	s_delay_alu instid0(VALU_DEP_1) | instskip(SKIP_1) | instid1(VALU_DEP_1)
	v_mul_f64_e32 v[8:9], v[28:29], v[8:9]
	v_lshlrev_b64_e32 v[28:29], 3, v[0:1]
	v_add_co_u32 v30, vcc_lo, s6, v28
	s_wait_alu 0xfffd
	s_delay_alu instid0(VALU_DEP_2)
	v_add_co_ci_u32_e64 v31, null, s7, v29, vcc_lo
	v_add_co_u32 v28, vcc_lo, s8, v28
	s_wait_alu 0xfffd
	v_add_co_ci_u32_e64 v29, null, s9, v29, vcc_lo
	global_load_b64 v[30:31], v[30:31], off
	v_min_num_f64_e32 v[8:9], s[0:1], v[8:9]
	s_wait_loadcnt 0x0
	s_delay_alu instid0(VALU_DEP_1) | instskip(SKIP_3) | instid1(VALU_DEP_2)
	v_mul_f64_e32 v[8:9], v[30:31], v[8:9]
	global_store_b64 v[28:29], v[8:9], off
	v_mad_co_u64_u32 v[28:29], null, 0xffffff9f, s2, v[0:1]
	v_mul_f64_e32 v[8:9], v[24:25], v[22:23]
	v_add_nc_u32_e32 v0, s4, v28
	s_mul_i32 s4, s2, 0xffffffa1
	v_mov_b32_e32 v29, v1
	s_delay_alu instid0(VALU_DEP_1) | instskip(NEXT) | instid1(VALU_DEP_1)
	v_lshlrev_b64_e32 v[29:30], 3, v[28:29]
	v_add_co_u32 v29, vcc_lo, s10, v29
	s_wait_alu 0xfffd
	s_delay_alu instid0(VALU_DEP_2) | instskip(SKIP_4) | instid1(VALU_DEP_2)
	v_add_co_ci_u32_e64 v30, null, s11, v30, vcc_lo
	global_load_b64 v[29:30], v[29:30], off
	s_wait_loadcnt 0x0
	v_mul_f64_e32 v[29:30], v[26:27], v[29:30]
	v_mul_f64_e32 v[26:27], v[26:27], v[26:27]
	v_div_scale_f64 v[31:32], null, v[29:30], v[29:30], 1.0
	s_delay_alu instid0(VALU_DEP_1) | instskip(NEXT) | instid1(TRANS32_DEP_1)
	v_rcp_f64_e32 v[33:34], v[31:32]
	v_fma_f64 v[35:36], -v[31:32], v[33:34], 1.0
	s_delay_alu instid0(VALU_DEP_1) | instskip(NEXT) | instid1(VALU_DEP_1)
	v_fma_f64 v[33:34], v[33:34], v[35:36], v[33:34]
	v_fma_f64 v[35:36], -v[31:32], v[33:34], 1.0
	s_delay_alu instid0(VALU_DEP_1) | instskip(SKIP_1) | instid1(VALU_DEP_1)
	v_fma_f64 v[33:34], v[33:34], v[35:36], v[33:34]
	v_div_scale_f64 v[35:36], vcc_lo, 1.0, v[29:30], 1.0
	v_mul_f64_e32 v[37:38], v[35:36], v[33:34]
	s_delay_alu instid0(VALU_DEP_1) | instskip(SKIP_1) | instid1(VALU_DEP_1)
	v_fma_f64 v[31:32], -v[31:32], v[37:38], v[35:36]
	s_wait_alu 0xfffd
	v_div_fmas_f64 v[31:32], v[31:32], v[33:34], v[37:38]
	s_delay_alu instid0(VALU_DEP_1) | instskip(NEXT) | instid1(VALU_DEP_1)
	v_div_fixup_f64 v[29:30], v[31:32], v[29:30], 1.0
	v_mul_f64_e32 v[8:9], v[8:9], v[29:30]
	v_lshlrev_b64_e32 v[28:29], 3, v[0:1]
	s_wait_alu 0xfffe
	v_add_nc_u32_e32 v0, s4, v0
	s_delay_alu instid0(VALU_DEP_2) | instskip(SKIP_1) | instid1(VALU_DEP_3)
	v_add_co_u32 v30, vcc_lo, s6, v28
	s_wait_alu 0xfffd
	v_add_co_ci_u32_e64 v31, null, s7, v29, vcc_lo
	v_add_co_u32 v28, vcc_lo, s8, v28
	s_wait_alu 0xfffd
	v_add_co_ci_u32_e64 v29, null, s9, v29, vcc_lo
	global_load_b64 v[30:31], v[30:31], off
	v_min_num_f64_e32 v[8:9], s[0:1], v[8:9]
	s_wait_loadcnt 0x0
	s_delay_alu instid0(VALU_DEP_1) | instskip(SKIP_2) | instid1(VALU_DEP_1)
	v_mul_f64_e32 v[8:9], v[30:31], v[8:9]
	v_mad_co_u64_u32 v[30:31], null, s2, 13, v[0:1]
	v_mov_b32_e32 v31, v1
	v_lshlrev_b64_e32 v[31:32], 3, v[30:31]
	global_store_b64 v[28:29], v[8:9], off
	v_lshlrev_b64_e32 v[8:9], 3, v[0:1]
	s_delay_alu instid0(VALU_DEP_1) | instskip(SKIP_1) | instid1(VALU_DEP_2)
	v_add_co_u32 v8, vcc_lo, s10, v8
	s_wait_alu 0xfffd
	v_add_co_ci_u32_e64 v9, null, s11, v9, vcc_lo
	v_add_co_u32 v31, vcc_lo, s10, v31
	s_wait_alu 0xfffd
	v_add_co_ci_u32_e64 v32, null, s11, v32, vcc_lo
	s_clause 0x1
	global_load_b64 v[28:29], v[8:9], off
	global_load_b64 v[31:32], v[31:32], off
	s_wait_loadcnt 0x1
	v_mul_f64_e32 v[8:9], v[24:25], v[28:29]
	s_wait_loadcnt 0x0
	v_mul_f64_e32 v[31:32], v[14:15], v[31:32]
	s_delay_alu instid0(VALU_DEP_1) | instskip(NEXT) | instid1(VALU_DEP_1)
	v_div_scale_f64 v[33:34], null, v[31:32], v[31:32], 1.0
	v_rcp_f64_e32 v[35:36], v[33:34]
	s_delay_alu instid0(TRANS32_DEP_1) | instskip(NEXT) | instid1(VALU_DEP_1)
	v_fma_f64 v[37:38], -v[33:34], v[35:36], 1.0
	v_fma_f64 v[35:36], v[35:36], v[37:38], v[35:36]
	s_delay_alu instid0(VALU_DEP_1) | instskip(NEXT) | instid1(VALU_DEP_1)
	v_fma_f64 v[37:38], -v[33:34], v[35:36], 1.0
	v_fma_f64 v[35:36], v[35:36], v[37:38], v[35:36]
	v_div_scale_f64 v[37:38], vcc_lo, 1.0, v[31:32], 1.0
	s_delay_alu instid0(VALU_DEP_1) | instskip(NEXT) | instid1(VALU_DEP_1)
	v_mul_f64_e32 v[39:40], v[37:38], v[35:36]
	v_fma_f64 v[33:34], -v[33:34], v[39:40], v[37:38]
	s_wait_alu 0xfffd
	s_delay_alu instid0(VALU_DEP_1) | instskip(NEXT) | instid1(VALU_DEP_1)
	v_div_fmas_f64 v[33:34], v[33:34], v[35:36], v[39:40]
	v_div_fixup_f64 v[31:32], v[33:34], v[31:32], 1.0
	s_delay_alu instid0(VALU_DEP_1) | instskip(SKIP_2) | instid1(VALU_DEP_1)
	v_mul_f64_e32 v[8:9], v[8:9], v[31:32]
	v_mad_co_u64_u32 v[30:31], null, 0x53, s2, v[30:31]
	v_mov_b32_e32 v31, v1
	v_lshlrev_b64_e32 v[31:32], 3, v[30:31]
	v_add_nc_u32_e32 v0, s4, v30
	s_delay_alu instid0(VALU_DEP_2) | instskip(SKIP_1) | instid1(VALU_DEP_3)
	v_add_co_u32 v33, vcc_lo, s6, v31
	s_wait_alu 0xfffd
	v_add_co_ci_u32_e64 v34, null, s7, v32, vcc_lo
	v_add_co_u32 v31, vcc_lo, s8, v31
	s_wait_alu 0xfffd
	v_add_co_ci_u32_e64 v32, null, s9, v32, vcc_lo
	global_load_b64 v[33:34], v[33:34], off
	v_min_num_f64_e32 v[8:9], s[0:1], v[8:9]
	s_wait_loadcnt 0x0
	s_delay_alu instid0(VALU_DEP_1)
	v_mul_f64_e32 v[8:9], v[33:34], v[8:9]
	v_div_scale_f64 v[34:35], null, v[26:27], v[26:27], 1.0
	global_store_b64 v[31:32], v[8:9], off
	v_rcp_f64_e32 v[36:37], v[34:35]
	v_lshlrev_b64_e32 v[8:9], 3, v[0:1]
	v_add_nc_u32_e32 v0, s5, v0
	s_delay_alu instid0(VALU_DEP_2) | instskip(SKIP_1) | instid1(VALU_DEP_3)
	v_add_co_u32 v8, vcc_lo, s10, v8
	s_wait_alu 0xfffd
	v_add_co_ci_u32_e64 v9, null, s11, v9, vcc_lo
	global_load_b64 v[32:33], v[8:9], off
	v_fma_f64 v[38:39], -v[34:35], v[36:37], 1.0
	s_delay_alu instid0(VALU_DEP_1) | instskip(NEXT) | instid1(VALU_DEP_1)
	v_fma_f64 v[36:37], v[36:37], v[38:39], v[36:37]
	v_fma_f64 v[38:39], -v[34:35], v[36:37], 1.0
	s_delay_alu instid0(VALU_DEP_1) | instskip(SKIP_1) | instid1(VALU_DEP_1)
	v_fma_f64 v[36:37], v[36:37], v[38:39], v[36:37]
	v_div_scale_f64 v[38:39], vcc_lo, 1.0, v[26:27], 1.0
	v_mul_f64_e32 v[40:41], v[38:39], v[36:37]
	s_delay_alu instid0(VALU_DEP_1) | instskip(SKIP_1) | instid1(VALU_DEP_1)
	v_fma_f64 v[34:35], -v[34:35], v[40:41], v[38:39]
	s_wait_alu 0xfffd
	v_div_fmas_f64 v[34:35], v[34:35], v[36:37], v[40:41]
	s_delay_alu instid0(VALU_DEP_1) | instskip(SKIP_3) | instid1(VALU_DEP_2)
	v_div_fixup_f64 v[26:27], v[34:35], v[26:27], 1.0
	v_lshlrev_b64_e32 v[34:35], 3, v[0:1]
	v_add_nc_u32_e32 v0, s4, v0
	s_mul_i32 s4, s2, 0x5c
	v_add_co_u32 v36, vcc_lo, s6, v34
	s_wait_alu 0xfffd
	s_delay_alu instid0(VALU_DEP_3)
	v_add_co_ci_u32_e64 v37, null, s7, v35, vcc_lo
	v_add_co_u32 v34, vcc_lo, s8, v34
	s_wait_alu 0xfffd
	v_add_co_ci_u32_e64 v35, null, s9, v35, vcc_lo
	global_load_b64 v[36:37], v[36:37], off
	s_wait_loadcnt 0x1
	v_mul_f64_e32 v[30:31], v[24:25], v[32:33]
	s_delay_alu instid0(VALU_DEP_1) | instskip(NEXT) | instid1(VALU_DEP_1)
	v_mul_f64_e32 v[30:31], v[26:27], v[30:31]
	v_min_num_f64_e32 v[30:31], s[0:1], v[30:31]
	s_wait_loadcnt 0x0
	s_delay_alu instid0(VALU_DEP_1) | instskip(SKIP_4) | instid1(VALU_DEP_2)
	v_mul_f64_e32 v[30:31], v[36:37], v[30:31]
	global_store_b64 v[34:35], v[30:31], off
	v_lshlrev_b64_e32 v[30:31], 3, v[0:1]
	v_add_nc_u32_e32 v0, s5, v0
	s_mul_i32 s5, s2, 0x5e
	v_add_co_u32 v30, vcc_lo, s10, v30
	s_wait_alu 0xfffd
	s_delay_alu instid0(VALU_DEP_3) | instskip(SKIP_3) | instid1(VALU_DEP_1)
	v_add_co_ci_u32_e64 v31, null, s11, v31, vcc_lo
	global_load_b64 v[34:35], v[30:31], off
	s_wait_loadcnt 0x0
	v_mul_f64_e32 v[24:25], v[24:25], v[34:35]
	v_mul_f64_e32 v[24:25], v[26:27], v[24:25]
	v_lshlrev_b64_e32 v[26:27], 3, v[0:1]
	s_delay_alu instid0(VALU_DEP_1) | instskip(SKIP_1) | instid1(VALU_DEP_2)
	v_add_co_u32 v30, vcc_lo, s6, v26
	s_wait_alu 0xfffd
	v_add_co_ci_u32_e64 v31, null, s7, v27, vcc_lo
	v_add_co_u32 v26, vcc_lo, s8, v26
	s_wait_alu 0xfffd
	v_add_co_ci_u32_e64 v27, null, s9, v27, vcc_lo
	global_load_b64 v[30:31], v[30:31], off
	v_min_num_f64_e32 v[24:25], s[0:1], v[24:25]
	s_wait_loadcnt 0x0
	s_delay_alu instid0(VALU_DEP_1) | instskip(SKIP_3) | instid1(VALU_DEP_1)
	v_mul_f64_e32 v[24:25], v[30:31], v[24:25]
	global_store_b64 v[26:27], v[24:25], off
	v_mad_co_u64_u32 v[24:25], null, 0xffffffae, s2, v[0:1]
	v_mov_b32_e32 v25, v1
	v_lshlrev_b64_e32 v[25:26], 3, v[24:25]
	v_add_nc_u32_e32 v0, s3, v24
	s_mul_i32 s3, s2, 0xffffffa5
	s_delay_alu instid0(VALU_DEP_2) | instskip(SKIP_1) | instid1(VALU_DEP_3)
	v_add_co_u32 v25, vcc_lo, s10, v25
	s_wait_alu 0xfffd
	v_add_co_ci_u32_e64 v26, null, s11, v26, vcc_lo
	global_load_b64 v[36:37], v[25:26], off
	v_lshlrev_b64_e32 v[24:25], 3, v[0:1]
	s_wait_alu 0xfffe
	v_add_nc_u32_e32 v0, s5, v0
	s_delay_alu instid0(VALU_DEP_2) | instskip(SKIP_1) | instid1(VALU_DEP_3)
	v_add_co_u32 v26, vcc_lo, s10, v24
	s_wait_alu 0xfffd
	v_add_co_ci_u32_e64 v27, null, s11, v25, vcc_lo
	global_load_b64 v[38:39], v[26:27], off
	s_wait_loadcnt 0x1
	v_mul_f64_e32 v[30:31], v[14:15], v[36:37]
	v_mul_f64_e32 v[18:19], v[18:19], v[36:37]
	s_wait_loadcnt 0x0
	v_mul_f64_e32 v[24:25], v[34:35], v[38:39]
	v_mul_f64_e32 v[22:23], v[22:23], v[38:39]
	s_delay_alu instid0(VALU_DEP_2) | instskip(NEXT) | instid1(VALU_DEP_2)
	v_div_scale_f64 v[34:35], null, v[24:25], v[24:25], 1.0
	v_mul_f64_e32 v[22:23], v[38:39], v[22:23]
	s_delay_alu instid0(VALU_DEP_2) | instskip(NEXT) | instid1(VALU_DEP_1)
	v_rcp_f64_e32 v[40:41], v[34:35]
	v_mul_f64_e32 v[22:23], v[4:5], v[22:23]
	s_delay_alu instid0(TRANS32_DEP_1) | instskip(NEXT) | instid1(VALU_DEP_1)
	v_fma_f64 v[42:43], -v[34:35], v[40:41], 1.0
	v_fma_f64 v[40:41], v[40:41], v[42:43], v[40:41]
	s_delay_alu instid0(VALU_DEP_1) | instskip(NEXT) | instid1(VALU_DEP_1)
	v_fma_f64 v[42:43], -v[34:35], v[40:41], 1.0
	v_fma_f64 v[40:41], v[40:41], v[42:43], v[40:41]
	v_div_scale_f64 v[42:43], vcc_lo, 1.0, v[24:25], 1.0
	s_delay_alu instid0(VALU_DEP_1) | instskip(NEXT) | instid1(VALU_DEP_1)
	v_mul_f64_e32 v[44:45], v[42:43], v[40:41]
	v_fma_f64 v[34:35], -v[34:35], v[44:45], v[42:43]
	s_wait_alu 0xfffd
	s_delay_alu instid0(VALU_DEP_1) | instskip(NEXT) | instid1(VALU_DEP_1)
	v_div_fmas_f64 v[34:35], v[34:35], v[40:41], v[44:45]
	v_div_fixup_f64 v[24:25], v[34:35], v[24:25], 1.0
	v_lshlrev_b64_e32 v[34:35], 3, v[0:1]
	v_add_nc_u32_e32 v0, s2, v0
	s_delay_alu instid0(VALU_DEP_2) | instskip(SKIP_1) | instid1(VALU_DEP_3)
	v_add_co_u32 v40, vcc_lo, s6, v34
	s_wait_alu 0xfffd
	v_add_co_ci_u32_e64 v41, null, s7, v35, vcc_lo
	v_add_co_u32 v34, vcc_lo, s8, v34
	s_wait_alu 0xfffd
	v_add_co_ci_u32_e64 v35, null, s9, v35, vcc_lo
	global_load_b64 v[40:41], v[40:41], off
	v_mul_f64_e32 v[24:25], v[30:31], v[24:25]
	s_delay_alu instid0(VALU_DEP_1) | instskip(SKIP_1) | instid1(VALU_DEP_1)
	v_min_num_f64_e32 v[24:25], s[0:1], v[24:25]
	s_wait_loadcnt 0x0
	v_mul_f64_e32 v[24:25], v[40:41], v[24:25]
	global_store_b64 v[34:35], v[24:25], off
	v_mul_f64_e32 v[34:35], v[14:15], v[38:39]
	v_mul_f64_e32 v[24:25], v[20:21], v[36:37]
	s_delay_alu instid0(VALU_DEP_2) | instskip(NEXT) | instid1(VALU_DEP_1)
	v_mul_f64_e32 v[34:35], v[38:39], v[34:35]
	v_mul_f64_e32 v[34:35], v[4:5], v[34:35]
	s_delay_alu instid0(VALU_DEP_1) | instskip(NEXT) | instid1(VALU_DEP_1)
	v_div_scale_f64 v[40:41], null, v[34:35], v[34:35], 1.0
	v_rcp_f64_e32 v[42:43], v[40:41]
	s_delay_alu instid0(TRANS32_DEP_1) | instskip(NEXT) | instid1(VALU_DEP_1)
	v_fma_f64 v[44:45], -v[40:41], v[42:43], 1.0
	v_fma_f64 v[42:43], v[42:43], v[44:45], v[42:43]
	s_delay_alu instid0(VALU_DEP_1) | instskip(NEXT) | instid1(VALU_DEP_1)
	v_fma_f64 v[44:45], -v[40:41], v[42:43], 1.0
	v_fma_f64 v[42:43], v[42:43], v[44:45], v[42:43]
	v_div_scale_f64 v[44:45], vcc_lo, 1.0, v[34:35], 1.0
	s_delay_alu instid0(VALU_DEP_1) | instskip(NEXT) | instid1(VALU_DEP_1)
	v_mul_f64_e32 v[46:47], v[44:45], v[42:43]
	v_fma_f64 v[40:41], -v[40:41], v[46:47], v[44:45]
	s_wait_alu 0xfffd
	s_delay_alu instid0(VALU_DEP_1) | instskip(NEXT) | instid1(VALU_DEP_1)
	v_div_fmas_f64 v[40:41], v[40:41], v[42:43], v[46:47]
	v_div_fixup_f64 v[34:35], v[40:41], v[34:35], 1.0
	s_delay_alu instid0(VALU_DEP_1) | instskip(SKIP_2) | instid1(VALU_DEP_2)
	v_mul_f64_e32 v[24:25], v[24:25], v[34:35]
	v_lshlrev_b64_e32 v[34:35], 3, v[0:1]
	v_add_nc_u32_e32 v0, s2, v0
	v_add_co_u32 v40, vcc_lo, s6, v34
	s_wait_alu 0xfffd
	s_delay_alu instid0(VALU_DEP_3)
	v_add_co_ci_u32_e64 v41, null, s7, v35, vcc_lo
	v_add_co_u32 v34, vcc_lo, s8, v34
	s_wait_alu 0xfffd
	v_add_co_ci_u32_e64 v35, null, s9, v35, vcc_lo
	global_load_b64 v[40:41], v[40:41], off
	v_min_num_f64_e32 v[24:25], s[0:1], v[24:25]
	s_wait_loadcnt 0x0
	s_delay_alu instid0(VALU_DEP_1) | instskip(SKIP_2) | instid1(VALU_DEP_1)
	v_mul_f64_e32 v[24:25], v[40:41], v[24:25]
	global_store_b64 v[34:35], v[24:25], off
	v_div_scale_f64 v[24:25], null, v[22:23], v[22:23], 1.0
	v_rcp_f64_e32 v[34:35], v[24:25]
	s_delay_alu instid0(TRANS32_DEP_1) | instskip(NEXT) | instid1(VALU_DEP_1)
	v_fma_f64 v[40:41], -v[24:25], v[34:35], 1.0
	v_fma_f64 v[34:35], v[34:35], v[40:41], v[34:35]
	s_delay_alu instid0(VALU_DEP_1) | instskip(NEXT) | instid1(VALU_DEP_1)
	v_fma_f64 v[40:41], -v[24:25], v[34:35], 1.0
	v_fma_f64 v[34:35], v[34:35], v[40:41], v[34:35]
	v_div_scale_f64 v[40:41], vcc_lo, 1.0, v[22:23], 1.0
	s_delay_alu instid0(VALU_DEP_1) | instskip(NEXT) | instid1(VALU_DEP_1)
	v_mul_f64_e32 v[42:43], v[40:41], v[34:35]
	v_fma_f64 v[24:25], -v[24:25], v[42:43], v[40:41]
	s_wait_alu 0xfffd
	s_delay_alu instid0(VALU_DEP_1) | instskip(NEXT) | instid1(VALU_DEP_1)
	v_div_fmas_f64 v[24:25], v[24:25], v[34:35], v[42:43]
	v_div_fixup_f64 v[22:23], v[24:25], v[22:23], 1.0
	s_delay_alu instid0(VALU_DEP_1) | instskip(SKIP_2) | instid1(VALU_DEP_2)
	v_mul_f64_e32 v[18:19], v[18:19], v[22:23]
	v_lshlrev_b64_e32 v[22:23], 3, v[0:1]
	v_add_nc_u32_e32 v0, s3, v0
	v_add_co_u32 v24, vcc_lo, s6, v22
	s_wait_alu 0xfffd
	s_delay_alu instid0(VALU_DEP_3)
	v_add_co_ci_u32_e64 v25, null, s7, v23, vcc_lo
	v_add_co_u32 v22, vcc_lo, s8, v22
	s_wait_alu 0xfffd
	v_add_co_ci_u32_e64 v23, null, s9, v23, vcc_lo
	global_load_b64 v[24:25], v[24:25], off
	v_min_num_f64_e32 v[18:19], s[0:1], v[18:19]
	s_wait_loadcnt 0x0
	s_delay_alu instid0(VALU_DEP_1) | instskip(SKIP_4) | instid1(VALU_DEP_3)
	v_mul_f64_e32 v[18:19], v[24:25], v[18:19]
	global_store_b64 v[22:23], v[18:19], off
	v_lshlrev_b64_e32 v[18:19], 3, v[0:1]
	v_mul_f64_e32 v[22:23], v[28:29], v[36:37]
	v_add_nc_u32_e32 v0, s4, v0
	v_add_co_u32 v18, vcc_lo, s10, v18
	s_wait_alu 0xfffd
	s_delay_alu instid0(VALU_DEP_4) | instskip(SKIP_4) | instid1(VALU_DEP_2)
	v_add_co_ci_u32_e64 v19, null, s11, v19, vcc_lo
	global_load_b64 v[18:19], v[18:19], off
	s_wait_loadcnt 0x0
	v_mul_f64_e32 v[24:25], v[38:39], v[18:19]
	v_mul_f64_e32 v[14:15], v[14:15], v[18:19]
	v_div_scale_f64 v[28:29], null, v[24:25], v[24:25], 1.0
	s_delay_alu instid0(VALU_DEP_2) | instskip(NEXT) | instid1(VALU_DEP_2)
	v_mul_f64_e32 v[14:15], v[4:5], v[14:15]
	v_rcp_f64_e32 v[34:35], v[28:29]
	s_delay_alu instid0(TRANS32_DEP_1) | instskip(NEXT) | instid1(VALU_DEP_1)
	v_fma_f64 v[40:41], -v[28:29], v[34:35], 1.0
	v_fma_f64 v[34:35], v[34:35], v[40:41], v[34:35]
	s_delay_alu instid0(VALU_DEP_1) | instskip(NEXT) | instid1(VALU_DEP_1)
	v_fma_f64 v[40:41], -v[28:29], v[34:35], 1.0
	v_fma_f64 v[34:35], v[34:35], v[40:41], v[34:35]
	v_div_scale_f64 v[40:41], vcc_lo, 1.0, v[24:25], 1.0
	s_delay_alu instid0(VALU_DEP_1) | instskip(NEXT) | instid1(VALU_DEP_1)
	v_mul_f64_e32 v[42:43], v[40:41], v[34:35]
	v_fma_f64 v[28:29], -v[28:29], v[42:43], v[40:41]
	s_wait_alu 0xfffd
	s_delay_alu instid0(VALU_DEP_1) | instskip(NEXT) | instid1(VALU_DEP_1)
	v_div_fmas_f64 v[28:29], v[28:29], v[34:35], v[42:43]
	v_div_fixup_f64 v[24:25], v[28:29], v[24:25], 1.0
	s_delay_alu instid0(VALU_DEP_1) | instskip(SKIP_1) | instid1(VALU_DEP_1)
	v_mul_f64_e32 v[22:23], v[22:23], v[24:25]
	v_lshlrev_b64_e32 v[24:25], 3, v[0:1]
	v_add_co_u32 v28, vcc_lo, s6, v24
	s_wait_alu 0xfffd
	s_delay_alu instid0(VALU_DEP_2)
	v_add_co_ci_u32_e64 v29, null, s7, v25, vcc_lo
	v_add_co_u32 v24, vcc_lo, s8, v24
	s_wait_alu 0xfffd
	v_add_co_ci_u32_e64 v25, null, s9, v25, vcc_lo
	global_load_b64 v[28:29], v[28:29], off
	v_min_num_f64_e32 v[22:23], s[0:1], v[22:23]
	s_wait_loadcnt 0x0
	s_delay_alu instid0(VALU_DEP_1)
	v_mul_f64_e32 v[22:23], v[28:29], v[22:23]
	v_mad_co_u64_u32 v[28:29], null, 0xffffffa6, s2, v[0:1]
	v_mov_b32_e32 v29, v1
	global_store_b64 v[24:25], v[22:23], off
	v_lshlrev_b64_e32 v[24:25], 3, v[28:29]
	v_mul_f64_e32 v[22:23], v[32:33], v[36:37]
	v_mad_co_u64_u32 v[28:29], null, 0x5b, s2, v[28:29]
	v_mov_b32_e32 v29, v1
	s_delay_alu instid0(VALU_DEP_4) | instskip(SKIP_2) | instid1(VALU_DEP_4)
	v_add_co_u32 v24, vcc_lo, s10, v24
	s_wait_alu 0xfffd
	v_add_co_ci_u32_e64 v25, null, s11, v25, vcc_lo
	v_add_nc_u32_e32 v0, s2, v28
	global_load_b64 v[32:33], v[24:25], off
	s_wait_loadcnt 0x0
	v_mul_f64_e32 v[34:35], v[38:39], v[32:33]
	s_delay_alu instid0(VALU_DEP_1) | instskip(NEXT) | instid1(VALU_DEP_1)
	v_div_scale_f64 v[40:41], null, v[34:35], v[34:35], 1.0
	v_rcp_f64_e32 v[42:43], v[40:41]
	s_delay_alu instid0(TRANS32_DEP_1) | instskip(NEXT) | instid1(VALU_DEP_1)
	v_fma_f64 v[44:45], -v[40:41], v[42:43], 1.0
	v_fma_f64 v[42:43], v[42:43], v[44:45], v[42:43]
	s_delay_alu instid0(VALU_DEP_1) | instskip(NEXT) | instid1(VALU_DEP_1)
	v_fma_f64 v[44:45], -v[40:41], v[42:43], 1.0
	v_fma_f64 v[42:43], v[42:43], v[44:45], v[42:43]
	v_div_scale_f64 v[44:45], vcc_lo, 1.0, v[34:35], 1.0
	s_delay_alu instid0(VALU_DEP_1) | instskip(NEXT) | instid1(VALU_DEP_1)
	v_mul_f64_e32 v[46:47], v[44:45], v[42:43]
	v_fma_f64 v[40:41], -v[40:41], v[46:47], v[44:45]
	s_wait_alu 0xfffd
	s_delay_alu instid0(VALU_DEP_1) | instskip(NEXT) | instid1(VALU_DEP_1)
	v_div_fmas_f64 v[40:41], v[40:41], v[42:43], v[46:47]
	v_div_fixup_f64 v[34:35], v[40:41], v[34:35], 1.0
	s_delay_alu instid0(VALU_DEP_1) | instskip(SKIP_2) | instid1(VALU_DEP_2)
	v_mul_f64_e32 v[22:23], v[22:23], v[34:35]
	v_lshlrev_b64_e32 v[34:35], 3, v[28:29]
	v_lshlrev_b64_e32 v[28:29], 3, v[0:1]
	v_add_co_u32 v40, vcc_lo, s6, v34
	s_wait_alu 0xfffd
	s_delay_alu instid0(VALU_DEP_3)
	v_add_co_ci_u32_e64 v41, null, s7, v35, vcc_lo
	v_add_co_u32 v34, vcc_lo, s8, v34
	s_wait_alu 0xfffd
	v_add_co_ci_u32_e64 v35, null, s9, v35, vcc_lo
	global_load_b64 v[40:41], v[40:41], off
	v_min_num_f64_e32 v[22:23], s[0:1], v[22:23]
	s_wait_loadcnt 0x0
	s_delay_alu instid0(VALU_DEP_1) | instskip(SKIP_3) | instid1(VALU_DEP_2)
	v_mul_f64_e32 v[22:23], v[40:41], v[22:23]
	global_store_b64 v[34:35], v[22:23], off
	v_mul_f64_e32 v[34:35], v[38:39], v[38:39]
	v_mul_f64_e32 v[22:23], v[36:37], v[36:37]
	;; [unrolled: 1-line block ×3, first 2 shown]
	s_delay_alu instid0(VALU_DEP_1) | instskip(NEXT) | instid1(VALU_DEP_1)
	v_mul_f64_e32 v[34:35], v[4:5], v[34:35]
	v_div_scale_f64 v[36:37], null, v[34:35], v[34:35], 1.0
	s_delay_alu instid0(VALU_DEP_1) | instskip(NEXT) | instid1(TRANS32_DEP_1)
	v_rcp_f64_e32 v[38:39], v[36:37]
	v_fma_f64 v[40:41], -v[36:37], v[38:39], 1.0
	s_delay_alu instid0(VALU_DEP_1) | instskip(NEXT) | instid1(VALU_DEP_1)
	v_fma_f64 v[38:39], v[38:39], v[40:41], v[38:39]
	v_fma_f64 v[40:41], -v[36:37], v[38:39], 1.0
	s_delay_alu instid0(VALU_DEP_1) | instskip(SKIP_1) | instid1(VALU_DEP_1)
	v_fma_f64 v[38:39], v[38:39], v[40:41], v[38:39]
	v_div_scale_f64 v[40:41], vcc_lo, 1.0, v[34:35], 1.0
	v_mul_f64_e32 v[42:43], v[40:41], v[38:39]
	s_delay_alu instid0(VALU_DEP_1) | instskip(SKIP_1) | instid1(VALU_DEP_1)
	v_fma_f64 v[36:37], -v[36:37], v[42:43], v[40:41]
	s_wait_alu 0xfffd
	v_div_fmas_f64 v[36:37], v[36:37], v[38:39], v[42:43]
	s_delay_alu instid0(VALU_DEP_1) | instskip(NEXT) | instid1(VALU_DEP_1)
	v_div_fixup_f64 v[34:35], v[36:37], v[34:35], 1.0
	v_mul_f64_e32 v[22:23], v[22:23], v[34:35]
	v_add_co_u32 v34, vcc_lo, s6, v28
	s_wait_alu 0xfffd
	v_add_co_ci_u32_e64 v35, null, s7, v29, vcc_lo
	v_add_co_u32 v28, vcc_lo, s8, v28
	s_wait_alu 0xfffd
	v_add_co_ci_u32_e64 v29, null, s9, v29, vcc_lo
	global_load_b64 v[34:35], v[34:35], off
	v_min_num_f64_e32 v[22:23], s[0:1], v[22:23]
	s_wait_loadcnt 0x0
	s_delay_alu instid0(VALU_DEP_1) | instskip(SKIP_3) | instid1(VALU_DEP_1)
	v_mul_f64_e32 v[22:23], v[22:23], v[34:35]
	global_store_b64 v[28:29], v[22:23], off
	v_mad_co_u64_u32 v[28:29], null, 0xffffffa3, s2, v[0:1]
	v_mov_b32_e32 v29, v1
	v_lshlrev_b64_e32 v[22:23], 3, v[28:29]
	v_add_nc_u32_e32 v0, s5, v28
	s_delay_alu instid0(VALU_DEP_2) | instskip(SKIP_1) | instid1(VALU_DEP_3)
	v_add_co_u32 v22, vcc_lo, s10, v22
	s_wait_alu 0xfffd
	v_add_co_ci_u32_e64 v23, null, s11, v23, vcc_lo
	s_delay_alu instid0(VALU_DEP_3) | instskip(SKIP_4) | instid1(VALU_DEP_1)
	v_lshlrev_b64_e32 v[28:29], 3, v[0:1]
	v_add_nc_u32_e32 v0, s2, v0
	global_load_b64 v[34:35], v[22:23], off
	s_wait_loadcnt 0x0
	v_div_scale_f64 v[36:37], null, v[34:35], v[34:35], 1.0
	v_rcp_f64_e32 v[38:39], v[36:37]
	s_delay_alu instid0(TRANS32_DEP_1) | instskip(NEXT) | instid1(VALU_DEP_1)
	v_fma_f64 v[40:41], -v[36:37], v[38:39], 1.0
	v_fma_f64 v[38:39], v[38:39], v[40:41], v[38:39]
	s_delay_alu instid0(VALU_DEP_1) | instskip(NEXT) | instid1(VALU_DEP_1)
	v_fma_f64 v[40:41], -v[36:37], v[38:39], 1.0
	v_fma_f64 v[38:39], v[38:39], v[40:41], v[38:39]
	v_div_scale_f64 v[40:41], vcc_lo, 1.0, v[34:35], 1.0
	s_delay_alu instid0(VALU_DEP_1) | instskip(NEXT) | instid1(VALU_DEP_1)
	v_mul_f64_e32 v[42:43], v[40:41], v[38:39]
	v_fma_f64 v[36:37], -v[36:37], v[42:43], v[40:41]
	s_wait_alu 0xfffd
	s_delay_alu instid0(VALU_DEP_1) | instskip(NEXT) | instid1(VALU_DEP_1)
	v_div_fmas_f64 v[36:37], v[36:37], v[38:39], v[42:43]
	v_div_fixup_f64 v[34:35], v[36:37], v[34:35], 1.0
	v_add_co_u32 v36, vcc_lo, s6, v28
	s_wait_alu 0xfffd
	v_add_co_ci_u32_e64 v37, null, s7, v29, vcc_lo
	v_add_co_u32 v28, vcc_lo, s8, v28
	s_wait_alu 0xfffd
	v_add_co_ci_u32_e64 v29, null, s9, v29, vcc_lo
	global_load_b64 v[36:37], v[36:37], off
	v_mul_f64_e32 v[34:35], v[18:19], v[34:35]
	s_delay_alu instid0(VALU_DEP_1) | instskip(SKIP_1) | instid1(VALU_DEP_1)
	v_min_num_f64_e32 v[34:35], s[0:1], v[34:35]
	s_wait_loadcnt 0x0
	v_mul_f64_e32 v[34:35], v[36:37], v[34:35]
	global_store_b64 v[28:29], v[34:35], off
	v_div_scale_f64 v[28:29], null, v[14:15], v[14:15], 1.0
	s_delay_alu instid0(VALU_DEP_1) | instskip(NEXT) | instid1(TRANS32_DEP_1)
	v_rcp_f64_e32 v[34:35], v[28:29]
	v_fma_f64 v[36:37], -v[28:29], v[34:35], 1.0
	s_delay_alu instid0(VALU_DEP_1) | instskip(NEXT) | instid1(VALU_DEP_1)
	v_fma_f64 v[34:35], v[34:35], v[36:37], v[34:35]
	v_fma_f64 v[36:37], -v[28:29], v[34:35], 1.0
	s_delay_alu instid0(VALU_DEP_1) | instskip(SKIP_1) | instid1(VALU_DEP_1)
	v_fma_f64 v[34:35], v[34:35], v[36:37], v[34:35]
	v_div_scale_f64 v[36:37], vcc_lo, 1.0, v[14:15], 1.0
	v_mul_f64_e32 v[38:39], v[36:37], v[34:35]
	s_delay_alu instid0(VALU_DEP_1) | instskip(SKIP_1) | instid1(VALU_DEP_1)
	v_fma_f64 v[28:29], -v[28:29], v[38:39], v[36:37]
	s_wait_alu 0xfffd
	v_div_fmas_f64 v[28:29], v[28:29], v[34:35], v[38:39]
	s_delay_alu instid0(VALU_DEP_1) | instskip(SKIP_2) | instid1(VALU_DEP_3)
	v_div_fixup_f64 v[14:15], v[28:29], v[14:15], 1.0
	v_lshlrev_b64_e32 v[28:29], 3, v[0:1]
	v_add_nc_u32_e32 v0, s2, v0
	v_mul_f64_e32 v[14:15], v[32:33], v[14:15]
	s_delay_alu instid0(VALU_DEP_3) | instskip(SKIP_1) | instid1(VALU_DEP_4)
	v_add_co_u32 v32, vcc_lo, s6, v28
	s_wait_alu 0xfffd
	v_add_co_ci_u32_e64 v33, null, s7, v29, vcc_lo
	v_add_co_u32 v28, vcc_lo, s8, v28
	s_wait_alu 0xfffd
	v_add_co_ci_u32_e64 v29, null, s9, v29, vcc_lo
	global_load_b64 v[32:33], v[32:33], off
	v_min_num_f64_e32 v[14:15], s[0:1], v[14:15]
	s_wait_loadcnt 0x0
	s_delay_alu instid0(VALU_DEP_1) | instskip(SKIP_3) | instid1(VALU_DEP_1)
	v_mul_f64_e32 v[14:15], v[14:15], v[32:33]
	global_store_b64 v[28:29], v[14:15], off
	v_mul_f64_e32 v[14:15], v[20:21], v[18:19]
	v_div_scale_f64 v[20:21], null, v[30:31], v[30:31], 1.0
	v_rcp_f64_e32 v[28:29], v[20:21]
	s_delay_alu instid0(TRANS32_DEP_1) | instskip(NEXT) | instid1(VALU_DEP_1)
	v_fma_f64 v[32:33], -v[20:21], v[28:29], 1.0
	v_fma_f64 v[28:29], v[28:29], v[32:33], v[28:29]
	s_delay_alu instid0(VALU_DEP_1) | instskip(NEXT) | instid1(VALU_DEP_1)
	v_fma_f64 v[32:33], -v[20:21], v[28:29], 1.0
	v_fma_f64 v[28:29], v[28:29], v[32:33], v[28:29]
	v_div_scale_f64 v[32:33], vcc_lo, 1.0, v[30:31], 1.0
	s_delay_alu instid0(VALU_DEP_1) | instskip(NEXT) | instid1(VALU_DEP_1)
	v_mul_f64_e32 v[34:35], v[32:33], v[28:29]
	v_fma_f64 v[20:21], -v[20:21], v[34:35], v[32:33]
	s_wait_alu 0xfffd
	s_delay_alu instid0(VALU_DEP_1) | instskip(SKIP_2) | instid1(VALU_DEP_3)
	v_div_fmas_f64 v[20:21], v[20:21], v[28:29], v[34:35]
	v_lshlrev_b64_e32 v[28:29], 3, v[0:1]
	v_add_nc_u32_e32 v0, s2, v0
	v_div_fixup_f64 v[20:21], v[20:21], v[30:31], 1.0
	s_delay_alu instid0(VALU_DEP_3) | instskip(SKIP_1) | instid1(VALU_DEP_4)
	v_add_co_u32 v30, vcc_lo, s6, v28
	s_wait_alu 0xfffd
	v_add_co_ci_u32_e64 v31, null, s7, v29, vcc_lo
	v_add_co_u32 v28, vcc_lo, s8, v28
	s_wait_alu 0xfffd
	v_add_co_ci_u32_e64 v29, null, s9, v29, vcc_lo
	global_load_b64 v[30:31], v[30:31], off
	v_mul_f64_e32 v[20:21], v[20:21], v[14:15]
	s_delay_alu instid0(VALU_DEP_1) | instskip(SKIP_1) | instid1(VALU_DEP_1)
	v_min_num_f64_e32 v[20:21], s[0:1], v[20:21]
	s_wait_loadcnt 0x0
	v_mul_f64_e32 v[20:21], v[20:21], v[30:31]
	global_store_b64 v[28:29], v[20:21], off
	s_clause 0x6
	global_load_b64 v[20:21], v[8:9], off
	global_load_b64 v[26:27], v[26:27], off
	;; [unrolled: 1-line block ×7, first 2 shown]
	s_wait_loadcnt 0x5
	v_mul_f64_e32 v[20:21], v[20:21], v[26:27]
	s_wait_loadcnt 0x0
	v_mul_f64_e32 v[24:25], v[26:27], v[24:25]
	s_delay_alu instid0(VALU_DEP_2) | instskip(NEXT) | instid1(VALU_DEP_1)
	v_div_scale_f64 v[28:29], null, v[20:21], v[20:21], 1.0
	v_rcp_f64_e32 v[30:31], v[28:29]
	s_delay_alu instid0(TRANS32_DEP_1) | instskip(NEXT) | instid1(VALU_DEP_1)
	v_fma_f64 v[32:33], -v[28:29], v[30:31], 1.0
	v_fma_f64 v[30:31], v[30:31], v[32:33], v[30:31]
	s_delay_alu instid0(VALU_DEP_1) | instskip(NEXT) | instid1(VALU_DEP_1)
	v_fma_f64 v[32:33], -v[28:29], v[30:31], 1.0
	v_fma_f64 v[30:31], v[30:31], v[32:33], v[30:31]
	v_div_scale_f64 v[32:33], vcc_lo, 1.0, v[20:21], 1.0
	s_delay_alu instid0(VALU_DEP_1) | instskip(NEXT) | instid1(VALU_DEP_1)
	v_mul_f64_e32 v[34:35], v[32:33], v[30:31]
	v_fma_f64 v[28:29], -v[28:29], v[34:35], v[32:33]
	s_wait_alu 0xfffd
	s_delay_alu instid0(VALU_DEP_1) | instskip(NEXT) | instid1(VALU_DEP_1)
	v_div_fmas_f64 v[28:29], v[28:29], v[30:31], v[34:35]
	v_div_fixup_f64 v[20:21], v[28:29], v[20:21], 1.0
	v_lshlrev_b64_e32 v[28:29], 3, v[0:1]
	v_add_nc_u32_e32 v0, s3, v0
	s_delay_alu instid0(VALU_DEP_2) | instskip(SKIP_1) | instid1(VALU_DEP_3)
	v_add_co_u32 v30, vcc_lo, s6, v28
	s_wait_alu 0xfffd
	v_add_co_ci_u32_e64 v31, null, s7, v29, vcc_lo
	v_add_co_u32 v28, vcc_lo, s8, v28
	s_wait_alu 0xfffd
	v_add_co_ci_u32_e64 v29, null, s9, v29, vcc_lo
	global_load_b64 v[30:31], v[30:31], off
	v_mul_f64_e32 v[14:15], v[14:15], v[20:21]
	s_delay_alu instid0(VALU_DEP_1) | instskip(SKIP_1) | instid1(VALU_DEP_1)
	v_min_num_f64_e32 v[14:15], s[0:1], v[14:15]
	s_wait_loadcnt 0x0
	v_mul_f64_e32 v[14:15], v[30:31], v[14:15]
	global_store_b64 v[28:29], v[14:15], off
	v_lshlrev_b64_e32 v[28:29], 3, v[0:1]
	global_load_b64 v[14:15], v[16:17], off
	v_add_nc_u32_e32 v0, s4, v0
	v_add_co_u32 v28, vcc_lo, s10, v28
	s_wait_alu 0xfffd
	v_add_co_ci_u32_e64 v29, null, s11, v29, vcc_lo
	global_load_b64 v[28:29], v[28:29], off
	s_wait_loadcnt 0x1
	v_mul_f64_e32 v[16:17], v[14:15], v[18:19]
	s_wait_loadcnt 0x0
	v_mul_f64_e32 v[12:13], v[12:13], v[28:29]
	s_delay_alu instid0(VALU_DEP_1) | instskip(NEXT) | instid1(VALU_DEP_1)
	v_div_scale_f64 v[28:29], null, v[12:13], v[12:13], 1.0
	v_rcp_f64_e32 v[30:31], v[28:29]
	s_delay_alu instid0(TRANS32_DEP_1) | instskip(NEXT) | instid1(VALU_DEP_1)
	v_fma_f64 v[32:33], -v[28:29], v[30:31], 1.0
	v_fma_f64 v[30:31], v[30:31], v[32:33], v[30:31]
	s_delay_alu instid0(VALU_DEP_1) | instskip(NEXT) | instid1(VALU_DEP_1)
	v_fma_f64 v[32:33], -v[28:29], v[30:31], 1.0
	v_fma_f64 v[30:31], v[30:31], v[32:33], v[30:31]
	v_div_scale_f64 v[32:33], vcc_lo, 1.0, v[12:13], 1.0
	s_delay_alu instid0(VALU_DEP_1) | instskip(NEXT) | instid1(VALU_DEP_1)
	v_mul_f64_e32 v[34:35], v[32:33], v[30:31]
	v_fma_f64 v[28:29], -v[28:29], v[34:35], v[32:33]
	s_wait_alu 0xfffd
	s_delay_alu instid0(VALU_DEP_1) | instskip(SKIP_2) | instid1(VALU_DEP_2)
	v_div_fmas_f64 v[28:29], v[28:29], v[30:31], v[34:35]
	v_lshlrev_b64_e32 v[30:31], 3, v[0:1]
	v_add_nc_u32_e32 v0, s2, v0
	v_add_co_u32 v32, vcc_lo, s6, v30
	s_wait_alu 0xfffd
	s_delay_alu instid0(VALU_DEP_3)
	v_add_co_ci_u32_e64 v33, null, s7, v31, vcc_lo
	v_add_co_u32 v30, vcc_lo, s8, v30
	s_wait_alu 0xfffd
	v_add_co_ci_u32_e64 v31, null, s9, v31, vcc_lo
	global_load_b64 v[32:33], v[32:33], off
	v_div_fixup_f64 v[12:13], v[28:29], v[12:13], 1.0
	s_delay_alu instid0(VALU_DEP_1) | instskip(NEXT) | instid1(VALU_DEP_1)
	v_mul_f64_e32 v[28:29], v[16:17], v[12:13]
	v_min_num_f64_e32 v[28:29], s[0:1], v[28:29]
	s_wait_loadcnt 0x0
	s_delay_alu instid0(VALU_DEP_1) | instskip(SKIP_4) | instid1(VALU_DEP_3)
	v_mul_f64_e32 v[28:29], v[32:33], v[28:29]
	global_store_b64 v[30:31], v[28:29], off
	v_mul_f64_e32 v[28:29], v[10:11], v[26:27]
	v_div_scale_f64 v[26:27], null, v[24:25], v[24:25], 1.0
	v_mul_f64_e32 v[10:11], v[10:11], v[18:19]
	v_div_scale_f64 v[30:31], null, v[28:29], v[28:29], 1.0
	s_delay_alu instid0(VALU_DEP_2) | instskip(NEXT) | instid1(VALU_DEP_2)
	v_mul_f64_e32 v[4:5], v[4:5], v[10:11]
	v_rcp_f64_e32 v[32:33], v[30:31]
	s_delay_alu instid0(TRANS32_DEP_1) | instskip(NEXT) | instid1(VALU_DEP_1)
	v_fma_f64 v[34:35], -v[30:31], v[32:33], 1.0
	v_fma_f64 v[32:33], v[32:33], v[34:35], v[32:33]
	s_delay_alu instid0(VALU_DEP_1) | instskip(NEXT) | instid1(VALU_DEP_1)
	v_fma_f64 v[34:35], -v[30:31], v[32:33], 1.0
	v_fma_f64 v[32:33], v[32:33], v[34:35], v[32:33]
	v_div_scale_f64 v[34:35], vcc_lo, 1.0, v[28:29], 1.0
	s_delay_alu instid0(VALU_DEP_1) | instskip(NEXT) | instid1(VALU_DEP_1)
	v_mul_f64_e32 v[36:37], v[34:35], v[32:33]
	v_fma_f64 v[30:31], -v[30:31], v[36:37], v[34:35]
	s_wait_alu 0xfffd
	s_delay_alu instid0(VALU_DEP_1) | instskip(NEXT) | instid1(VALU_DEP_1)
	v_div_fmas_f64 v[30:31], v[30:31], v[32:33], v[36:37]
	v_div_fixup_f64 v[28:29], v[30:31], v[28:29], 1.0
	s_delay_alu instid0(VALU_DEP_1) | instskip(SKIP_1) | instid1(VALU_DEP_1)
	v_mul_f64_e32 v[16:17], v[16:17], v[28:29]
	v_lshlrev_b64_e32 v[28:29], 3, v[0:1]
	v_add_co_u32 v30, vcc_lo, s6, v28
	s_wait_alu 0xfffd
	s_delay_alu instid0(VALU_DEP_2)
	v_add_co_ci_u32_e64 v31, null, s7, v29, vcc_lo
	v_add_co_u32 v28, vcc_lo, s8, v28
	s_wait_alu 0xfffd
	v_add_co_ci_u32_e64 v29, null, s9, v29, vcc_lo
	global_load_b64 v[30:31], v[30:31], off
	v_min_num_f64_e32 v[16:17], s[0:1], v[16:17]
	s_wait_loadcnt 0x0
	s_delay_alu instid0(VALU_DEP_1)
	v_mul_f64_e32 v[16:17], v[30:31], v[16:17]
	v_rcp_f64_e32 v[30:31], v[26:27]
	global_store_b64 v[28:29], v[16:17], off
	v_mad_co_u64_u32 v[16:17], null, 0xffffff99, s2, v[0:1]
	v_mov_b32_e32 v17, v1
	v_fma_f64 v[32:33], -v[26:27], v[30:31], 1.0
	s_delay_alu instid0(VALU_DEP_2) | instskip(SKIP_2) | instid1(VALU_DEP_3)
	v_lshlrev_b64_e32 v[28:29], 3, v[16:17]
	v_mad_co_u64_u32 v[16:17], null, 0x68, s2, v[16:17]
	v_mov_b32_e32 v17, v1
	v_add_co_u32 v28, vcc_lo, s10, v28
	s_wait_alu 0xfffd
	s_delay_alu instid0(VALU_DEP_4) | instskip(NEXT) | instid1(VALU_DEP_4)
	v_add_co_ci_u32_e64 v29, null, s11, v29, vcc_lo
	v_add_nc_u32_e32 v0, s3, v16
	global_load_b64 v[28:29], v[28:29], off
	v_lshlrev_b64_e32 v[10:11], 3, v[0:1]
	v_add_nc_u32_e32 v0, s4, v0
	v_fma_f64 v[30:31], v[30:31], v[32:33], v[30:31]
	s_delay_alu instid0(VALU_DEP_1) | instskip(NEXT) | instid1(VALU_DEP_1)
	v_fma_f64 v[32:33], -v[26:27], v[30:31], 1.0
	v_fma_f64 v[30:31], v[30:31], v[32:33], v[30:31]
	v_div_scale_f64 v[32:33], vcc_lo, 1.0, v[24:25], 1.0
	s_delay_alu instid0(VALU_DEP_1) | instskip(NEXT) | instid1(VALU_DEP_1)
	v_mul_f64_e32 v[34:35], v[32:33], v[30:31]
	v_fma_f64 v[26:27], -v[26:27], v[34:35], v[32:33]
	s_wait_alu 0xfffd
	s_delay_alu instid0(VALU_DEP_1) | instskip(NEXT) | instid1(VALU_DEP_1)
	v_div_fmas_f64 v[26:27], v[26:27], v[30:31], v[34:35]
	v_div_fixup_f64 v[24:25], v[26:27], v[24:25], 1.0
	v_lshlrev_b64_e32 v[26:27], 3, v[16:17]
	s_wait_loadcnt 0x0
	v_mul_f64_e32 v[28:29], v[28:29], v[18:19]
	s_delay_alu instid0(VALU_DEP_1) | instskip(NEXT) | instid1(VALU_DEP_3)
	v_mul_f64_e32 v[24:25], v[28:29], v[24:25]
	v_add_co_u32 v28, vcc_lo, s6, v26
	s_wait_alu 0xfffd
	v_add_co_ci_u32_e64 v29, null, s7, v27, vcc_lo
	v_add_co_u32 v26, vcc_lo, s8, v26
	s_wait_alu 0xfffd
	v_add_co_ci_u32_e64 v27, null, s9, v27, vcc_lo
	;; [unrolled: 3-line block ×3, first 2 shown]
	global_load_b64 v[28:29], v[28:29], off
	global_load_b64 v[10:11], v[10:11], off
	v_min_num_f64_e32 v[24:25], s[0:1], v[24:25]
	s_wait_loadcnt 0x1
	s_delay_alu instid0(VALU_DEP_1) | instskip(SKIP_4) | instid1(TRANS32_DEP_1)
	v_mul_f64_e32 v[24:25], v[28:29], v[24:25]
	s_wait_loadcnt 0x0
	v_div_scale_f64 v[16:17], null, v[10:11], v[10:11], 1.0
	global_store_b64 v[26:27], v[24:25], off
	v_rcp_f64_e32 v[24:25], v[16:17]
	v_fma_f64 v[26:27], -v[16:17], v[24:25], 1.0
	s_delay_alu instid0(VALU_DEP_1) | instskip(NEXT) | instid1(VALU_DEP_1)
	v_fma_f64 v[24:25], v[24:25], v[26:27], v[24:25]
	v_fma_f64 v[26:27], -v[16:17], v[24:25], 1.0
	s_delay_alu instid0(VALU_DEP_1) | instskip(SKIP_1) | instid1(VALU_DEP_1)
	v_fma_f64 v[24:25], v[24:25], v[26:27], v[24:25]
	v_div_scale_f64 v[26:27], vcc_lo, 1.0, v[10:11], 1.0
	v_mul_f64_e32 v[28:29], v[26:27], v[24:25]
	s_delay_alu instid0(VALU_DEP_1) | instskip(SKIP_1) | instid1(VALU_DEP_1)
	v_fma_f64 v[16:17], -v[16:17], v[28:29], v[26:27]
	s_wait_alu 0xfffd
	v_div_fmas_f64 v[16:17], v[16:17], v[24:25], v[28:29]
	s_delay_alu instid0(VALU_DEP_1) | instskip(NEXT) | instid1(VALU_DEP_1)
	v_div_fixup_f64 v[10:11], v[16:17], v[10:11], 1.0
	v_mul_f64_e32 v[4:5], v[4:5], v[10:11]
	v_lshlrev_b64_e32 v[10:11], 3, v[0:1]
	v_add_nc_u32_e32 v0, s2, v0
	s_delay_alu instid0(VALU_DEP_2) | instskip(SKIP_1) | instid1(VALU_DEP_3)
	v_add_co_u32 v16, vcc_lo, s6, v10
	s_wait_alu 0xfffd
	v_add_co_ci_u32_e64 v17, null, s7, v11, vcc_lo
	v_add_co_u32 v10, vcc_lo, s8, v10
	s_wait_alu 0xfffd
	v_add_co_ci_u32_e64 v11, null, s9, v11, vcc_lo
	global_load_b64 v[16:17], v[16:17], off
	v_min_num_f64_e32 v[4:5], s[0:1], v[4:5]
	s_wait_loadcnt 0x0
	s_delay_alu instid0(VALU_DEP_1)
	v_mul_f64_e32 v[4:5], v[16:17], v[4:5]
	global_store_b64 v[10:11], v[4:5], off
	global_load_b64 v[4:5], v[22:23], off
	s_wait_loadcnt 0x0
	v_div_scale_f64 v[10:11], null, v[4:5], v[4:5], 1.0
	v_mul_f64_e32 v[6:7], v[6:7], v[4:5]
	v_mul_f64_e32 v[2:3], v[2:3], v[4:5]
	s_delay_alu instid0(VALU_DEP_3) | instskip(NEXT) | instid1(VALU_DEP_2)
	v_rcp_f64_e32 v[16:17], v[10:11]
	v_mul_f64_e32 v[6:7], v[6:7], v[20:21]
	s_delay_alu instid0(TRANS32_DEP_1) | instskip(NEXT) | instid1(VALU_DEP_2)
	v_fma_f64 v[22:23], -v[10:11], v[16:17], 1.0
	v_min_num_f64_e32 v[6:7], s[0:1], v[6:7]
	s_delay_alu instid0(VALU_DEP_2) | instskip(NEXT) | instid1(VALU_DEP_1)
	v_fma_f64 v[16:17], v[16:17], v[22:23], v[16:17]
	v_fma_f64 v[22:23], -v[10:11], v[16:17], 1.0
	s_delay_alu instid0(VALU_DEP_1) | instskip(SKIP_1) | instid1(VALU_DEP_1)
	v_fma_f64 v[16:17], v[16:17], v[22:23], v[16:17]
	v_div_scale_f64 v[22:23], vcc_lo, 1.0, v[4:5], 1.0
	v_mul_f64_e32 v[24:25], v[22:23], v[16:17]
	s_delay_alu instid0(VALU_DEP_1) | instskip(SKIP_1) | instid1(VALU_DEP_1)
	v_fma_f64 v[10:11], -v[10:11], v[24:25], v[22:23]
	s_wait_alu 0xfffd
	v_div_fmas_f64 v[10:11], v[10:11], v[16:17], v[24:25]
	v_lshlrev_b64_e32 v[16:17], 3, v[0:1]
	v_add_nc_u32_e32 v0, s2, v0
	s_delay_alu instid0(VALU_DEP_3) | instskip(NEXT) | instid1(VALU_DEP_1)
	v_div_fixup_f64 v[10:11], v[10:11], v[4:5], 1.0
	v_mul_f64_e32 v[10:11], v[18:19], v[10:11]
	s_delay_alu instid0(VALU_DEP_4)
	v_add_co_u32 v18, vcc_lo, s6, v16
	s_wait_alu 0xfffd
	v_add_co_ci_u32_e64 v19, null, s7, v17, vcc_lo
	v_add_co_u32 v16, vcc_lo, s8, v16
	s_wait_alu 0xfffd
	v_add_co_ci_u32_e64 v17, null, s9, v17, vcc_lo
	global_load_b64 v[18:19], v[18:19], off
	v_min_num_f64_e32 v[10:11], s[0:1], v[10:11]
	s_wait_loadcnt 0x0
	s_delay_alu instid0(VALU_DEP_1) | instskip(SKIP_3) | instid1(VALU_DEP_2)
	v_mul_f64_e32 v[10:11], v[18:19], v[10:11]
	global_store_b64 v[16:17], v[10:11], off
	v_lshlrev_b64_e32 v[10:11], 3, v[0:1]
	v_add_nc_u32_e32 v0, s2, v0
	v_add_co_u32 v16, vcc_lo, s6, v10
	s_wait_alu 0xfffd
	s_delay_alu instid0(VALU_DEP_3)
	v_add_co_ci_u32_e64 v17, null, s7, v11, vcc_lo
	v_add_co_u32 v10, vcc_lo, s8, v10
	s_wait_alu 0xfffd
	v_add_co_ci_u32_e64 v11, null, s9, v11, vcc_lo
	global_load_b64 v[16:17], v[16:17], off
	s_wait_loadcnt 0x0
	v_mul_f64_e32 v[6:7], v[16:17], v[6:7]
	global_store_b64 v[10:11], v[6:7], off
	v_mul_f64_e32 v[6:7], v[14:15], v[4:5]
	v_lshlrev_b64_e32 v[10:11], 3, v[0:1]
	global_load_b64 v[4:5], v[8:9], off
	v_mul_f64_e32 v[6:7], v[6:7], v[12:13]
	v_add_co_u32 v12, vcc_lo, s6, v10
	s_wait_alu 0xfffd
	v_add_co_ci_u32_e64 v13, null, s7, v11, vcc_lo
	v_add_co_u32 v10, vcc_lo, s8, v10
	s_wait_alu 0xfffd
	v_add_co_ci_u32_e64 v11, null, s9, v11, vcc_lo
	global_load_b64 v[12:13], v[12:13], off
	v_min_num_f64_e32 v[6:7], s[0:1], v[6:7]
	s_wait_loadcnt 0x0
	s_delay_alu instid0(VALU_DEP_1) | instskip(SKIP_3) | instid1(VALU_DEP_1)
	v_mul_f64_e32 v[6:7], v[12:13], v[6:7]
	global_store_b64 v[10:11], v[6:7], off
	v_mad_co_u64_u32 v[6:7], null, 0xffffff93, s2, v[0:1]
	v_mov_b32_e32 v7, v1
	v_lshlrev_b64_e32 v[7:8], 3, v[6:7]
	s_delay_alu instid0(VALU_DEP_1) | instskip(SKIP_1) | instid1(VALU_DEP_2)
	v_add_co_u32 v7, vcc_lo, s10, v7
	s_wait_alu 0xfffd
	v_add_co_ci_u32_e64 v8, null, s11, v8, vcc_lo
	global_load_b64 v[7:8], v[7:8], off
	s_wait_loadcnt 0x0
	v_mul_f64_e32 v[4:5], v[4:5], v[7:8]
	s_delay_alu instid0(VALU_DEP_1) | instskip(NEXT) | instid1(VALU_DEP_1)
	v_div_scale_f64 v[7:8], null, v[4:5], v[4:5], 1.0
	v_rcp_f64_e32 v[9:10], v[7:8]
	s_delay_alu instid0(TRANS32_DEP_1) | instskip(NEXT) | instid1(VALU_DEP_1)
	v_fma_f64 v[11:12], -v[7:8], v[9:10], 1.0
	v_fma_f64 v[9:10], v[9:10], v[11:12], v[9:10]
	s_delay_alu instid0(VALU_DEP_1) | instskip(NEXT) | instid1(VALU_DEP_1)
	v_fma_f64 v[11:12], -v[7:8], v[9:10], 1.0
	v_fma_f64 v[9:10], v[9:10], v[11:12], v[9:10]
	v_div_scale_f64 v[11:12], vcc_lo, 1.0, v[4:5], 1.0
	s_delay_alu instid0(VALU_DEP_1) | instskip(NEXT) | instid1(VALU_DEP_1)
	v_mul_f64_e32 v[13:14], v[11:12], v[9:10]
	v_fma_f64 v[7:8], -v[7:8], v[13:14], v[11:12]
	s_wait_alu 0xfffd
	s_delay_alu instid0(VALU_DEP_1) | instskip(NEXT) | instid1(VALU_DEP_1)
	v_div_fmas_f64 v[7:8], v[7:8], v[9:10], v[13:14]
	v_div_fixup_f64 v[4:5], v[7:8], v[4:5], 1.0
	s_delay_alu instid0(VALU_DEP_1) | instskip(SKIP_2) | instid1(VALU_DEP_1)
	v_mul_f64_e32 v[2:3], v[2:3], v[4:5]
	v_mad_co_u64_u32 v[4:5], null, 0x6e, s2, v[6:7]
	v_mov_b32_e32 v5, v1
	v_lshlrev_b64_e32 v[0:1], 3, v[4:5]
	s_delay_alu instid0(VALU_DEP_1) | instskip(SKIP_1) | instid1(VALU_DEP_2)
	v_add_co_u32 v4, vcc_lo, s6, v0
	s_wait_alu 0xfffd
	v_add_co_ci_u32_e64 v5, null, s7, v1, vcc_lo
	v_add_co_u32 v0, vcc_lo, s8, v0
	s_wait_alu 0xfffd
	v_add_co_ci_u32_e64 v1, null, s9, v1, vcc_lo
	global_load_b64 v[4:5], v[4:5], off
	v_min_num_f64_e32 v[2:3], s[0:1], v[2:3]
	s_wait_loadcnt 0x0
	s_delay_alu instid0(VALU_DEP_1)
	v_mul_f64_e32 v[2:3], v[4:5], v[2:3]
	global_store_b64 v[0:1], v[2:3], off
	s_endpgm
	.section	.rodata,"a",@progbits
	.p2align	6, 0x0
	.amdhsa_kernel _Z12ratt6_kernelIdEvPKT_S2_PS0_S2_S0_
		.amdhsa_group_segment_fixed_size 0
		.amdhsa_private_segment_fixed_size 0
		.amdhsa_kernarg_size 296
		.amdhsa_user_sgpr_count 2
		.amdhsa_user_sgpr_dispatch_ptr 0
		.amdhsa_user_sgpr_queue_ptr 0
		.amdhsa_user_sgpr_kernarg_segment_ptr 1
		.amdhsa_user_sgpr_dispatch_id 0
		.amdhsa_user_sgpr_private_segment_size 0
		.amdhsa_wavefront_size32 1
		.amdhsa_uses_dynamic_stack 0
		.amdhsa_enable_private_segment 0
		.amdhsa_system_sgpr_workgroup_id_x 1
		.amdhsa_system_sgpr_workgroup_id_y 0
		.amdhsa_system_sgpr_workgroup_id_z 0
		.amdhsa_system_sgpr_workgroup_info 0
		.amdhsa_system_vgpr_workitem_id 0
		.amdhsa_next_free_vgpr 48
		.amdhsa_next_free_sgpr 15
		.amdhsa_reserve_vcc 1
		.amdhsa_float_round_mode_32 0
		.amdhsa_float_round_mode_16_64 0
		.amdhsa_float_denorm_mode_32 3
		.amdhsa_float_denorm_mode_16_64 3
		.amdhsa_fp16_overflow 0
		.amdhsa_workgroup_processor_mode 1
		.amdhsa_memory_ordered 1
		.amdhsa_forward_progress 1
		.amdhsa_inst_pref_size 53
		.amdhsa_round_robin_scheduling 0
		.amdhsa_exception_fp_ieee_invalid_op 0
		.amdhsa_exception_fp_denorm_src 0
		.amdhsa_exception_fp_ieee_div_zero 0
		.amdhsa_exception_fp_ieee_overflow 0
		.amdhsa_exception_fp_ieee_underflow 0
		.amdhsa_exception_fp_ieee_inexact 0
		.amdhsa_exception_int_div_zero 0
	.end_amdhsa_kernel
	.section	.text._Z12ratt6_kernelIdEvPKT_S2_PS0_S2_S0_,"axG",@progbits,_Z12ratt6_kernelIdEvPKT_S2_PS0_S2_S0_,comdat
.Lfunc_end34:
	.size	_Z12ratt6_kernelIdEvPKT_S2_PS0_S2_S0_, .Lfunc_end34-_Z12ratt6_kernelIdEvPKT_S2_PS0_S2_S0_
                                        ; -- End function
	.set _Z12ratt6_kernelIdEvPKT_S2_PS0_S2_S0_.num_vgpr, 48
	.set _Z12ratt6_kernelIdEvPKT_S2_PS0_S2_S0_.num_agpr, 0
	.set _Z12ratt6_kernelIdEvPKT_S2_PS0_S2_S0_.numbered_sgpr, 15
	.set _Z12ratt6_kernelIdEvPKT_S2_PS0_S2_S0_.num_named_barrier, 0
	.set _Z12ratt6_kernelIdEvPKT_S2_PS0_S2_S0_.private_seg_size, 0
	.set _Z12ratt6_kernelIdEvPKT_S2_PS0_S2_S0_.uses_vcc, 1
	.set _Z12ratt6_kernelIdEvPKT_S2_PS0_S2_S0_.uses_flat_scratch, 0
	.set _Z12ratt6_kernelIdEvPKT_S2_PS0_S2_S0_.has_dyn_sized_stack, 0
	.set _Z12ratt6_kernelIdEvPKT_S2_PS0_S2_S0_.has_recursion, 0
	.set _Z12ratt6_kernelIdEvPKT_S2_PS0_S2_S0_.has_indirect_call, 0
	.section	.AMDGPU.csdata,"",@progbits
; Kernel info:
; codeLenInByte = 6696
; TotalNumSgprs: 17
; NumVgprs: 48
; ScratchSize: 0
; MemoryBound: 0
; FloatMode: 240
; IeeeMode: 1
; LDSByteSize: 0 bytes/workgroup (compile time only)
; SGPRBlocks: 0
; VGPRBlocks: 5
; NumSGPRsForWavesPerEU: 17
; NumVGPRsForWavesPerEU: 48
; Occupancy: 16
; WaveLimiterHint : 0
; COMPUTE_PGM_RSRC2:SCRATCH_EN: 0
; COMPUTE_PGM_RSRC2:USER_SGPR: 2
; COMPUTE_PGM_RSRC2:TRAP_HANDLER: 0
; COMPUTE_PGM_RSRC2:TGID_X_EN: 1
; COMPUTE_PGM_RSRC2:TGID_Y_EN: 0
; COMPUTE_PGM_RSRC2:TGID_Z_EN: 0
; COMPUTE_PGM_RSRC2:TIDIG_COMP_CNT: 0
	.section	.text._Z12ratt7_kernelIdEvPKT_S2_PS0_S2_S0_,"axG",@progbits,_Z12ratt7_kernelIdEvPKT_S2_PS0_S2_S0_,comdat
	.protected	_Z12ratt7_kernelIdEvPKT_S2_PS0_S2_S0_ ; -- Begin function _Z12ratt7_kernelIdEvPKT_S2_PS0_S2_S0_
	.globl	_Z12ratt7_kernelIdEvPKT_S2_PS0_S2_S0_
	.p2align	8
	.type	_Z12ratt7_kernelIdEvPKT_S2_PS0_S2_S0_,@function
_Z12ratt7_kernelIdEvPKT_S2_PS0_S2_S0_:  ; @_Z12ratt7_kernelIdEvPKT_S2_PS0_S2_S0_
; %bb.0:
	s_clause 0x2
	s_load_b256 s[4:11], s[0:1], 0x0
	s_load_b96 s[12:14], s[0:1], 0x20
	s_load_b32 s0, s[0:1], 0x34
	s_wait_kmcnt 0x0
	s_and_b32 s2, s0, 0xffff
	s_brev_b32 s0, 12
	v_mad_co_u64_u32 v[0:1], null, ttmp9, s2, v[0:1]
	s_mul_i32 s2, s14, s2
	v_mov_b32_e32 v1, 0
	s_mov_b32 s1, 0x4193d2c6
	s_wait_alu 0xfffe
	s_lshl_b32 s3, s2, 1
	s_delay_alu instid0(VALU_DEP_1) | instskip(SKIP_1) | instid1(VALU_DEP_2)
	v_lshlrev_b64_e32 v[4:5], 3, v[0:1]
	v_add_nc_u32_e32 v0, s2, v0
	v_add_co_u32 v2, vcc_lo, s4, v4
	s_delay_alu instid0(VALU_DEP_1)
	v_add_co_ci_u32_e64 v3, null, s5, v5, vcc_lo
	s_mul_i32 s5, s2, 0x72
	s_mul_i32 s4, s2, 0x73
	global_load_b64 v[2:3], v[2:3], off
	s_wait_loadcnt 0x0
	v_mul_f64_e32 v[2:3], s[12:13], v[2:3]
	s_mul_i32 s12, s2, 0xffffff8f
	s_delay_alu instid0(VALU_DEP_1) | instskip(SKIP_2) | instid1(VALU_DEP_1)
	v_mul_f64_e32 v[2:3], s[0:1], v[2:3]
	s_mov_b32 s0, 0x4357691b
	s_mov_b32 s1, 0x479e17b8
	v_div_scale_f64 v[6:7], null, v[2:3], v[2:3], 1.0
	s_delay_alu instid0(VALU_DEP_1) | instskip(NEXT) | instid1(TRANS32_DEP_1)
	v_rcp_f64_e32 v[8:9], v[6:7]
	v_fma_f64 v[10:11], -v[6:7], v[8:9], 1.0
	s_delay_alu instid0(VALU_DEP_1) | instskip(NEXT) | instid1(VALU_DEP_1)
	v_fma_f64 v[8:9], v[8:9], v[10:11], v[8:9]
	v_fma_f64 v[10:11], -v[6:7], v[8:9], 1.0
	s_delay_alu instid0(VALU_DEP_1) | instskip(SKIP_1) | instid1(VALU_DEP_1)
	v_fma_f64 v[8:9], v[8:9], v[10:11], v[8:9]
	v_div_scale_f64 v[10:11], vcc_lo, 1.0, v[2:3], 1.0
	v_mul_f64_e32 v[12:13], v[10:11], v[8:9]
	s_delay_alu instid0(VALU_DEP_1) | instskip(SKIP_1) | instid1(VALU_DEP_1)
	v_fma_f64 v[6:7], -v[6:7], v[12:13], v[10:11]
	s_wait_alu 0xfffd
	v_div_fmas_f64 v[6:7], v[6:7], v[8:9], v[12:13]
	v_mad_co_u64_u32 v[8:9], null, s2, 24, v[0:1]
	v_mov_b32_e32 v9, v1
	s_delay_alu instid0(VALU_DEP_3) | instskip(NEXT) | instid1(VALU_DEP_1)
	v_div_fixup_f64 v[2:3], v[6:7], v[2:3], 1.0
	v_mul_f64_e32 v[6:7], 0x412eec04, v[2:3]
	v_lshlrev_b64_e32 v[2:3], 3, v[0:1]
	v_add_nc_u32_e32 v0, s2, v8
	s_delay_alu instid0(VALU_DEP_2) | instskip(SKIP_1) | instid1(VALU_DEP_3)
	v_add_co_u32 v12, vcc_lo, s10, v2
	s_wait_alu 0xfffd
	v_add_co_ci_u32_e64 v13, null, s11, v3, vcc_lo
	v_lshlrev_b64_e32 v[2:3], 3, v[8:9]
	v_lshlrev_b64_e32 v[8:9], 3, v[0:1]
	global_load_b64 v[20:21], v[12:13], off
	v_add_co_u32 v2, vcc_lo, s10, v2
	s_wait_alu 0xfffd
	v_add_co_ci_u32_e64 v3, null, s11, v3, vcc_lo
	v_add_co_u32 v8, vcc_lo, s10, v8
	s_wait_alu 0xfffd
	v_add_co_ci_u32_e64 v9, null, s11, v9, vcc_lo
	s_clause 0x1
	global_load_b64 v[26:27], v[2:3], off
	global_load_b64 v[14:15], v[8:9], off
	s_wait_loadcnt 0x1
	v_mul_f64_e32 v[10:11], v[20:21], v[26:27]
	s_wait_loadcnt 0x0
	v_div_scale_f64 v[18:19], null, v[14:15], v[14:15], 1.0
	s_delay_alu instid0(VALU_DEP_2) | instskip(NEXT) | instid1(VALU_DEP_2)
	v_mul_f64_e32 v[16:17], v[10:11], v[6:7]
	v_rcp_f64_e32 v[22:23], v[18:19]
	s_delay_alu instid0(TRANS32_DEP_1) | instskip(NEXT) | instid1(VALU_DEP_1)
	v_fma_f64 v[24:25], -v[18:19], v[22:23], 1.0
	v_fma_f64 v[22:23], v[22:23], v[24:25], v[22:23]
	s_delay_alu instid0(VALU_DEP_1) | instskip(NEXT) | instid1(VALU_DEP_1)
	v_fma_f64 v[24:25], -v[18:19], v[22:23], 1.0
	v_fma_f64 v[22:23], v[22:23], v[24:25], v[22:23]
	v_div_scale_f64 v[24:25], vcc_lo, 1.0, v[14:15], 1.0
	s_delay_alu instid0(VALU_DEP_1) | instskip(NEXT) | instid1(VALU_DEP_1)
	v_mul_f64_e32 v[28:29], v[24:25], v[22:23]
	v_fma_f64 v[18:19], -v[18:19], v[28:29], v[24:25]
	s_wait_alu 0xfffd
	s_delay_alu instid0(VALU_DEP_1) | instskip(NEXT) | instid1(VALU_DEP_1)
	v_div_fmas_f64 v[18:19], v[18:19], v[22:23], v[28:29]
	v_div_fixup_f64 v[18:19], v[18:19], v[14:15], 1.0
	s_delay_alu instid0(VALU_DEP_1) | instskip(SKIP_2) | instid1(VALU_DEP_1)
	v_mul_f64_e32 v[16:17], v[18:19], v[16:17]
	v_mad_co_u64_u32 v[18:19], null, 0x63, s2, v[0:1]
	v_mov_b32_e32 v19, v1
	v_lshlrev_b64_e32 v[22:23], 3, v[18:19]
	s_delay_alu instid0(VALU_DEP_1) | instskip(SKIP_1) | instid1(VALU_DEP_2)
	v_add_co_u32 v24, vcc_lo, s6, v22
	s_wait_alu 0xfffd
	v_add_co_ci_u32_e64 v25, null, s7, v23, vcc_lo
	v_add_co_u32 v22, vcc_lo, s8, v22
	s_wait_alu 0xfffd
	v_add_co_ci_u32_e64 v23, null, s9, v23, vcc_lo
	global_load_b64 v[24:25], v[24:25], off
	v_add_co_u32 v4, vcc_lo, s10, v4
	s_wait_alu 0xfffd
	v_add_co_ci_u32_e64 v5, null, s11, v5, vcc_lo
	s_wait_alu 0xfffe
	v_min_num_f64_e32 v[16:17], s[0:1], v[16:17]
	s_wait_loadcnt 0x0
	s_delay_alu instid0(VALU_DEP_1)
	v_mul_f64_e32 v[16:17], v[24:25], v[16:17]
	global_store_b64 v[22:23], v[16:17], off
	v_mad_co_u64_u32 v[16:17], null, 0xffffff9b, s2, v[18:19]
	v_mov_b32_e32 v17, v1
	global_load_b64 v[22:23], v[4:5], off
	v_lshlrev_b64_e32 v[17:18], 3, v[16:17]
	s_delay_alu instid0(VALU_DEP_1) | instskip(SKIP_1) | instid1(VALU_DEP_2)
	v_add_co_u32 v17, vcc_lo, s10, v17
	s_wait_alu 0xfffd
	v_add_co_ci_u32_e64 v18, null, s11, v18, vcc_lo
	global_load_b64 v[28:29], v[17:18], off
	s_wait_loadcnt 0x0
	v_mul_f64_e32 v[17:18], v[22:23], v[28:29]
	s_delay_alu instid0(VALU_DEP_1) | instskip(NEXT) | instid1(VALU_DEP_1)
	v_div_scale_f64 v[24:25], null, v[17:18], v[17:18], 1.0
	v_rcp_f64_e32 v[30:31], v[24:25]
	s_delay_alu instid0(TRANS32_DEP_1) | instskip(NEXT) | instid1(VALU_DEP_1)
	v_fma_f64 v[32:33], -v[24:25], v[30:31], 1.0
	v_fma_f64 v[30:31], v[30:31], v[32:33], v[30:31]
	s_delay_alu instid0(VALU_DEP_1) | instskip(NEXT) | instid1(VALU_DEP_1)
	v_fma_f64 v[32:33], -v[24:25], v[30:31], 1.0
	v_fma_f64 v[30:31], v[30:31], v[32:33], v[30:31]
	v_div_scale_f64 v[32:33], vcc_lo, 1.0, v[17:18], 1.0
	s_delay_alu instid0(VALU_DEP_1) | instskip(NEXT) | instid1(VALU_DEP_1)
	v_mul_f64_e32 v[34:35], v[32:33], v[30:31]
	v_fma_f64 v[24:25], -v[24:25], v[34:35], v[32:33]
	s_wait_alu 0xfffd
	s_delay_alu instid0(VALU_DEP_1) | instskip(NEXT) | instid1(VALU_DEP_1)
	v_div_fmas_f64 v[24:25], v[24:25], v[30:31], v[34:35]
	v_div_fixup_f64 v[17:18], v[24:25], v[17:18], 1.0
	s_delay_alu instid0(VALU_DEP_1) | instskip(NEXT) | instid1(VALU_DEP_1)
	v_mul_f64_e32 v[17:18], v[10:11], v[17:18]
	v_mad_co_u64_u32 v[24:25], null, 0x66, s2, v[16:17]
	v_mov_b32_e32 v25, v1
	s_delay_alu instid0(VALU_DEP_3) | instskip(NEXT) | instid1(VALU_DEP_2)
	v_min_num_f64_e32 v[16:17], s[0:1], v[17:18]
	v_lshlrev_b64_e32 v[30:31], 3, v[24:25]
	s_delay_alu instid0(VALU_DEP_1) | instskip(SKIP_1) | instid1(VALU_DEP_2)
	v_add_co_u32 v32, vcc_lo, s6, v30
	s_wait_alu 0xfffd
	v_add_co_ci_u32_e64 v33, null, s7, v31, vcc_lo
	v_add_co_u32 v18, vcc_lo, s8, v30
	s_wait_alu 0xfffd
	v_add_co_ci_u32_e64 v19, null, s9, v31, vcc_lo
	global_load_b64 v[32:33], v[32:33], off
	s_wait_loadcnt 0x0
	v_mul_f64_e32 v[16:17], v[32:33], v[16:17]
	global_store_b64 v[18:19], v[16:17], off
	v_mad_co_u64_u32 v[16:17], null, 0xffffff8d, s2, v[24:25]
	s_delay_alu instid0(VALU_DEP_1) | instskip(NEXT) | instid1(VALU_DEP_1)
	v_dual_mov_b32 v17, v1 :: v_dual_add_nc_u32 v0, s3, v16
	v_lshlrev_b64_e32 v[18:19], 3, v[16:17]
	s_delay_alu instid0(VALU_DEP_2) | instskip(SKIP_1) | instid1(VALU_DEP_3)
	v_lshlrev_b64_e32 v[16:17], 3, v[0:1]
	v_add_nc_u32_e32 v0, s5, v0
	v_add_co_u32 v18, vcc_lo, s10, v18
	s_wait_alu 0xfffd
	s_delay_alu instid0(VALU_DEP_4) | instskip(NEXT) | instid1(VALU_DEP_4)
	v_add_co_ci_u32_e64 v19, null, s11, v19, vcc_lo
	v_add_co_u32 v16, vcc_lo, s10, v16
	s_wait_alu 0xfffd
	v_add_co_ci_u32_e64 v17, null, s11, v17, vcc_lo
	s_clause 0x2
	global_load_b64 v[24:25], v[18:19], off
	global_load_b64 v[30:31], v[16:17], off
	;; [unrolled: 1-line block ×3, first 2 shown]
	s_wait_loadcnt 0x1
	v_mul_f64_e32 v[24:25], v[24:25], v[30:31]
	s_delay_alu instid0(VALU_DEP_1) | instskip(NEXT) | instid1(VALU_DEP_1)
	v_div_scale_f64 v[30:31], null, v[24:25], v[24:25], 1.0
	v_rcp_f64_e32 v[32:33], v[30:31]
	s_delay_alu instid0(TRANS32_DEP_1) | instskip(NEXT) | instid1(VALU_DEP_1)
	v_fma_f64 v[34:35], -v[30:31], v[32:33], 1.0
	v_fma_f64 v[32:33], v[32:33], v[34:35], v[32:33]
	s_delay_alu instid0(VALU_DEP_1) | instskip(NEXT) | instid1(VALU_DEP_1)
	v_fma_f64 v[34:35], -v[30:31], v[32:33], 1.0
	v_fma_f64 v[32:33], v[32:33], v[34:35], v[32:33]
	v_div_scale_f64 v[34:35], vcc_lo, 1.0, v[24:25], 1.0
	s_delay_alu instid0(VALU_DEP_1) | instskip(NEXT) | instid1(VALU_DEP_1)
	v_mul_f64_e32 v[36:37], v[34:35], v[32:33]
	v_fma_f64 v[30:31], -v[30:31], v[36:37], v[34:35]
	s_wait_alu 0xfffd
	s_delay_alu instid0(VALU_DEP_1) | instskip(SKIP_1) | instid1(VALU_DEP_1)
	v_div_fmas_f64 v[30:31], v[30:31], v[32:33], v[36:37]
	v_lshlrev_b64_e32 v[32:33], 3, v[0:1]
	v_add_co_u32 v34, vcc_lo, s6, v32
	s_wait_alu 0xfffd
	s_delay_alu instid0(VALU_DEP_2)
	v_add_co_ci_u32_e64 v35, null, s7, v33, vcc_lo
	v_add_co_u32 v32, vcc_lo, s8, v32
	s_wait_alu 0xfffd
	v_add_co_ci_u32_e64 v33, null, s9, v33, vcc_lo
	global_load_b64 v[34:35], v[34:35], off
	v_div_fixup_f64 v[30:31], v[30:31], v[24:25], 1.0
	s_delay_alu instid0(VALU_DEP_1) | instskip(NEXT) | instid1(VALU_DEP_1)
	v_mul_f64_e32 v[24:25], v[10:11], v[30:31]
	v_min_num_f64_e32 v[24:25], s[0:1], v[24:25]
	s_wait_loadcnt 0x0
	s_delay_alu instid0(VALU_DEP_1) | instskip(SKIP_2) | instid1(VALU_DEP_1)
	v_mul_f64_e32 v[24:25], v[34:35], v[24:25]
	global_store_b64 v[32:33], v[24:25], off
	v_mad_co_u64_u32 v[24:25], null, 0xffffff83, s2, v[0:1]
	v_dual_mov_b32 v25, v1 :: v_dual_add_nc_u32 v0, s3, v24
	s_delay_alu instid0(VALU_DEP_1) | instskip(SKIP_1) | instid1(VALU_DEP_2)
	v_lshlrev_b64_e32 v[32:33], 3, v[24:25]
	s_mul_i32 s3, s2, 0xffffff89
	v_lshlrev_b64_e32 v[24:25], 3, v[0:1]
	s_delay_alu instid0(VALU_DEP_2) | instskip(SKIP_1) | instid1(VALU_DEP_3)
	v_add_co_u32 v32, vcc_lo, s10, v32
	s_wait_alu 0xfffd
	v_add_co_ci_u32_e64 v33, null, s11, v33, vcc_lo
	s_delay_alu instid0(VALU_DEP_3)
	v_add_co_u32 v24, vcc_lo, s10, v24
	s_wait_alu 0xfffd
	v_add_co_ci_u32_e64 v25, null, s11, v25, vcc_lo
	s_clause 0x1
	global_load_b64 v[32:33], v[32:33], off
	global_load_b64 v[24:25], v[24:25], off
	s_wait_loadcnt 0x1
	v_mul_f64_e32 v[34:35], v[26:27], v[32:33]
	s_wait_loadcnt 0x0
	v_mul_f64_e32 v[36:37], v[28:29], v[24:25]
	v_mul_f64_e32 v[26:27], v[26:27], v[24:25]
	s_delay_alu instid0(VALU_DEP_2) | instskip(NEXT) | instid1(VALU_DEP_1)
	v_div_scale_f64 v[38:39], null, v[36:37], v[36:37], 1.0
	v_rcp_f64_e32 v[40:41], v[38:39]
	s_delay_alu instid0(TRANS32_DEP_1) | instskip(NEXT) | instid1(VALU_DEP_1)
	v_fma_f64 v[42:43], -v[38:39], v[40:41], 1.0
	v_fma_f64 v[40:41], v[40:41], v[42:43], v[40:41]
	s_delay_alu instid0(VALU_DEP_1) | instskip(NEXT) | instid1(VALU_DEP_1)
	v_fma_f64 v[42:43], -v[38:39], v[40:41], 1.0
	v_fma_f64 v[40:41], v[40:41], v[42:43], v[40:41]
	v_div_scale_f64 v[42:43], vcc_lo, 1.0, v[36:37], 1.0
	s_delay_alu instid0(VALU_DEP_1) | instskip(NEXT) | instid1(VALU_DEP_1)
	v_mul_f64_e32 v[44:45], v[42:43], v[40:41]
	v_fma_f64 v[38:39], -v[38:39], v[44:45], v[42:43]
	s_wait_alu 0xfffd
	s_delay_alu instid0(VALU_DEP_1) | instskip(NEXT) | instid1(VALU_DEP_1)
	v_div_fmas_f64 v[38:39], v[38:39], v[40:41], v[44:45]
	v_div_fixup_f64 v[36:37], v[38:39], v[36:37], 1.0
	v_mad_co_u64_u32 v[38:39], null, 0x7c, s2, v[0:1]
	v_mov_b32_e32 v39, v1
	s_delay_alu instid0(VALU_DEP_1) | instskip(SKIP_2) | instid1(VALU_DEP_2)
	v_lshlrev_b64_e32 v[39:40], 3, v[38:39]
	s_wait_alu 0xfffe
	v_add_nc_u32_e32 v0, s3, v38
	v_add_co_u32 v41, vcc_lo, s6, v39
	s_wait_alu 0xfffd
	s_delay_alu instid0(VALU_DEP_3)
	v_add_co_ci_u32_e64 v42, null, s7, v40, vcc_lo
	v_add_co_u32 v39, vcc_lo, s8, v39
	s_wait_alu 0xfffd
	v_add_co_ci_u32_e64 v40, null, s9, v40, vcc_lo
	global_load_b64 v[41:42], v[41:42], off
	v_mul_f64_e32 v[36:37], v[34:35], v[36:37]
	s_delay_alu instid0(VALU_DEP_1) | instskip(SKIP_1) | instid1(VALU_DEP_1)
	v_min_num_f64_e32 v[36:37], s[0:1], v[36:37]
	s_wait_loadcnt 0x0
	v_mul_f64_e32 v[36:37], v[41:42], v[36:37]
	global_store_b64 v[39:40], v[36:37], off
	v_mad_co_u64_u32 v[38:39], null, s2, 5, v[0:1]
	v_mov_b32_e32 v39, v1
	v_lshlrev_b64_e32 v[36:37], 3, v[0:1]
	s_delay_alu instid0(VALU_DEP_2) | instskip(NEXT) | instid1(VALU_DEP_2)
	v_lshlrev_b64_e32 v[39:40], 3, v[38:39]
	v_add_co_u32 v36, vcc_lo, s10, v36
	s_wait_alu 0xfffd
	s_delay_alu instid0(VALU_DEP_3) | instskip(SKIP_1) | instid1(VALU_DEP_4)
	v_add_co_ci_u32_e64 v37, null, s11, v37, vcc_lo
	v_add_nc_u32_e32 v0, s4, v38
	v_add_co_u32 v39, vcc_lo, s10, v39
	s_wait_alu 0xfffd
	v_add_co_ci_u32_e64 v40, null, s11, v40, vcc_lo
	s_clause 0x1
	global_load_b64 v[36:37], v[36:37], off
	global_load_b64 v[39:40], v[39:40], off
	s_wait_loadcnt 0x0
	v_mul_f64_e32 v[36:37], v[36:37], v[39:40]
	s_delay_alu instid0(VALU_DEP_1) | instskip(NEXT) | instid1(VALU_DEP_1)
	v_div_scale_f64 v[39:40], null, v[36:37], v[36:37], 1.0
	v_rcp_f64_e32 v[41:42], v[39:40]
	s_delay_alu instid0(TRANS32_DEP_1) | instskip(NEXT) | instid1(VALU_DEP_1)
	v_fma_f64 v[43:44], -v[39:40], v[41:42], 1.0
	v_fma_f64 v[41:42], v[41:42], v[43:44], v[41:42]
	s_delay_alu instid0(VALU_DEP_1) | instskip(NEXT) | instid1(VALU_DEP_1)
	v_fma_f64 v[43:44], -v[39:40], v[41:42], 1.0
	v_fma_f64 v[41:42], v[41:42], v[43:44], v[41:42]
	v_div_scale_f64 v[43:44], vcc_lo, 1.0, v[36:37], 1.0
	s_delay_alu instid0(VALU_DEP_1) | instskip(NEXT) | instid1(VALU_DEP_1)
	v_mul_f64_e32 v[45:46], v[43:44], v[41:42]
	v_fma_f64 v[39:40], -v[39:40], v[45:46], v[43:44]
	s_wait_alu 0xfffd
	s_delay_alu instid0(VALU_DEP_1) | instskip(NEXT) | instid1(VALU_DEP_1)
	v_div_fmas_f64 v[39:40], v[39:40], v[41:42], v[45:46]
	v_div_fixup_f64 v[36:37], v[39:40], v[36:37], 1.0
	s_delay_alu instid0(VALU_DEP_1) | instskip(SKIP_1) | instid1(VALU_DEP_1)
	v_mul_f64_e32 v[34:35], v[34:35], v[36:37]
	v_lshlrev_b64_e32 v[36:37], 3, v[0:1]
	v_add_co_u32 v38, vcc_lo, s6, v36
	s_wait_alu 0xfffd
	s_delay_alu instid0(VALU_DEP_2)
	v_add_co_ci_u32_e64 v39, null, s7, v37, vcc_lo
	v_add_co_u32 v36, vcc_lo, s8, v36
	s_wait_alu 0xfffd
	v_add_co_ci_u32_e64 v37, null, s9, v37, vcc_lo
	global_load_b64 v[38:39], v[38:39], off
	v_min_num_f64_e32 v[34:35], s[0:1], v[34:35]
	s_wait_loadcnt 0x0
	s_delay_alu instid0(VALU_DEP_1) | instskip(SKIP_3) | instid1(VALU_DEP_1)
	v_mul_f64_e32 v[34:35], v[38:39], v[34:35]
	global_store_b64 v[36:37], v[34:35], off
	v_mad_co_u64_u32 v[34:35], null, 0xffffff84, s2, v[0:1]
	v_mov_b32_e32 v35, v1
	v_lshlrev_b64_e32 v[36:37], 3, v[34:35]
	s_delay_alu instid0(VALU_DEP_1) | instskip(SKIP_1) | instid1(VALU_DEP_2)
	v_add_co_u32 v36, vcc_lo, s10, v36
	s_wait_alu 0xfffd
	v_add_co_ci_u32_e64 v37, null, s11, v37, vcc_lo
	global_load_b64 v[36:37], v[36:37], off
	s_wait_loadcnt 0x0
	v_mul_f64_e32 v[28:29], v[28:29], v[36:37]
	s_delay_alu instid0(VALU_DEP_1) | instskip(NEXT) | instid1(VALU_DEP_1)
	v_div_scale_f64 v[38:39], null, v[28:29], v[28:29], 1.0
	v_rcp_f64_e32 v[40:41], v[38:39]
	s_delay_alu instid0(TRANS32_DEP_1) | instskip(NEXT) | instid1(VALU_DEP_1)
	v_fma_f64 v[42:43], -v[38:39], v[40:41], 1.0
	v_fma_f64 v[40:41], v[40:41], v[42:43], v[40:41]
	s_delay_alu instid0(VALU_DEP_1) | instskip(NEXT) | instid1(VALU_DEP_1)
	v_fma_f64 v[42:43], -v[38:39], v[40:41], 1.0
	v_fma_f64 v[40:41], v[40:41], v[42:43], v[40:41]
	v_div_scale_f64 v[42:43], vcc_lo, 1.0, v[28:29], 1.0
	s_delay_alu instid0(VALU_DEP_1) | instskip(NEXT) | instid1(VALU_DEP_1)
	v_mul_f64_e32 v[44:45], v[42:43], v[40:41]
	v_fma_f64 v[38:39], -v[38:39], v[44:45], v[42:43]
	s_wait_alu 0xfffd
	s_delay_alu instid0(VALU_DEP_1) | instskip(NEXT) | instid1(VALU_DEP_1)
	v_div_fmas_f64 v[38:39], v[38:39], v[40:41], v[44:45]
	v_div_fixup_f64 v[28:29], v[38:39], v[28:29], 1.0
	s_delay_alu instid0(VALU_DEP_1) | instskip(SKIP_2) | instid1(VALU_DEP_1)
	v_mul_f64_e32 v[26:27], v[26:27], v[28:29]
	v_mad_co_u64_u32 v[28:29], null, 0x7d, s2, v[34:35]
	v_mov_b32_e32 v29, v1
	v_lshlrev_b64_e32 v[34:35], 3, v[28:29]
	s_delay_alu instid0(VALU_DEP_1) | instskip(SKIP_1) | instid1(VALU_DEP_2)
	v_add_co_u32 v38, vcc_lo, s6, v34
	s_wait_alu 0xfffd
	v_add_co_ci_u32_e64 v39, null, s7, v35, vcc_lo
	v_add_co_u32 v34, vcc_lo, s8, v34
	s_wait_alu 0xfffd
	v_add_co_ci_u32_e64 v35, null, s9, v35, vcc_lo
	global_load_b64 v[38:39], v[38:39], off
	v_min_num_f64_e32 v[26:27], s[0:1], v[26:27]
	s_wait_loadcnt 0x0
	s_delay_alu instid0(VALU_DEP_1) | instskip(SKIP_2) | instid1(VALU_DEP_1)
	v_mul_f64_e32 v[26:27], v[38:39], v[26:27]
	global_store_b64 v[34:35], v[26:27], off
	v_mad_co_u64_u32 v[26:27], null, 0xffffff92, s2, v[28:29]
	v_dual_mov_b32 v27, v1 :: v_dual_add_nc_u32 v0, s2, v26
	s_delay_alu instid0(VALU_DEP_1) | instskip(NEXT) | instid1(VALU_DEP_2)
	v_lshlrev_b64_e32 v[27:28], 3, v[26:27]
	v_lshlrev_b64_e32 v[40:41], 3, v[0:1]
	s_delay_alu instid0(VALU_DEP_2) | instskip(SKIP_1) | instid1(VALU_DEP_3)
	v_add_co_u32 v27, vcc_lo, s10, v27
	s_wait_alu 0xfffd
	v_add_co_ci_u32_e64 v28, null, s11, v28, vcc_lo
	s_delay_alu instid0(VALU_DEP_3)
	v_add_co_u32 v40, vcc_lo, s10, v40
	s_wait_alu 0xfffd
	v_add_co_ci_u32_e64 v41, null, s11, v41, vcc_lo
	s_clause 0x1
	global_load_b64 v[34:35], v[27:28], off
	global_load_b64 v[42:43], v[40:41], off
	s_wait_loadcnt 0x1
	v_mul_f64_e32 v[20:21], v[20:21], v[34:35]
	s_wait_loadcnt 0x0
	v_div_scale_f64 v[44:45], null, v[42:43], v[42:43], 1.0
	s_delay_alu instid0(VALU_DEP_2) | instskip(NEXT) | instid1(VALU_DEP_2)
	v_mul_f64_e32 v[38:39], v[6:7], v[20:21]
	v_rcp_f64_e32 v[46:47], v[44:45]
	s_delay_alu instid0(TRANS32_DEP_1) | instskip(NEXT) | instid1(VALU_DEP_1)
	v_fma_f64 v[48:49], -v[44:45], v[46:47], 1.0
	v_fma_f64 v[46:47], v[46:47], v[48:49], v[46:47]
	s_delay_alu instid0(VALU_DEP_1) | instskip(NEXT) | instid1(VALU_DEP_1)
	v_fma_f64 v[48:49], -v[44:45], v[46:47], 1.0
	v_fma_f64 v[46:47], v[46:47], v[48:49], v[46:47]
	v_div_scale_f64 v[48:49], vcc_lo, 1.0, v[42:43], 1.0
	s_delay_alu instid0(VALU_DEP_1) | instskip(NEXT) | instid1(VALU_DEP_1)
	v_mul_f64_e32 v[50:51], v[48:49], v[46:47]
	v_fma_f64 v[44:45], -v[44:45], v[50:51], v[48:49]
	s_wait_alu 0xfffd
	s_delay_alu instid0(VALU_DEP_1) | instskip(NEXT) | instid1(VALU_DEP_1)
	v_div_fmas_f64 v[44:45], v[44:45], v[46:47], v[50:51]
	v_div_fixup_f64 v[42:43], v[44:45], v[42:43], 1.0
	s_delay_alu instid0(VALU_DEP_1) | instskip(SKIP_2) | instid1(VALU_DEP_1)
	v_mul_f64_e32 v[38:39], v[38:39], v[42:43]
	v_mad_co_u64_u32 v[42:43], null, 0x6e, s2, v[0:1]
	v_mov_b32_e32 v43, v1
	v_lshlrev_b64_e32 v[43:44], 3, v[42:43]
	v_add_nc_u32_e32 v0, s12, v42
	s_delay_alu instid0(VALU_DEP_2) | instskip(SKIP_1) | instid1(VALU_DEP_3)
	v_add_co_u32 v45, vcc_lo, s6, v43
	s_wait_alu 0xfffd
	v_add_co_ci_u32_e64 v46, null, s7, v44, vcc_lo
	v_add_co_u32 v43, vcc_lo, s8, v43
	s_wait_alu 0xfffd
	v_add_co_ci_u32_e64 v44, null, s9, v44, vcc_lo
	global_load_b64 v[45:46], v[45:46], off
	v_min_num_f64_e32 v[38:39], s[0:1], v[38:39]
	s_wait_loadcnt 0x0
	s_delay_alu instid0(VALU_DEP_1) | instskip(SKIP_3) | instid1(VALU_DEP_2)
	v_mul_f64_e32 v[38:39], v[45:46], v[38:39]
	global_store_b64 v[43:44], v[38:39], off
	v_lshlrev_b64_e32 v[38:39], 3, v[0:1]
	v_add_nc_u32_e32 v0, s5, v0
	v_add_co_u32 v38, vcc_lo, s10, v38
	s_wait_alu 0xfffd
	s_delay_alu instid0(VALU_DEP_3) | instskip(SKIP_3) | instid1(VALU_DEP_1)
	v_add_co_ci_u32_e64 v39, null, s11, v39, vcc_lo
	global_load_b64 v[42:43], v[38:39], off
	s_wait_loadcnt 0x0
	v_mul_f64_e32 v[44:45], v[22:23], v[42:43]
	v_div_scale_f64 v[46:47], null, v[44:45], v[44:45], 1.0
	s_delay_alu instid0(VALU_DEP_1) | instskip(NEXT) | instid1(TRANS32_DEP_1)
	v_rcp_f64_e32 v[48:49], v[46:47]
	v_fma_f64 v[50:51], -v[46:47], v[48:49], 1.0
	s_delay_alu instid0(VALU_DEP_1) | instskip(NEXT) | instid1(VALU_DEP_1)
	v_fma_f64 v[48:49], v[48:49], v[50:51], v[48:49]
	v_fma_f64 v[50:51], -v[46:47], v[48:49], 1.0
	s_delay_alu instid0(VALU_DEP_1) | instskip(SKIP_1) | instid1(VALU_DEP_1)
	v_fma_f64 v[48:49], v[48:49], v[50:51], v[48:49]
	v_div_scale_f64 v[50:51], vcc_lo, 1.0, v[44:45], 1.0
	v_mul_f64_e32 v[52:53], v[50:51], v[48:49]
	s_delay_alu instid0(VALU_DEP_1) | instskip(SKIP_1) | instid1(VALU_DEP_1)
	v_fma_f64 v[46:47], -v[46:47], v[52:53], v[50:51]
	s_wait_alu 0xfffd
	v_div_fmas_f64 v[46:47], v[46:47], v[48:49], v[52:53]
	s_delay_alu instid0(VALU_DEP_1) | instskip(SKIP_3) | instid1(VALU_DEP_2)
	v_div_fixup_f64 v[44:45], v[46:47], v[44:45], 1.0
	v_lshlrev_b64_e32 v[46:47], 3, v[0:1]
	v_add_nc_u32_e32 v0, s12, v0
	s_mul_i32 s12, s2, 0x83
	v_add_co_u32 v48, vcc_lo, s6, v46
	s_wait_alu 0xfffd
	s_delay_alu instid0(VALU_DEP_3)
	v_add_co_ci_u32_e64 v49, null, s7, v47, vcc_lo
	v_add_co_u32 v46, vcc_lo, s8, v46
	s_wait_alu 0xfffd
	v_add_co_ci_u32_e64 v47, null, s9, v47, vcc_lo
	global_load_b64 v[48:49], v[48:49], off
	v_mul_f64_e32 v[44:45], v[20:21], v[44:45]
	s_delay_alu instid0(VALU_DEP_1) | instskip(SKIP_1) | instid1(VALU_DEP_1)
	v_min_num_f64_e32 v[44:45], s[0:1], v[44:45]
	s_wait_loadcnt 0x0
	v_mul_f64_e32 v[44:45], v[48:49], v[44:45]
	global_store_b64 v[46:47], v[44:45], off
	v_lshlrev_b64_e32 v[44:45], 3, v[0:1]
	v_add_nc_u32_e32 v0, s5, v0
	s_mul_i32 s5, s2, 0xffffff7b
	s_delay_alu instid0(VALU_DEP_2) | instskip(SKIP_1) | instid1(VALU_DEP_3)
	v_add_co_u32 v44, vcc_lo, s10, v44
	s_wait_alu 0xfffd
	v_add_co_ci_u32_e64 v45, null, s11, v45, vcc_lo
	global_load_b64 v[44:45], v[44:45], off
	s_wait_loadcnt 0x0
	v_mul_f64_e32 v[22:23], v[22:23], v[44:45]
	s_delay_alu instid0(VALU_DEP_1) | instskip(NEXT) | instid1(VALU_DEP_1)
	v_div_scale_f64 v[44:45], null, v[22:23], v[22:23], 1.0
	v_rcp_f64_e32 v[46:47], v[44:45]
	s_delay_alu instid0(TRANS32_DEP_1) | instskip(NEXT) | instid1(VALU_DEP_1)
	v_fma_f64 v[48:49], -v[44:45], v[46:47], 1.0
	v_fma_f64 v[46:47], v[46:47], v[48:49], v[46:47]
	s_delay_alu instid0(VALU_DEP_1) | instskip(NEXT) | instid1(VALU_DEP_1)
	v_fma_f64 v[48:49], -v[44:45], v[46:47], 1.0
	v_fma_f64 v[46:47], v[46:47], v[48:49], v[46:47]
	v_div_scale_f64 v[48:49], vcc_lo, 1.0, v[22:23], 1.0
	s_delay_alu instid0(VALU_DEP_1) | instskip(NEXT) | instid1(VALU_DEP_1)
	v_mul_f64_e32 v[50:51], v[48:49], v[46:47]
	v_fma_f64 v[44:45], -v[44:45], v[50:51], v[48:49]
	s_wait_alu 0xfffd
	s_delay_alu instid0(VALU_DEP_1) | instskip(NEXT) | instid1(VALU_DEP_1)
	v_div_fmas_f64 v[44:45], v[44:45], v[46:47], v[50:51]
	v_div_fixup_f64 v[22:23], v[44:45], v[22:23], 1.0
	s_delay_alu instid0(VALU_DEP_1) | instskip(SKIP_2) | instid1(VALU_DEP_2)
	v_mul_f64_e32 v[20:21], v[20:21], v[22:23]
	v_lshlrev_b64_e32 v[22:23], 3, v[0:1]
	v_add_nc_u32_e32 v0, s2, v0
	v_add_co_u32 v44, vcc_lo, s6, v22
	s_wait_alu 0xfffd
	s_delay_alu instid0(VALU_DEP_3)
	v_add_co_ci_u32_e64 v45, null, s7, v23, vcc_lo
	v_add_co_u32 v22, vcc_lo, s8, v22
	s_wait_alu 0xfffd
	v_add_co_ci_u32_e64 v23, null, s9, v23, vcc_lo
	global_load_b64 v[44:45], v[44:45], off
	v_min_num_f64_e32 v[20:21], s[0:1], v[20:21]
	s_wait_loadcnt 0x0
	s_delay_alu instid0(VALU_DEP_1) | instskip(SKIP_3) | instid1(VALU_DEP_2)
	v_mul_f64_e32 v[20:21], v[44:45], v[20:21]
	global_store_b64 v[22:23], v[20:21], off
	v_div_scale_f64 v[22:23], null, v[10:11], v[10:11], 1.0
	v_mul_f64_e32 v[20:21], v[32:33], v[34:35]
	v_rcp_f64_e32 v[44:45], v[22:23]
	s_delay_alu instid0(TRANS32_DEP_1) | instskip(NEXT) | instid1(VALU_DEP_1)
	v_fma_f64 v[46:47], -v[22:23], v[44:45], 1.0
	v_fma_f64 v[44:45], v[44:45], v[46:47], v[44:45]
	s_delay_alu instid0(VALU_DEP_1) | instskip(NEXT) | instid1(VALU_DEP_1)
	v_fma_f64 v[46:47], -v[22:23], v[44:45], 1.0
	v_fma_f64 v[44:45], v[44:45], v[46:47], v[44:45]
	v_div_scale_f64 v[46:47], vcc_lo, 1.0, v[10:11], 1.0
	s_delay_alu instid0(VALU_DEP_1) | instskip(NEXT) | instid1(VALU_DEP_1)
	v_mul_f64_e32 v[48:49], v[46:47], v[44:45]
	v_fma_f64 v[22:23], -v[22:23], v[48:49], v[46:47]
	s_wait_alu 0xfffd
	s_delay_alu instid0(VALU_DEP_1) | instskip(NEXT) | instid1(VALU_DEP_1)
	v_div_fmas_f64 v[22:23], v[22:23], v[44:45], v[48:49]
	v_div_fixup_f64 v[10:11], v[22:23], v[10:11], 1.0
	v_lshlrev_b64_e32 v[22:23], 3, v[0:1]
	v_add_nc_u32_e32 v0, s2, v0
	s_delay_alu instid0(VALU_DEP_2) | instskip(SKIP_1) | instid1(VALU_DEP_3)
	v_add_co_u32 v44, vcc_lo, s6, v22
	s_wait_alu 0xfffd
	v_add_co_ci_u32_e64 v45, null, s7, v23, vcc_lo
	v_add_co_u32 v22, vcc_lo, s8, v22
	s_wait_alu 0xfffd
	v_add_co_ci_u32_e64 v23, null, s9, v23, vcc_lo
	global_load_b64 v[44:45], v[44:45], off
	v_mul_f64_e32 v[10:11], v[10:11], v[20:21]
	s_delay_alu instid0(VALU_DEP_1) | instskip(SKIP_1) | instid1(VALU_DEP_1)
	v_min_num_f64_e32 v[10:11], s[0:1], v[10:11]
	s_wait_loadcnt 0x0
	v_mul_f64_e32 v[10:11], v[10:11], v[44:45]
	global_store_b64 v[22:23], v[10:11], off
	v_mul_f64_e32 v[10:11], v[30:31], v[20:21]
	v_lshlrev_b64_e32 v[20:21], 3, v[0:1]
	v_add_nc_u32_e32 v0, s2, v0
	s_delay_alu instid0(VALU_DEP_2) | instskip(SKIP_1) | instid1(VALU_DEP_3)
	v_add_co_u32 v22, vcc_lo, s6, v20
	s_wait_alu 0xfffd
	v_add_co_ci_u32_e64 v23, null, s7, v21, vcc_lo
	v_add_co_u32 v20, vcc_lo, s8, v20
	s_wait_alu 0xfffd
	v_add_co_ci_u32_e64 v21, null, s9, v21, vcc_lo
	global_load_b64 v[22:23], v[22:23], off
	v_min_num_f64_e32 v[10:11], s[0:1], v[10:11]
	s_wait_loadcnt 0x0
	s_delay_alu instid0(VALU_DEP_1) | instskip(SKIP_3) | instid1(VALU_DEP_2)
	v_mul_f64_e32 v[10:11], v[10:11], v[22:23]
	global_store_b64 v[20:21], v[10:11], off
	v_mul_f64_e32 v[20:21], v[36:37], v[42:43]
	v_mul_f64_e32 v[10:11], v[24:25], v[34:35]
	v_div_scale_f64 v[22:23], null, v[20:21], v[20:21], 1.0
	s_delay_alu instid0(VALU_DEP_1) | instskip(NEXT) | instid1(TRANS32_DEP_1)
	v_rcp_f64_e32 v[29:30], v[22:23]
	v_fma_f64 v[36:37], -v[22:23], v[29:30], 1.0
	s_delay_alu instid0(VALU_DEP_1) | instskip(NEXT) | instid1(VALU_DEP_1)
	v_fma_f64 v[29:30], v[29:30], v[36:37], v[29:30]
	v_fma_f64 v[36:37], -v[22:23], v[29:30], 1.0
	s_delay_alu instid0(VALU_DEP_1) | instskip(SKIP_1) | instid1(VALU_DEP_1)
	v_fma_f64 v[29:30], v[29:30], v[36:37], v[29:30]
	v_div_scale_f64 v[36:37], vcc_lo, 1.0, v[20:21], 1.0
	v_mul_f64_e32 v[44:45], v[36:37], v[29:30]
	s_delay_alu instid0(VALU_DEP_1) | instskip(SKIP_1) | instid1(VALU_DEP_1)
	v_fma_f64 v[22:23], -v[22:23], v[44:45], v[36:37]
	s_wait_alu 0xfffd
	v_div_fmas_f64 v[22:23], v[22:23], v[29:30], v[44:45]
	s_delay_alu instid0(VALU_DEP_1) | instskip(NEXT) | instid1(VALU_DEP_1)
	v_div_fixup_f64 v[20:21], v[22:23], v[20:21], 1.0
	v_mul_f64_e32 v[10:11], v[10:11], v[20:21]
	v_lshlrev_b64_e32 v[20:21], 3, v[0:1]
	s_wait_alu 0xfffe
	v_add_nc_u32_e32 v0, s5, v0
	s_delay_alu instid0(VALU_DEP_2) | instskip(SKIP_1) | instid1(VALU_DEP_3)
	v_add_co_u32 v22, vcc_lo, s6, v20
	s_wait_alu 0xfffd
	v_add_co_ci_u32_e64 v23, null, s7, v21, vcc_lo
	v_add_co_u32 v20, vcc_lo, s8, v20
	s_wait_alu 0xfffd
	v_add_co_ci_u32_e64 v21, null, s9, v21, vcc_lo
	global_load_b64 v[22:23], v[22:23], off
	v_min_num_f64_e32 v[10:11], s[0:1], v[10:11]
	s_wait_loadcnt 0x0
	s_delay_alu instid0(VALU_DEP_1) | instskip(SKIP_2) | instid1(VALU_DEP_1)
	v_mul_f64_e32 v[10:11], v[10:11], v[22:23]
	global_store_b64 v[20:21], v[10:11], off
	v_lshlrev_b64_e32 v[10:11], 3, v[0:1]
	v_add_co_u32 v10, vcc_lo, s10, v10
	s_wait_alu 0xfffd
	s_delay_alu instid0(VALU_DEP_2)
	v_add_co_ci_u32_e64 v11, null, s11, v11, vcc_lo
	global_load_b64 v[10:11], v[10:11], off
	s_wait_loadcnt 0x0
	v_mul_f64_e32 v[20:21], v[34:35], v[10:11]
	v_mad_co_u64_u32 v[10:11], null, s2, 3, v[0:1]
	v_mov_b32_e32 v11, v1
	s_delay_alu instid0(VALU_DEP_1) | instskip(SKIP_1) | instid1(VALU_DEP_2)
	v_lshlrev_b64_e32 v[22:23], 3, v[10:11]
	v_add_nc_u32_e32 v0, s12, v10
	v_add_co_u32 v22, vcc_lo, s10, v22
	s_wait_alu 0xfffd
	s_delay_alu instid0(VALU_DEP_3) | instskip(NEXT) | instid1(VALU_DEP_3)
	v_add_co_ci_u32_e64 v23, null, s11, v23, vcc_lo
	v_lshlrev_b64_e32 v[10:11], 3, v[0:1]
	v_add_nc_u32_e32 v0, s2, v0
	global_load_b64 v[22:23], v[22:23], off
	s_wait_loadcnt 0x0
	v_mul_f64_e32 v[29:30], v[42:43], v[22:23]
	s_delay_alu instid0(VALU_DEP_1) | instskip(NEXT) | instid1(VALU_DEP_1)
	v_div_scale_f64 v[36:37], null, v[29:30], v[29:30], 1.0
	v_rcp_f64_e32 v[42:43], v[36:37]
	s_delay_alu instid0(TRANS32_DEP_1) | instskip(NEXT) | instid1(VALU_DEP_1)
	v_fma_f64 v[44:45], -v[36:37], v[42:43], 1.0
	v_fma_f64 v[42:43], v[42:43], v[44:45], v[42:43]
	s_delay_alu instid0(VALU_DEP_1) | instskip(NEXT) | instid1(VALU_DEP_1)
	v_fma_f64 v[44:45], -v[36:37], v[42:43], 1.0
	v_fma_f64 v[42:43], v[42:43], v[44:45], v[42:43]
	v_div_scale_f64 v[44:45], vcc_lo, 1.0, v[29:30], 1.0
	s_delay_alu instid0(VALU_DEP_1) | instskip(NEXT) | instid1(VALU_DEP_1)
	v_mul_f64_e32 v[46:47], v[44:45], v[42:43]
	v_fma_f64 v[36:37], -v[36:37], v[46:47], v[44:45]
	s_wait_alu 0xfffd
	s_delay_alu instid0(VALU_DEP_1) | instskip(NEXT) | instid1(VALU_DEP_1)
	v_div_fmas_f64 v[36:37], v[36:37], v[42:43], v[46:47]
	v_div_fixup_f64 v[29:30], v[36:37], v[29:30], 1.0
	v_add_co_u32 v36, vcc_lo, s6, v10
	s_wait_alu 0xfffd
	v_add_co_ci_u32_e64 v37, null, s7, v11, vcc_lo
	v_add_co_u32 v10, vcc_lo, s8, v10
	s_wait_alu 0xfffd
	v_add_co_ci_u32_e64 v11, null, s9, v11, vcc_lo
	global_load_b64 v[36:37], v[36:37], off
	v_mul_f64_e32 v[29:30], v[20:21], v[29:30]
	s_delay_alu instid0(VALU_DEP_1) | instskip(SKIP_1) | instid1(VALU_DEP_1)
	v_min_num_f64_e32 v[29:30], s[0:1], v[29:30]
	s_wait_loadcnt 0x0
	v_mul_f64_e32 v[29:30], v[36:37], v[29:30]
	global_store_b64 v[10:11], v[29:30], off
	v_mul_f64_e32 v[10:11], v[14:15], v[32:33]
	v_mul_f64_e32 v[14:15], v[14:15], v[24:25]
	s_delay_alu instid0(VALU_DEP_2) | instskip(NEXT) | instid1(VALU_DEP_2)
	v_div_scale_f64 v[29:30], null, v[10:11], v[10:11], 1.0
	v_div_scale_f64 v[24:25], null, v[14:15], v[14:15], 1.0
	s_delay_alu instid0(VALU_DEP_2) | instskip(NEXT) | instid1(TRANS32_DEP_1)
	v_rcp_f64_e32 v[31:32], v[29:30]
	v_fma_f64 v[36:37], -v[29:30], v[31:32], 1.0
	s_delay_alu instid0(VALU_DEP_1) | instskip(NEXT) | instid1(VALU_DEP_1)
	v_fma_f64 v[31:32], v[31:32], v[36:37], v[31:32]
	v_fma_f64 v[36:37], -v[29:30], v[31:32], 1.0
	s_delay_alu instid0(VALU_DEP_1) | instskip(SKIP_1) | instid1(VALU_DEP_1)
	v_fma_f64 v[31:32], v[31:32], v[36:37], v[31:32]
	v_div_scale_f64 v[36:37], vcc_lo, 1.0, v[10:11], 1.0
	v_mul_f64_e32 v[42:43], v[36:37], v[31:32]
	s_delay_alu instid0(VALU_DEP_1) | instskip(SKIP_1) | instid1(VALU_DEP_1)
	v_fma_f64 v[29:30], -v[29:30], v[42:43], v[36:37]
	s_wait_alu 0xfffd
	v_div_fmas_f64 v[29:30], v[29:30], v[31:32], v[42:43]
	s_delay_alu instid0(VALU_DEP_1) | instskip(SKIP_1) | instid1(VALU_DEP_1)
	v_div_fixup_f64 v[10:11], v[29:30], v[10:11], 1.0
	v_lshlrev_b64_e32 v[29:30], 3, v[0:1]
	v_add_co_u32 v31, vcc_lo, s6, v29
	s_wait_alu 0xfffd
	s_delay_alu instid0(VALU_DEP_2)
	v_add_co_ci_u32_e64 v32, null, s7, v30, vcc_lo
	v_add_co_u32 v29, vcc_lo, s8, v29
	s_wait_alu 0xfffd
	v_add_co_ci_u32_e64 v30, null, s9, v30, vcc_lo
	global_load_b64 v[31:32], v[31:32], off
	v_mul_f64_e32 v[10:11], v[10:11], v[20:21]
	s_delay_alu instid0(VALU_DEP_1) | instskip(SKIP_1) | instid1(VALU_DEP_1)
	v_min_num_f64_e32 v[10:11], s[0:1], v[10:11]
	s_wait_loadcnt 0x0
	v_mul_f64_e32 v[10:11], v[10:11], v[31:32]
	global_store_b64 v[29:30], v[10:11], off
	v_mad_co_u64_u32 v[29:30], null, 0xffffff85, s2, v[0:1]
	v_mov_b32_e32 v30, v1
	s_delay_alu instid0(VALU_DEP_2) | instskip(NEXT) | instid1(VALU_DEP_2)
	v_add_nc_u32_e32 v0, s2, v29
	v_lshlrev_b64_e32 v[10:11], 3, v[29:30]
	s_delay_alu instid0(VALU_DEP_2) | instskip(NEXT) | instid1(VALU_DEP_2)
	v_lshlrev_b64_e32 v[32:33], 3, v[0:1]
	v_add_co_u32 v10, vcc_lo, s10, v10
	s_wait_alu 0xfffd
	s_delay_alu instid0(VALU_DEP_3) | instskip(NEXT) | instid1(VALU_DEP_3)
	v_add_co_ci_u32_e64 v11, null, s11, v11, vcc_lo
	v_add_co_u32 v32, vcc_lo, s10, v32
	s_wait_alu 0xfffd
	v_add_co_ci_u32_e64 v33, null, s11, v33, vcc_lo
	s_clause 0x1
	global_load_b64 v[30:31], v[10:11], off
	global_load_b64 v[32:33], v[32:33], off
	s_wait_loadcnt 0x0
	v_mul_f64_e32 v[32:33], v[30:31], v[32:33]
	s_delay_alu instid0(VALU_DEP_1) | instskip(NEXT) | instid1(VALU_DEP_1)
	v_div_scale_f64 v[36:37], null, v[32:33], v[32:33], 1.0
	v_rcp_f64_e32 v[42:43], v[36:37]
	s_delay_alu instid0(TRANS32_DEP_1) | instskip(NEXT) | instid1(VALU_DEP_1)
	v_fma_f64 v[44:45], -v[36:37], v[42:43], 1.0
	v_fma_f64 v[42:43], v[42:43], v[44:45], v[42:43]
	s_delay_alu instid0(VALU_DEP_1) | instskip(NEXT) | instid1(VALU_DEP_1)
	v_fma_f64 v[44:45], -v[36:37], v[42:43], 1.0
	v_fma_f64 v[42:43], v[42:43], v[44:45], v[42:43]
	v_div_scale_f64 v[44:45], vcc_lo, 1.0, v[32:33], 1.0
	s_delay_alu instid0(VALU_DEP_1) | instskip(NEXT) | instid1(VALU_DEP_1)
	v_mul_f64_e32 v[46:47], v[44:45], v[42:43]
	v_fma_f64 v[36:37], -v[36:37], v[46:47], v[44:45]
	s_wait_alu 0xfffd
	s_delay_alu instid0(VALU_DEP_1) | instskip(NEXT) | instid1(VALU_DEP_1)
	v_div_fmas_f64 v[36:37], v[36:37], v[42:43], v[46:47]
	v_div_fixup_f64 v[32:33], v[36:37], v[32:33], 1.0
	s_delay_alu instid0(VALU_DEP_1) | instskip(SKIP_2) | instid1(VALU_DEP_1)
	v_mul_f64_e32 v[20:21], v[20:21], v[32:33]
	v_mad_co_u64_u32 v[32:33], null, 0x7b, s2, v[0:1]
	v_mov_b32_e32 v33, v1
	v_lshlrev_b64_e32 v[36:37], 3, v[32:33]
	v_add_nc_u32_e32 v0, s2, v32
	s_delay_alu instid0(VALU_DEP_2) | instskip(SKIP_1) | instid1(VALU_DEP_3)
	v_add_co_u32 v42, vcc_lo, s6, v36
	s_wait_alu 0xfffd
	v_add_co_ci_u32_e64 v43, null, s7, v37, vcc_lo
	v_add_co_u32 v36, vcc_lo, s8, v36
	s_wait_alu 0xfffd
	v_add_co_ci_u32_e64 v37, null, s9, v37, vcc_lo
	global_load_b64 v[42:43], v[42:43], off
	v_min_num_f64_e32 v[20:21], s[0:1], v[20:21]
	s_wait_loadcnt 0x0
	s_delay_alu instid0(VALU_DEP_1) | instskip(SKIP_3) | instid1(TRANS32_DEP_1)
	v_mul_f64_e32 v[20:21], v[42:43], v[20:21]
	global_store_b64 v[36:37], v[20:21], off
	v_rcp_f64_e32 v[36:37], v[24:25]
	v_mul_f64_e32 v[20:21], v[34:35], v[22:23]
	v_fma_f64 v[42:43], -v[24:25], v[36:37], 1.0
	s_delay_alu instid0(VALU_DEP_1) | instskip(NEXT) | instid1(VALU_DEP_1)
	v_fma_f64 v[36:37], v[36:37], v[42:43], v[36:37]
	v_fma_f64 v[42:43], -v[24:25], v[36:37], 1.0
	s_delay_alu instid0(VALU_DEP_1) | instskip(SKIP_1) | instid1(VALU_DEP_1)
	v_fma_f64 v[36:37], v[36:37], v[42:43], v[36:37]
	v_div_scale_f64 v[42:43], vcc_lo, 1.0, v[14:15], 1.0
	v_mul_f64_e32 v[44:45], v[42:43], v[36:37]
	s_delay_alu instid0(VALU_DEP_1) | instskip(SKIP_1) | instid1(VALU_DEP_1)
	v_fma_f64 v[24:25], -v[24:25], v[44:45], v[42:43]
	s_wait_alu 0xfffd
	v_div_fmas_f64 v[24:25], v[24:25], v[36:37], v[44:45]
	s_delay_alu instid0(VALU_DEP_1) | instskip(NEXT) | instid1(VALU_DEP_1)
	v_div_fixup_f64 v[14:15], v[24:25], v[14:15], 1.0
	v_mul_f64_e32 v[14:15], v[14:15], v[20:21]
	v_lshlrev_b64_e32 v[20:21], 3, v[0:1]
	v_add_nc_u32_e32 v0, s5, v0
	s_delay_alu instid0(VALU_DEP_2) | instskip(SKIP_1) | instid1(VALU_DEP_3)
	v_add_co_u32 v24, vcc_lo, s6, v20
	s_wait_alu 0xfffd
	v_add_co_ci_u32_e64 v25, null, s7, v21, vcc_lo
	v_add_co_u32 v20, vcc_lo, s8, v20
	s_wait_alu 0xfffd
	v_add_co_ci_u32_e64 v21, null, s9, v21, vcc_lo
	global_load_b64 v[24:25], v[24:25], off
	v_min_num_f64_e32 v[14:15], s[0:1], v[14:15]
	s_wait_loadcnt 0x0
	s_delay_alu instid0(VALU_DEP_1)
	v_mul_f64_e32 v[14:15], v[14:15], v[24:25]
	global_store_b64 v[20:21], v[14:15], off
	v_lshlrev_b64_e32 v[14:15], 3, v[0:1]
	global_load_b64 v[20:21], v[40:41], off
	v_add_co_u32 v14, vcc_lo, s10, v14
	s_wait_alu 0xfffd
	v_add_co_ci_u32_e64 v15, null, s11, v15, vcc_lo
	global_load_b64 v[14:15], v[14:15], off
	s_wait_loadcnt 0x1
	v_mul_f64_e32 v[22:23], v[22:23], v[20:21]
	v_mul_f64_e32 v[20:21], v[16:17], v[20:21]
	s_wait_loadcnt 0x0
	v_mul_f64_e32 v[14:15], v[34:35], v[14:15]
	s_delay_alu instid0(VALU_DEP_3) | instskip(NEXT) | instid1(VALU_DEP_1)
	v_div_scale_f64 v[24:25], null, v[22:23], v[22:23], 1.0
	v_rcp_f64_e32 v[32:33], v[24:25]
	s_delay_alu instid0(TRANS32_DEP_1) | instskip(NEXT) | instid1(VALU_DEP_1)
	v_fma_f64 v[34:35], -v[24:25], v[32:33], 1.0
	v_fma_f64 v[32:33], v[32:33], v[34:35], v[32:33]
	s_delay_alu instid0(VALU_DEP_1) | instskip(NEXT) | instid1(VALU_DEP_1)
	v_fma_f64 v[34:35], -v[24:25], v[32:33], 1.0
	v_fma_f64 v[32:33], v[32:33], v[34:35], v[32:33]
	v_div_scale_f64 v[34:35], vcc_lo, 1.0, v[22:23], 1.0
	s_delay_alu instid0(VALU_DEP_1) | instskip(NEXT) | instid1(VALU_DEP_1)
	v_mul_f64_e32 v[36:37], v[34:35], v[32:33]
	v_fma_f64 v[24:25], -v[24:25], v[36:37], v[34:35]
	s_wait_alu 0xfffd
	s_delay_alu instid0(VALU_DEP_1) | instskip(NEXT) | instid1(VALU_DEP_1)
	v_div_fmas_f64 v[24:25], v[24:25], v[32:33], v[36:37]
	v_div_fixup_f64 v[22:23], v[24:25], v[22:23], 1.0
	s_delay_alu instid0(VALU_DEP_1) | instskip(SKIP_2) | instid1(VALU_DEP_1)
	v_mul_f64_e32 v[14:15], v[14:15], v[22:23]
	v_mad_co_u64_u32 v[22:23], null, 0x86, s2, v[0:1]
	v_mov_b32_e32 v23, v1
	v_lshlrev_b64_e32 v[23:24], 3, v[22:23]
	v_add_nc_u32_e32 v0, s2, v22
	s_delay_alu instid0(VALU_DEP_2) | instskip(SKIP_1) | instid1(VALU_DEP_3)
	v_add_co_u32 v25, vcc_lo, s6, v23
	s_wait_alu 0xfffd
	v_add_co_ci_u32_e64 v26, null, s7, v24, vcc_lo
	v_add_co_u32 v23, vcc_lo, s8, v23
	s_wait_alu 0xfffd
	v_add_co_ci_u32_e64 v24, null, s9, v24, vcc_lo
	global_load_b64 v[25:26], v[25:26], off
	v_min_num_f64_e32 v[14:15], s[0:1], v[14:15]
	s_wait_loadcnt 0x0
	s_delay_alu instid0(VALU_DEP_1)
	v_mul_f64_e32 v[14:15], v[25:26], v[14:15]
	v_div_scale_f64 v[25:26], null, v[20:21], v[20:21], 1.0
	global_store_b64 v[23:24], v[14:15], off
	global_load_b64 v[23:24], v[27:28], off
	v_rcp_f64_e32 v[27:28], v[25:26]
	s_wait_loadcnt 0x0
	v_mul_f64_e32 v[14:15], v[30:31], v[23:24]
	s_delay_alu instid0(TRANS32_DEP_1) | instskip(NEXT) | instid1(VALU_DEP_1)
	v_fma_f64 v[29:30], -v[25:26], v[27:28], 1.0
	v_fma_f64 v[27:28], v[27:28], v[29:30], v[27:28]
	s_delay_alu instid0(VALU_DEP_1) | instskip(NEXT) | instid1(VALU_DEP_1)
	v_fma_f64 v[29:30], -v[25:26], v[27:28], 1.0
	v_fma_f64 v[27:28], v[27:28], v[29:30], v[27:28]
	v_div_scale_f64 v[29:30], vcc_lo, 1.0, v[20:21], 1.0
	s_delay_alu instid0(VALU_DEP_1) | instskip(NEXT) | instid1(VALU_DEP_1)
	v_mul_f64_e32 v[31:32], v[29:30], v[27:28]
	v_fma_f64 v[25:26], -v[25:26], v[31:32], v[29:30]
	s_wait_alu 0xfffd
	s_delay_alu instid0(VALU_DEP_1) | instskip(NEXT) | instid1(VALU_DEP_1)
	v_div_fmas_f64 v[25:26], v[25:26], v[27:28], v[31:32]
	v_div_fixup_f64 v[20:21], v[25:26], v[20:21], 1.0
	s_delay_alu instid0(VALU_DEP_1) | instskip(SKIP_1) | instid1(VALU_DEP_1)
	v_mul_f64_e32 v[14:15], v[14:15], v[20:21]
	v_lshlrev_b64_e32 v[20:21], 3, v[0:1]
	v_add_co_u32 v25, vcc_lo, s6, v20
	s_wait_alu 0xfffd
	s_delay_alu instid0(VALU_DEP_2)
	v_add_co_ci_u32_e64 v26, null, s7, v21, vcc_lo
	v_add_co_u32 v20, vcc_lo, s8, v20
	s_wait_alu 0xfffd
	v_add_co_ci_u32_e64 v21, null, s9, v21, vcc_lo
	global_load_b64 v[25:26], v[25:26], off
	v_min_num_f64_e32 v[14:15], s[0:1], v[14:15]
	s_wait_loadcnt 0x0
	s_delay_alu instid0(VALU_DEP_1) | instskip(SKIP_4) | instid1(VALU_DEP_1)
	v_mul_f64_e32 v[14:15], v[25:26], v[14:15]
	global_store_b64 v[20:21], v[14:15], off
	global_load_b64 v[14:15], v[18:19], off
	v_mad_co_u64_u32 v[20:21], null, 0xffffff7e, s2, v[0:1]
	v_mov_b32_e32 v21, v1
	v_lshlrev_b64_e32 v[21:22], 3, v[20:21]
	v_add_nc_u32_e32 v0, s12, v20
	s_delay_alu instid0(VALU_DEP_2) | instskip(SKIP_1) | instid1(VALU_DEP_3)
	v_add_co_u32 v21, vcc_lo, s10, v21
	s_wait_alu 0xfffd
	v_add_co_ci_u32_e64 v22, null, s11, v22, vcc_lo
	s_wait_loadcnt 0x0
	v_mul_f64_e32 v[18:19], v[14:15], v[23:24]
	s_clause 0x2
	global_load_b64 v[21:22], v[21:22], off
	global_load_b64 v[23:24], v[38:39], off
	;; [unrolled: 1-line block ×3, first 2 shown]
	v_mul_f64_e32 v[16:17], v[14:15], v[16:17]
	s_delay_alu instid0(VALU_DEP_1) | instskip(SKIP_2) | instid1(VALU_DEP_1)
	v_mul_f64_e32 v[16:17], v[6:7], v[16:17]
	s_wait_loadcnt 0x1
	v_mul_f64_e32 v[21:22], v[21:22], v[23:24]
	v_div_scale_f64 v[23:24], null, v[21:22], v[21:22], 1.0
	s_delay_alu instid0(VALU_DEP_1) | instskip(NEXT) | instid1(TRANS32_DEP_1)
	v_rcp_f64_e32 v[25:26], v[23:24]
	v_fma_f64 v[27:28], -v[23:24], v[25:26], 1.0
	s_delay_alu instid0(VALU_DEP_1) | instskip(NEXT) | instid1(VALU_DEP_1)
	v_fma_f64 v[25:26], v[25:26], v[27:28], v[25:26]
	v_fma_f64 v[27:28], -v[23:24], v[25:26], 1.0
	s_delay_alu instid0(VALU_DEP_1) | instskip(SKIP_1) | instid1(VALU_DEP_1)
	v_fma_f64 v[25:26], v[25:26], v[27:28], v[25:26]
	v_div_scale_f64 v[27:28], vcc_lo, 1.0, v[21:22], 1.0
	v_mul_f64_e32 v[29:30], v[27:28], v[25:26]
	s_delay_alu instid0(VALU_DEP_1) | instskip(SKIP_1) | instid1(VALU_DEP_1)
	v_fma_f64 v[23:24], -v[23:24], v[29:30], v[27:28]
	s_wait_alu 0xfffd
	v_div_fmas_f64 v[23:24], v[23:24], v[25:26], v[29:30]
	s_delay_alu instid0(VALU_DEP_1) | instskip(SKIP_1) | instid1(VALU_DEP_1)
	v_div_fixup_f64 v[21:22], v[23:24], v[21:22], 1.0
	v_lshlrev_b64_e32 v[23:24], 3, v[0:1]
	v_add_co_u32 v25, vcc_lo, s6, v23
	s_wait_alu 0xfffd
	s_delay_alu instid0(VALU_DEP_2) | instskip(SKIP_2) | instid1(VALU_DEP_1)
	v_add_co_ci_u32_e64 v26, null, s7, v24, vcc_lo
	global_load_b64 v[25:26], v[25:26], off
	v_mul_f64_e32 v[21:22], v[18:19], v[21:22]
	v_min_num_f64_e32 v[20:21], s[0:1], v[21:22]
	v_add_co_u32 v22, vcc_lo, s8, v23
	s_wait_alu 0xfffd
	v_add_co_ci_u32_e64 v23, null, s9, v24, vcc_lo
	s_wait_loadcnt 0x0
	s_delay_alu instid0(VALU_DEP_3) | instskip(SKIP_4) | instid1(VALU_DEP_2)
	v_mul_f64_e32 v[20:21], v[25:26], v[20:21]
	global_store_b64 v[22:23], v[20:21], off
	v_mad_co_u64_u32 v[22:23], null, 0xffffff8e, s2, v[0:1]
	v_mov_b32_e32 v23, v1
	v_mul_f64_e32 v[20:21], v[6:7], v[18:19]
	v_lshlrev_b64_e32 v[23:24], 3, v[22:23]
	v_add_nc_u32_e32 v0, s4, v22
	s_delay_alu instid0(VALU_DEP_2) | instskip(SKIP_1) | instid1(VALU_DEP_3)
	v_add_co_u32 v23, vcc_lo, s10, v23
	s_wait_alu 0xfffd
	v_add_co_ci_u32_e64 v24, null, s11, v24, vcc_lo
	global_load_b64 v[23:24], v[23:24], off
	s_wait_loadcnt 0x0
	v_div_scale_f64 v[25:26], null, v[23:24], v[23:24], 1.0
	s_delay_alu instid0(VALU_DEP_1) | instskip(NEXT) | instid1(TRANS32_DEP_1)
	v_rcp_f64_e32 v[27:28], v[25:26]
	v_fma_f64 v[29:30], -v[25:26], v[27:28], 1.0
	s_delay_alu instid0(VALU_DEP_1) | instskip(NEXT) | instid1(VALU_DEP_1)
	v_fma_f64 v[27:28], v[27:28], v[29:30], v[27:28]
	v_fma_f64 v[29:30], -v[25:26], v[27:28], 1.0
	s_delay_alu instid0(VALU_DEP_1) | instskip(SKIP_1) | instid1(VALU_DEP_1)
	v_fma_f64 v[27:28], v[27:28], v[29:30], v[27:28]
	v_div_scale_f64 v[29:30], vcc_lo, 1.0, v[23:24], 1.0
	v_mul_f64_e32 v[31:32], v[29:30], v[27:28]
	s_delay_alu instid0(VALU_DEP_1) | instskip(SKIP_1) | instid1(VALU_DEP_1)
	v_fma_f64 v[25:26], -v[25:26], v[31:32], v[29:30]
	s_wait_alu 0xfffd
	v_div_fmas_f64 v[25:26], v[25:26], v[27:28], v[31:32]
	s_delay_alu instid0(VALU_DEP_1) | instskip(NEXT) | instid1(VALU_DEP_1)
	v_div_fixup_f64 v[23:24], v[25:26], v[23:24], 1.0
	v_mul_f64_e32 v[20:21], v[20:21], v[23:24]
	v_lshlrev_b64_e32 v[22:23], 3, v[0:1]
	s_delay_alu instid0(VALU_DEP_1) | instskip(SKIP_1) | instid1(VALU_DEP_2)
	v_add_co_u32 v24, vcc_lo, s6, v22
	s_wait_alu 0xfffd
	v_add_co_ci_u32_e64 v25, null, s7, v23, vcc_lo
	v_add_co_u32 v22, vcc_lo, s8, v22
	s_wait_alu 0xfffd
	v_add_co_ci_u32_e64 v23, null, s9, v23, vcc_lo
	global_load_b64 v[24:25], v[24:25], off
	v_min_num_f64_e32 v[20:21], s[0:1], v[20:21]
	s_wait_loadcnt 0x0
	s_delay_alu instid0(VALU_DEP_1) | instskip(SKIP_3) | instid1(VALU_DEP_1)
	v_mul_f64_e32 v[20:21], v[24:25], v[20:21]
	global_store_b64 v[22:23], v[20:21], off
	v_mad_co_u64_u32 v[20:21], null, 0xffffff8c, s2, v[0:1]
	v_mov_b32_e32 v21, v1
	v_lshlrev_b64_e32 v[21:22], 3, v[20:21]
	s_delay_alu instid0(VALU_DEP_1) | instskip(SKIP_1) | instid1(VALU_DEP_2)
	v_add_co_u32 v21, vcc_lo, s10, v21
	s_wait_alu 0xfffd
	v_add_co_ci_u32_e64 v22, null, s11, v22, vcc_lo
	s_clause 0x1
	global_load_b64 v[21:22], v[21:22], off
	global_load_b64 v[8:9], v[8:9], off
	s_wait_loadcnt 0x1
	v_mul_f64_e32 v[21:22], v[12:13], v[21:22]
	s_delay_alu instid0(VALU_DEP_1) | instskip(NEXT) | instid1(VALU_DEP_1)
	v_div_scale_f64 v[23:24], null, v[21:22], v[21:22], 1.0
	v_rcp_f64_e32 v[25:26], v[23:24]
	s_delay_alu instid0(TRANS32_DEP_1) | instskip(NEXT) | instid1(VALU_DEP_1)
	v_fma_f64 v[27:28], -v[23:24], v[25:26], 1.0
	v_fma_f64 v[25:26], v[25:26], v[27:28], v[25:26]
	s_delay_alu instid0(VALU_DEP_1) | instskip(NEXT) | instid1(VALU_DEP_1)
	v_fma_f64 v[27:28], -v[23:24], v[25:26], 1.0
	v_fma_f64 v[25:26], v[25:26], v[27:28], v[25:26]
	v_div_scale_f64 v[27:28], vcc_lo, 1.0, v[21:22], 1.0
	s_delay_alu instid0(VALU_DEP_1) | instskip(NEXT) | instid1(VALU_DEP_1)
	v_mul_f64_e32 v[29:30], v[27:28], v[25:26]
	v_fma_f64 v[23:24], -v[23:24], v[29:30], v[27:28]
	s_wait_alu 0xfffd
	s_delay_alu instid0(VALU_DEP_1) | instskip(NEXT) | instid1(VALU_DEP_1)
	v_div_fmas_f64 v[23:24], v[23:24], v[25:26], v[29:30]
	v_div_fixup_f64 v[21:22], v[23:24], v[21:22], 1.0
	s_delay_alu instid0(VALU_DEP_1) | instskip(NEXT) | instid1(VALU_DEP_1)
	v_mul_f64_e32 v[21:22], v[18:19], v[21:22]
	v_mad_co_u64_u32 v[18:19], null, 0x75, s2, v[20:21]
	v_mov_b32_e32 v19, v1
	s_delay_alu instid0(VALU_DEP_3) | instskip(NEXT) | instid1(VALU_DEP_2)
	v_min_num_f64_e32 v[21:22], s[0:1], v[21:22]
	v_lshlrev_b64_e32 v[19:20], 3, v[18:19]
	v_add_nc_u32_e32 v0, s2, v18
	s_delay_alu instid0(VALU_DEP_2) | instskip(SKIP_1) | instid1(VALU_DEP_3)
	v_add_co_u32 v23, vcc_lo, s6, v19
	s_wait_alu 0xfffd
	v_add_co_ci_u32_e64 v24, null, s7, v20, vcc_lo
	v_add_co_u32 v19, vcc_lo, s8, v19
	s_wait_alu 0xfffd
	v_add_co_ci_u32_e64 v20, null, s9, v20, vcc_lo
	global_load_b64 v[23:24], v[23:24], off
	s_wait_loadcnt 0x0
	v_mul_f64_e32 v[21:22], v[23:24], v[21:22]
	global_store_b64 v[19:20], v[21:22], off
	v_div_scale_f64 v[19:20], null, v[16:17], v[16:17], 1.0
	s_delay_alu instid0(VALU_DEP_1) | instskip(NEXT) | instid1(TRANS32_DEP_1)
	v_rcp_f64_e32 v[21:22], v[19:20]
	v_fma_f64 v[23:24], -v[19:20], v[21:22], 1.0
	s_delay_alu instid0(VALU_DEP_1) | instskip(NEXT) | instid1(VALU_DEP_1)
	v_fma_f64 v[21:22], v[21:22], v[23:24], v[21:22]
	v_fma_f64 v[23:24], -v[19:20], v[21:22], 1.0
	s_delay_alu instid0(VALU_DEP_1) | instskip(SKIP_1) | instid1(VALU_DEP_1)
	v_fma_f64 v[21:22], v[21:22], v[23:24], v[21:22]
	v_div_scale_f64 v[23:24], vcc_lo, 1.0, v[16:17], 1.0
	v_mul_f64_e32 v[25:26], v[23:24], v[21:22]
	s_delay_alu instid0(VALU_DEP_1) | instskip(SKIP_1) | instid1(VALU_DEP_1)
	v_fma_f64 v[19:20], -v[19:20], v[25:26], v[23:24]
	s_wait_alu 0xfffd
	v_div_fmas_f64 v[19:20], v[19:20], v[21:22], v[25:26]
	s_delay_alu instid0(VALU_DEP_1) | instskip(SKIP_2) | instid1(VALU_DEP_2)
	v_div_fixup_f64 v[16:17], v[19:20], v[16:17], 1.0
	v_lshlrev_b64_e32 v[18:19], 3, v[0:1]
	v_add_nc_u32_e32 v0, s3, v0
	v_add_co_u32 v20, vcc_lo, s6, v18
	s_wait_alu 0xfffd
	s_delay_alu instid0(VALU_DEP_3)
	v_add_co_ci_u32_e64 v21, null, s7, v19, vcc_lo
	v_add_co_u32 v18, vcc_lo, s8, v18
	s_wait_alu 0xfffd
	v_add_co_ci_u32_e64 v19, null, s9, v19, vcc_lo
	global_load_b64 v[20:21], v[20:21], off
	v_mul_f64_e32 v[16:17], v[8:9], v[16:17]
	v_mul_f64_e32 v[8:9], v[12:13], v[8:9]
	v_lshlrev_b64_e32 v[12:13], 3, v[0:1]
	s_delay_alu instid0(VALU_DEP_1) | instskip(SKIP_1) | instid1(VALU_DEP_2)
	v_add_co_u32 v12, vcc_lo, s10, v12
	s_wait_alu 0xfffd
	v_add_co_ci_u32_e64 v13, null, s11, v13, vcc_lo
	global_load_b64 v[12:13], v[12:13], off
	v_min_num_f64_e32 v[16:17], s[0:1], v[16:17]
	v_mul_f64_e32 v[6:7], v[6:7], v[8:9]
	s_wait_loadcnt 0x1
	s_delay_alu instid0(VALU_DEP_2) | instskip(SKIP_3) | instid1(VALU_DEP_1)
	v_mul_f64_e32 v[16:17], v[20:21], v[16:17]
	global_store_b64 v[18:19], v[16:17], off
	s_wait_loadcnt 0x0
	v_div_scale_f64 v[16:17], null, v[12:13], v[12:13], 1.0
	v_rcp_f64_e32 v[18:19], v[16:17]
	s_delay_alu instid0(TRANS32_DEP_1) | instskip(NEXT) | instid1(VALU_DEP_1)
	v_fma_f64 v[20:21], -v[16:17], v[18:19], 1.0
	v_fma_f64 v[18:19], v[18:19], v[20:21], v[18:19]
	s_delay_alu instid0(VALU_DEP_1) | instskip(NEXT) | instid1(VALU_DEP_1)
	v_fma_f64 v[20:21], -v[16:17], v[18:19], 1.0
	v_fma_f64 v[18:19], v[18:19], v[20:21], v[18:19]
	v_div_scale_f64 v[20:21], vcc_lo, 1.0, v[12:13], 1.0
	s_delay_alu instid0(VALU_DEP_1) | instskip(NEXT) | instid1(VALU_DEP_1)
	v_mul_f64_e32 v[22:23], v[20:21], v[18:19]
	v_fma_f64 v[16:17], -v[16:17], v[22:23], v[20:21]
	s_wait_alu 0xfffd
	s_delay_alu instid0(VALU_DEP_1) | instskip(NEXT) | instid1(VALU_DEP_1)
	v_div_fmas_f64 v[16:17], v[16:17], v[18:19], v[22:23]
	v_div_fixup_f64 v[12:13], v[16:17], v[12:13], 1.0
	s_delay_alu instid0(VALU_DEP_1) | instskip(SKIP_2) | instid1(VALU_DEP_1)
	v_mul_f64_e32 v[6:7], v[6:7], v[12:13]
	v_mad_co_u64_u32 v[12:13], null, 0x78, s2, v[0:1]
	v_mov_b32_e32 v13, v1
	v_lshlrev_b64_e32 v[16:17], 3, v[12:13]
	v_add_nc_u32_e32 v0, s2, v12
	s_delay_alu instid0(VALU_DEP_2) | instskip(SKIP_1) | instid1(VALU_DEP_3)
	v_add_co_u32 v18, vcc_lo, s6, v16
	s_wait_alu 0xfffd
	v_add_co_ci_u32_e64 v19, null, s7, v17, vcc_lo
	v_add_co_u32 v16, vcc_lo, s8, v16
	s_wait_alu 0xfffd
	v_add_co_ci_u32_e64 v17, null, s9, v17, vcc_lo
	global_load_b64 v[18:19], v[18:19], off
	v_min_num_f64_e32 v[6:7], s[0:1], v[6:7]
	s_wait_loadcnt 0x0
	s_delay_alu instid0(VALU_DEP_1) | instskip(SKIP_4) | instid1(VALU_DEP_1)
	v_mul_f64_e32 v[6:7], v[18:19], v[6:7]
	global_store_b64 v[16:17], v[6:7], off
	global_load_b64 v[6:7], v[10:11], off
	s_wait_loadcnt 0x0
	v_mul_f64_e32 v[6:7], v[14:15], v[6:7]
	v_div_scale_f64 v[10:11], null, v[6:7], v[6:7], 1.0
	s_delay_alu instid0(VALU_DEP_1) | instskip(NEXT) | instid1(TRANS32_DEP_1)
	v_rcp_f64_e32 v[13:14], v[10:11]
	v_fma_f64 v[15:16], -v[10:11], v[13:14], 1.0
	s_delay_alu instid0(VALU_DEP_1) | instskip(NEXT) | instid1(VALU_DEP_1)
	v_fma_f64 v[13:14], v[13:14], v[15:16], v[13:14]
	v_fma_f64 v[15:16], -v[10:11], v[13:14], 1.0
	s_delay_alu instid0(VALU_DEP_1) | instskip(SKIP_1) | instid1(VALU_DEP_1)
	v_fma_f64 v[13:14], v[13:14], v[15:16], v[13:14]
	v_div_scale_f64 v[15:16], vcc_lo, 1.0, v[6:7], 1.0
	v_mul_f64_e32 v[17:18], v[15:16], v[13:14]
	s_delay_alu instid0(VALU_DEP_1) | instskip(SKIP_1) | instid1(VALU_DEP_1)
	v_fma_f64 v[10:11], -v[10:11], v[17:18], v[15:16]
	s_wait_alu 0xfffd
	v_div_fmas_f64 v[10:11], v[10:11], v[13:14], v[17:18]
	s_delay_alu instid0(VALU_DEP_1) | instskip(SKIP_2) | instid1(VALU_DEP_2)
	v_div_fixup_f64 v[6:7], v[10:11], v[6:7], 1.0
	v_lshlrev_b64_e32 v[10:11], 3, v[0:1]
	v_add_nc_u32_e32 v0, s2, v0
	v_add_co_u32 v12, vcc_lo, s6, v10
	s_wait_alu 0xfffd
	s_delay_alu instid0(VALU_DEP_3)
	v_add_co_ci_u32_e64 v13, null, s7, v11, vcc_lo
	v_add_co_u32 v10, vcc_lo, s8, v10
	s_wait_alu 0xfffd
	v_add_co_ci_u32_e64 v11, null, s9, v11, vcc_lo
	global_load_b64 v[12:13], v[12:13], off
	v_lshlrev_b64_e32 v[0:1], 3, v[0:1]
	v_mul_f64_e32 v[6:7], v[8:9], v[6:7]
	s_delay_alu instid0(VALU_DEP_1) | instskip(SKIP_1) | instid1(VALU_DEP_1)
	v_min_num_f64_e32 v[6:7], s[0:1], v[6:7]
	s_wait_loadcnt 0x0
	v_mul_f64_e32 v[6:7], v[12:13], v[6:7]
	global_store_b64 v[10:11], v[6:7], off
	s_clause 0x1
	global_load_b64 v[4:5], v[4:5], off
	global_load_b64 v[2:3], v[2:3], off
	s_wait_loadcnt 0x0
	v_mul_f64_e32 v[2:3], v[4:5], v[2:3]
	s_delay_alu instid0(VALU_DEP_1) | instskip(NEXT) | instid1(VALU_DEP_1)
	v_div_scale_f64 v[4:5], null, v[2:3], v[2:3], 1.0
	v_rcp_f64_e32 v[6:7], v[4:5]
	s_delay_alu instid0(TRANS32_DEP_1) | instskip(NEXT) | instid1(VALU_DEP_1)
	v_fma_f64 v[10:11], -v[4:5], v[6:7], 1.0
	v_fma_f64 v[6:7], v[6:7], v[10:11], v[6:7]
	s_delay_alu instid0(VALU_DEP_1) | instskip(NEXT) | instid1(VALU_DEP_1)
	v_fma_f64 v[10:11], -v[4:5], v[6:7], 1.0
	v_fma_f64 v[6:7], v[6:7], v[10:11], v[6:7]
	v_div_scale_f64 v[10:11], vcc_lo, 1.0, v[2:3], 1.0
	s_delay_alu instid0(VALU_DEP_1) | instskip(NEXT) | instid1(VALU_DEP_1)
	v_mul_f64_e32 v[12:13], v[10:11], v[6:7]
	v_fma_f64 v[4:5], -v[4:5], v[12:13], v[10:11]
	s_wait_alu 0xfffd
	s_delay_alu instid0(VALU_DEP_1) | instskip(NEXT) | instid1(VALU_DEP_1)
	v_div_fmas_f64 v[4:5], v[4:5], v[6:7], v[12:13]
	v_div_fixup_f64 v[2:3], v[4:5], v[2:3], 1.0
	v_add_co_u32 v4, vcc_lo, s6, v0
	s_wait_alu 0xfffd
	v_add_co_ci_u32_e64 v5, null, s7, v1, vcc_lo
	v_add_co_u32 v0, vcc_lo, s8, v0
	s_wait_alu 0xfffd
	v_add_co_ci_u32_e64 v1, null, s9, v1, vcc_lo
	global_load_b64 v[4:5], v[4:5], off
	v_mul_f64_e32 v[2:3], v[8:9], v[2:3]
	s_delay_alu instid0(VALU_DEP_1) | instskip(SKIP_1) | instid1(VALU_DEP_1)
	v_min_num_f64_e32 v[2:3], s[0:1], v[2:3]
	s_wait_loadcnt 0x0
	v_mul_f64_e32 v[2:3], v[4:5], v[2:3]
	global_store_b64 v[0:1], v[2:3], off
	s_endpgm
	.section	.rodata,"a",@progbits
	.p2align	6, 0x0
	.amdhsa_kernel _Z12ratt7_kernelIdEvPKT_S2_PS0_S2_S0_
		.amdhsa_group_segment_fixed_size 0
		.amdhsa_private_segment_fixed_size 0
		.amdhsa_kernarg_size 296
		.amdhsa_user_sgpr_count 2
		.amdhsa_user_sgpr_dispatch_ptr 0
		.amdhsa_user_sgpr_queue_ptr 0
		.amdhsa_user_sgpr_kernarg_segment_ptr 1
		.amdhsa_user_sgpr_dispatch_id 0
		.amdhsa_user_sgpr_private_segment_size 0
		.amdhsa_wavefront_size32 1
		.amdhsa_uses_dynamic_stack 0
		.amdhsa_enable_private_segment 0
		.amdhsa_system_sgpr_workgroup_id_x 1
		.amdhsa_system_sgpr_workgroup_id_y 0
		.amdhsa_system_sgpr_workgroup_id_z 0
		.amdhsa_system_sgpr_workgroup_info 0
		.amdhsa_system_vgpr_workitem_id 0
		.amdhsa_next_free_vgpr 54
		.amdhsa_next_free_sgpr 15
		.amdhsa_reserve_vcc 1
		.amdhsa_float_round_mode_32 0
		.amdhsa_float_round_mode_16_64 0
		.amdhsa_float_denorm_mode_32 3
		.amdhsa_float_denorm_mode_16_64 3
		.amdhsa_fp16_overflow 0
		.amdhsa_workgroup_processor_mode 1
		.amdhsa_memory_ordered 1
		.amdhsa_forward_progress 1
		.amdhsa_inst_pref_size 55
		.amdhsa_round_robin_scheduling 0
		.amdhsa_exception_fp_ieee_invalid_op 0
		.amdhsa_exception_fp_denorm_src 0
		.amdhsa_exception_fp_ieee_div_zero 0
		.amdhsa_exception_fp_ieee_overflow 0
		.amdhsa_exception_fp_ieee_underflow 0
		.amdhsa_exception_fp_ieee_inexact 0
		.amdhsa_exception_int_div_zero 0
	.end_amdhsa_kernel
	.section	.text._Z12ratt7_kernelIdEvPKT_S2_PS0_S2_S0_,"axG",@progbits,_Z12ratt7_kernelIdEvPKT_S2_PS0_S2_S0_,comdat
.Lfunc_end35:
	.size	_Z12ratt7_kernelIdEvPKT_S2_PS0_S2_S0_, .Lfunc_end35-_Z12ratt7_kernelIdEvPKT_S2_PS0_S2_S0_
                                        ; -- End function
	.set _Z12ratt7_kernelIdEvPKT_S2_PS0_S2_S0_.num_vgpr, 54
	.set _Z12ratt7_kernelIdEvPKT_S2_PS0_S2_S0_.num_agpr, 0
	.set _Z12ratt7_kernelIdEvPKT_S2_PS0_S2_S0_.numbered_sgpr, 15
	.set _Z12ratt7_kernelIdEvPKT_S2_PS0_S2_S0_.num_named_barrier, 0
	.set _Z12ratt7_kernelIdEvPKT_S2_PS0_S2_S0_.private_seg_size, 0
	.set _Z12ratt7_kernelIdEvPKT_S2_PS0_S2_S0_.uses_vcc, 1
	.set _Z12ratt7_kernelIdEvPKT_S2_PS0_S2_S0_.uses_flat_scratch, 0
	.set _Z12ratt7_kernelIdEvPKT_S2_PS0_S2_S0_.has_dyn_sized_stack, 0
	.set _Z12ratt7_kernelIdEvPKT_S2_PS0_S2_S0_.has_recursion, 0
	.set _Z12ratt7_kernelIdEvPKT_S2_PS0_S2_S0_.has_indirect_call, 0
	.section	.AMDGPU.csdata,"",@progbits
; Kernel info:
; codeLenInByte = 6992
; TotalNumSgprs: 17
; NumVgprs: 54
; ScratchSize: 0
; MemoryBound: 0
; FloatMode: 240
; IeeeMode: 1
; LDSByteSize: 0 bytes/workgroup (compile time only)
; SGPRBlocks: 0
; VGPRBlocks: 6
; NumSGPRsForWavesPerEU: 17
; NumVGPRsForWavesPerEU: 54
; Occupancy: 16
; WaveLimiterHint : 0
; COMPUTE_PGM_RSRC2:SCRATCH_EN: 0
; COMPUTE_PGM_RSRC2:USER_SGPR: 2
; COMPUTE_PGM_RSRC2:TRAP_HANDLER: 0
; COMPUTE_PGM_RSRC2:TGID_X_EN: 1
; COMPUTE_PGM_RSRC2:TGID_Y_EN: 0
; COMPUTE_PGM_RSRC2:TGID_Z_EN: 0
; COMPUTE_PGM_RSRC2:TIDIG_COMP_CNT: 0
	.section	.text._Z12ratt8_kernelIdEvPKT_S2_PS0_S2_S0_,"axG",@progbits,_Z12ratt8_kernelIdEvPKT_S2_PS0_S2_S0_,comdat
	.protected	_Z12ratt8_kernelIdEvPKT_S2_PS0_S2_S0_ ; -- Begin function _Z12ratt8_kernelIdEvPKT_S2_PS0_S2_S0_
	.globl	_Z12ratt8_kernelIdEvPKT_S2_PS0_S2_S0_
	.p2align	8
	.type	_Z12ratt8_kernelIdEvPKT_S2_PS0_S2_S0_,@function
_Z12ratt8_kernelIdEvPKT_S2_PS0_S2_S0_:  ; @_Z12ratt8_kernelIdEvPKT_S2_PS0_S2_S0_
; %bb.0:
	s_clause 0x2
	s_load_b256 s[4:11], s[0:1], 0x0
	s_load_b96 s[12:14], s[0:1], 0x20
	s_load_b32 s0, s[0:1], 0x34
	s_wait_kmcnt 0x0
	s_and_b32 s2, s0, 0xffff
	s_brev_b32 s0, 12
	v_mad_co_u64_u32 v[0:1], null, ttmp9, s2, v[0:1]
	v_mov_b32_e32 v1, 0
	s_mov_b32 s1, 0x4193d2c6
	s_mul_i32 s2, s14, s2
	s_wait_alu 0xfffe
	s_mul_i32 s3, s2, 0xffffff6f
	s_mul_i32 s14, s2, 0x88
	s_delay_alu instid0(VALU_DEP_2) | instskip(NEXT) | instid1(VALU_DEP_1)
	v_lshlrev_b64_e32 v[16:17], 3, v[0:1]
	v_add_co_u32 v2, vcc_lo, s4, v16
	s_delay_alu instid0(VALU_DEP_1)
	v_add_co_ci_u32_e64 v3, null, s5, v17, vcc_lo
	s_lshl_b32 s4, s2, 1
	s_mul_i32 s5, s2, 0x92
	global_load_b64 v[2:3], v[2:3], off
	s_wait_loadcnt 0x0
	v_mul_f64_e32 v[2:3], s[12:13], v[2:3]
	s_mul_i32 s12, s2, 21
	s_mul_i32 s13, s2, 3
	s_delay_alu instid0(VALU_DEP_1) | instskip(SKIP_2) | instid1(VALU_DEP_1)
	v_mul_f64_e32 v[2:3], s[0:1], v[2:3]
	s_mov_b32 s0, 0x4357691b
	s_mov_b32 s1, 0x479e17b8
	v_div_scale_f64 v[4:5], null, v[2:3], v[2:3], 1.0
	s_delay_alu instid0(VALU_DEP_1) | instskip(NEXT) | instid1(TRANS32_DEP_1)
	v_rcp_f64_e32 v[6:7], v[4:5]
	v_fma_f64 v[8:9], -v[4:5], v[6:7], 1.0
	s_delay_alu instid0(VALU_DEP_1) | instskip(NEXT) | instid1(VALU_DEP_1)
	v_fma_f64 v[6:7], v[6:7], v[8:9], v[6:7]
	v_fma_f64 v[8:9], -v[4:5], v[6:7], 1.0
	s_delay_alu instid0(VALU_DEP_1) | instskip(SKIP_1) | instid1(VALU_DEP_1)
	v_fma_f64 v[6:7], v[6:7], v[8:9], v[6:7]
	v_div_scale_f64 v[8:9], vcc_lo, 1.0, v[2:3], 1.0
	v_mul_f64_e32 v[10:11], v[8:9], v[6:7]
	s_delay_alu instid0(VALU_DEP_1) | instskip(SKIP_1) | instid1(VALU_DEP_1)
	v_fma_f64 v[4:5], -v[4:5], v[10:11], v[8:9]
	s_wait_alu 0xfffd
	v_div_fmas_f64 v[4:5], v[4:5], v[6:7], v[10:11]
	s_delay_alu instid0(VALU_DEP_1) | instskip(NEXT) | instid1(VALU_DEP_1)
	v_div_fixup_f64 v[2:3], v[4:5], v[2:3], 1.0
	v_mul_f64_e32 v[6:7], 0x412eec04, v[2:3]
	s_wait_alu 0xfffe
	v_dual_mov_b32 v3, v1 :: v_dual_add_nc_u32 v2, s4, v0
	v_add_nc_u32_e32 v0, s2, v0
	s_delay_alu instid0(VALU_DEP_2) | instskip(SKIP_2) | instid1(VALU_DEP_3)
	v_lshlrev_b64_e32 v[4:5], 3, v[2:3]
	v_mad_co_u64_u32 v[2:3], null, s2, 24, v[2:3]
	v_mov_b32_e32 v3, v1
	v_add_co_u32 v4, vcc_lo, s10, v4
	s_wait_alu 0xfffd
	s_delay_alu instid0(VALU_DEP_4) | instskip(NEXT) | instid1(VALU_DEP_3)
	v_add_co_ci_u32_e64 v5, null, s11, v5, vcc_lo
	v_lshlrev_b64_e32 v[8:9], 3, v[2:3]
	v_mad_co_u64_u32 v[2:3], null, 0xffffffea, s2, v[2:3]
	v_mov_b32_e32 v3, v1
	global_load_b64 v[12:13], v[4:5], off
	v_add_co_u32 v8, vcc_lo, s10, v8
	s_wait_alu 0xfffd
	v_add_co_ci_u32_e64 v9, null, s11, v9, vcc_lo
	global_load_b64 v[14:15], v[8:9], off
	v_lshlrev_b64_e32 v[8:9], 3, v[2:3]
	v_add_nc_u32_e32 v2, s12, v2
	s_delay_alu instid0(VALU_DEP_1) | instskip(NEXT) | instid1(VALU_DEP_3)
	v_lshlrev_b64_e32 v[18:19], 3, v[2:3]
	v_add_co_u32 v8, vcc_lo, s10, v8
	s_wait_alu 0xfffd
	s_delay_alu instid0(VALU_DEP_4) | instskip(SKIP_1) | instid1(VALU_DEP_4)
	v_add_co_ci_u32_e64 v9, null, s11, v9, vcc_lo
	v_mad_co_u64_u32 v[2:3], null, 0x7d, s2, v[2:3]
	v_add_co_u32 v18, vcc_lo, s10, v18
	s_wait_alu 0xfffd
	v_add_co_ci_u32_e64 v19, null, s11, v19, vcc_lo
	global_load_b64 v[8:9], v[8:9], off
	v_mov_b32_e32 v3, v1
	global_load_b64 v[20:21], v[18:19], off
	s_wait_loadcnt 0x2
	v_mul_f64_e32 v[10:11], v[12:13], v[14:15]
	s_wait_loadcnt 0x0
	v_mul_f64_e32 v[18:19], v[8:9], v[20:21]
	s_delay_alu instid0(VALU_DEP_1) | instskip(NEXT) | instid1(VALU_DEP_1)
	v_div_scale_f64 v[22:23], null, v[18:19], v[18:19], 1.0
	v_rcp_f64_e32 v[24:25], v[22:23]
	s_delay_alu instid0(TRANS32_DEP_1) | instskip(NEXT) | instid1(VALU_DEP_1)
	v_fma_f64 v[26:27], -v[22:23], v[24:25], 1.0
	v_fma_f64 v[24:25], v[24:25], v[26:27], v[24:25]
	s_delay_alu instid0(VALU_DEP_1) | instskip(NEXT) | instid1(VALU_DEP_1)
	v_fma_f64 v[26:27], -v[22:23], v[24:25], 1.0
	v_fma_f64 v[24:25], v[24:25], v[26:27], v[24:25]
	v_div_scale_f64 v[26:27], vcc_lo, 1.0, v[18:19], 1.0
	s_delay_alu instid0(VALU_DEP_1) | instskip(NEXT) | instid1(VALU_DEP_1)
	v_mul_f64_e32 v[28:29], v[26:27], v[24:25]
	v_fma_f64 v[22:23], -v[22:23], v[28:29], v[26:27]
	s_wait_alu 0xfffd
	s_delay_alu instid0(VALU_DEP_1) | instskip(NEXT) | instid1(VALU_DEP_1)
	v_div_fmas_f64 v[22:23], v[22:23], v[24:25], v[28:29]
	v_div_fixup_f64 v[18:19], v[22:23], v[18:19], 1.0
	s_delay_alu instid0(VALU_DEP_1) | instskip(SKIP_2) | instid1(VALU_DEP_2)
	v_mul_f64_e32 v[10:11], v[10:11], v[18:19]
	v_lshlrev_b64_e32 v[18:19], 3, v[2:3]
	v_add_nc_u32_e32 v2, s3, v2
	v_add_co_u32 v22, vcc_lo, s6, v18
	s_wait_alu 0xfffd
	s_delay_alu instid0(VALU_DEP_3)
	v_add_co_ci_u32_e64 v23, null, s7, v19, vcc_lo
	v_add_co_u32 v18, vcc_lo, s8, v18
	s_wait_alu 0xfffd
	v_add_co_ci_u32_e64 v19, null, s9, v19, vcc_lo
	global_load_b64 v[22:23], v[22:23], off
	v_min_num_f64_e32 v[10:11], s[0:1], v[10:11]
	s_wait_loadcnt 0x0
	s_delay_alu instid0(VALU_DEP_1) | instskip(SKIP_4) | instid1(VALU_DEP_3)
	v_mul_f64_e32 v[10:11], v[22:23], v[10:11]
	global_store_b64 v[18:19], v[10:11], off
	v_lshlrev_b64_e32 v[18:19], 3, v[2:3]
	v_mul_f64_e32 v[10:11], v[14:15], v[8:9]
	v_add_nc_u32_e32 v2, s5, v2
	v_add_co_u32 v18, vcc_lo, s10, v18
	s_wait_alu 0xfffd
	s_delay_alu instid0(VALU_DEP_4) | instskip(SKIP_3) | instid1(VALU_DEP_1)
	v_add_co_ci_u32_e64 v19, null, s11, v19, vcc_lo
	global_load_b64 v[18:19], v[18:19], off
	s_wait_loadcnt 0x0
	v_mul_f64_e32 v[22:23], v[20:21], v[18:19]
	v_div_scale_f64 v[24:25], null, v[22:23], v[22:23], 1.0
	s_delay_alu instid0(VALU_DEP_1) | instskip(NEXT) | instid1(TRANS32_DEP_1)
	v_rcp_f64_e32 v[26:27], v[24:25]
	v_fma_f64 v[28:29], -v[24:25], v[26:27], 1.0
	s_delay_alu instid0(VALU_DEP_1) | instskip(NEXT) | instid1(VALU_DEP_1)
	v_fma_f64 v[26:27], v[26:27], v[28:29], v[26:27]
	v_fma_f64 v[28:29], -v[24:25], v[26:27], 1.0
	s_delay_alu instid0(VALU_DEP_1) | instskip(SKIP_1) | instid1(VALU_DEP_1)
	v_fma_f64 v[26:27], v[26:27], v[28:29], v[26:27]
	v_div_scale_f64 v[28:29], vcc_lo, 1.0, v[22:23], 1.0
	v_mul_f64_e32 v[30:31], v[28:29], v[26:27]
	s_delay_alu instid0(VALU_DEP_1) | instskip(SKIP_1) | instid1(VALU_DEP_1)
	v_fma_f64 v[24:25], -v[24:25], v[30:31], v[28:29]
	s_wait_alu 0xfffd
	v_div_fmas_f64 v[24:25], v[24:25], v[26:27], v[30:31]
	s_delay_alu instid0(VALU_DEP_1) | instskip(NEXT) | instid1(VALU_DEP_1)
	v_div_fixup_f64 v[22:23], v[24:25], v[22:23], 1.0
	v_mul_f64_e32 v[10:11], v[10:11], v[22:23]
	v_lshlrev_b64_e32 v[22:23], 3, v[2:3]
	v_mad_co_u64_u32 v[2:3], null, 0xffffff6c, s2, v[2:3]
	v_mov_b32_e32 v3, v1
	s_delay_alu instid0(VALU_DEP_3) | instskip(SKIP_1) | instid1(VALU_DEP_4)
	v_add_co_u32 v24, vcc_lo, s6, v22
	s_wait_alu 0xfffd
	v_add_co_ci_u32_e64 v25, null, s7, v23, vcc_lo
	v_add_co_u32 v22, vcc_lo, s8, v22
	s_wait_alu 0xfffd
	v_add_co_ci_u32_e64 v23, null, s9, v23, vcc_lo
	global_load_b64 v[24:25], v[24:25], off
	v_min_num_f64_e32 v[10:11], s[0:1], v[10:11]
	s_wait_loadcnt 0x0
	s_delay_alu instid0(VALU_DEP_1) | instskip(SKIP_2) | instid1(VALU_DEP_1)
	v_mul_f64_e32 v[10:11], v[24:25], v[10:11]
	global_store_b64 v[22:23], v[10:11], off
	v_lshlrev_b64_e32 v[10:11], 3, v[2:3]
	v_add_co_u32 v10, vcc_lo, s10, v10
	s_wait_alu 0xfffd
	s_delay_alu instid0(VALU_DEP_2) | instskip(SKIP_4) | instid1(VALU_DEP_1)
	v_add_co_ci_u32_e64 v11, null, s11, v11, vcc_lo
	global_load_b64 v[22:23], v[10:11], off
	s_wait_loadcnt 0x0
	v_mul_f64_e32 v[28:29], v[14:15], v[22:23]
	v_dual_mov_b32 v15, v1 :: v_dual_add_nc_u32 v14, s13, v2
	v_lshlrev_b64_e32 v[2:3], 3, v[14:15]
	v_add_nc_u32_e32 v14, s5, v14
	s_delay_alu instid0(VALU_DEP_2) | instskip(SKIP_1) | instid1(VALU_DEP_3)
	v_add_co_u32 v2, vcc_lo, s10, v2
	s_wait_alu 0xfffd
	v_add_co_ci_u32_e64 v3, null, s11, v3, vcc_lo
	global_load_b64 v[24:25], v[2:3], off
	s_wait_loadcnt 0x0
	v_mul_f64_e32 v[20:21], v[20:21], v[24:25]
	s_delay_alu instid0(VALU_DEP_1) | instskip(NEXT) | instid1(VALU_DEP_1)
	v_div_scale_f64 v[26:27], null, v[20:21], v[20:21], 1.0
	v_rcp_f64_e32 v[30:31], v[26:27]
	s_delay_alu instid0(TRANS32_DEP_1) | instskip(NEXT) | instid1(VALU_DEP_1)
	v_fma_f64 v[32:33], -v[26:27], v[30:31], 1.0
	v_fma_f64 v[30:31], v[30:31], v[32:33], v[30:31]
	s_delay_alu instid0(VALU_DEP_1) | instskip(NEXT) | instid1(VALU_DEP_1)
	v_fma_f64 v[32:33], -v[26:27], v[30:31], 1.0
	v_fma_f64 v[30:31], v[30:31], v[32:33], v[30:31]
	v_div_scale_f64 v[32:33], vcc_lo, 1.0, v[20:21], 1.0
	s_delay_alu instid0(VALU_DEP_1) | instskip(NEXT) | instid1(VALU_DEP_1)
	v_mul_f64_e32 v[34:35], v[32:33], v[30:31]
	v_fma_f64 v[26:27], -v[26:27], v[34:35], v[32:33]
	s_wait_alu 0xfffd
	s_delay_alu instid0(VALU_DEP_1) | instskip(NEXT) | instid1(VALU_DEP_1)
	v_div_fmas_f64 v[26:27], v[26:27], v[30:31], v[34:35]
	v_div_fixup_f64 v[20:21], v[26:27], v[20:21], 1.0
	v_lshlrev_b64_e32 v[26:27], 3, v[14:15]
	v_mad_co_u64_u32 v[14:15], null, 0xffffff75, s2, v[14:15]
	s_delay_alu instid0(VALU_DEP_2) | instskip(SKIP_1) | instid1(VALU_DEP_3)
	v_add_co_u32 v30, vcc_lo, s6, v26
	s_wait_alu 0xfffd
	v_add_co_ci_u32_e64 v31, null, s7, v27, vcc_lo
	v_add_co_u32 v26, vcc_lo, s8, v26
	s_wait_alu 0xfffd
	v_add_co_ci_u32_e64 v27, null, s9, v27, vcc_lo
	global_load_b64 v[30:31], v[30:31], off
	v_mul_f64_e32 v[20:21], v[28:29], v[20:21]
	s_delay_alu instid0(VALU_DEP_1) | instskip(SKIP_1) | instid1(VALU_DEP_1)
	v_min_num_f64_e32 v[20:21], s[0:1], v[20:21]
	s_wait_loadcnt 0x0
	v_mul_f64_e32 v[20:21], v[30:31], v[20:21]
	v_add_nc_u32_e32 v30, s13, v14
	s_mul_i32 s13, s2, 0x87
	v_mov_b32_e32 v15, v1
	v_mov_b32_e32 v31, v1
	global_store_b64 v[26:27], v[20:21], off
	v_lshlrev_b64_e32 v[20:21], 3, v[14:15]
	v_lshlrev_b64_e32 v[14:15], 3, v[30:31]
	s_delay_alu instid0(VALU_DEP_2) | instskip(SKIP_1) | instid1(VALU_DEP_3)
	v_add_co_u32 v20, vcc_lo, s10, v20
	s_wait_alu 0xfffd
	v_add_co_ci_u32_e64 v21, null, s11, v21, vcc_lo
	s_delay_alu instid0(VALU_DEP_3)
	v_add_co_u32 v14, vcc_lo, s10, v14
	s_wait_alu 0xfffd
	v_add_co_ci_u32_e64 v15, null, s11, v15, vcc_lo
	s_clause 0x1
	global_load_b64 v[26:27], v[20:21], off
	global_load_b64 v[38:39], v[14:15], off
	s_wait_loadcnt 0x1
	v_mul_f64_e32 v[20:21], v[8:9], v[26:27]
	s_wait_loadcnt 0x0
	s_delay_alu instid0(VALU_DEP_1) | instskip(NEXT) | instid1(VALU_DEP_1)
	v_mul_f64_e32 v[20:21], v[20:21], v[38:39]
	v_mul_f64_e32 v[20:21], v[6:7], v[20:21]
	s_delay_alu instid0(VALU_DEP_1) | instskip(NEXT) | instid1(VALU_DEP_1)
	v_div_scale_f64 v[31:32], null, v[20:21], v[20:21], 1.0
	v_rcp_f64_e32 v[33:34], v[31:32]
	s_delay_alu instid0(TRANS32_DEP_1) | instskip(NEXT) | instid1(VALU_DEP_1)
	v_fma_f64 v[35:36], -v[31:32], v[33:34], 1.0
	v_fma_f64 v[33:34], v[33:34], v[35:36], v[33:34]
	s_delay_alu instid0(VALU_DEP_1) | instskip(NEXT) | instid1(VALU_DEP_1)
	v_fma_f64 v[35:36], -v[31:32], v[33:34], 1.0
	v_fma_f64 v[33:34], v[33:34], v[35:36], v[33:34]
	v_div_scale_f64 v[35:36], vcc_lo, 1.0, v[20:21], 1.0
	s_delay_alu instid0(VALU_DEP_1) | instskip(NEXT) | instid1(VALU_DEP_1)
	v_mul_f64_e32 v[40:41], v[35:36], v[33:34]
	v_fma_f64 v[31:32], -v[31:32], v[40:41], v[35:36]
	s_wait_alu 0xfffd
	s_delay_alu instid0(VALU_DEP_1) | instskip(NEXT) | instid1(VALU_DEP_1)
	v_div_fmas_f64 v[31:32], v[31:32], v[33:34], v[40:41]
	v_div_fixup_f64 v[20:21], v[31:32], v[20:21], 1.0
	s_delay_alu instid0(VALU_DEP_1) | instskip(SKIP_2) | instid1(VALU_DEP_1)
	v_mul_f64_e32 v[20:21], v[28:29], v[20:21]
	v_mad_co_u64_u32 v[28:29], null, 0x89, s2, v[30:31]
	v_mov_b32_e32 v29, v1
	v_lshlrev_b64_e32 v[30:31], 3, v[28:29]
	v_mad_co_u64_u32 v[28:29], null, 0xffffff7c, s2, v[28:29]
	v_mov_b32_e32 v29, v1
	s_delay_alu instid0(VALU_DEP_3) | instskip(SKIP_1) | instid1(VALU_DEP_4)
	v_add_co_u32 v32, vcc_lo, s6, v30
	s_wait_alu 0xfffd
	v_add_co_ci_u32_e64 v33, null, s7, v31, vcc_lo
	v_add_co_u32 v30, vcc_lo, s8, v30
	s_wait_alu 0xfffd
	v_add_co_ci_u32_e64 v31, null, s9, v31, vcc_lo
	global_load_b64 v[32:33], v[32:33], off
	v_min_num_f64_e32 v[20:21], s[0:1], v[20:21]
	s_wait_loadcnt 0x0
	s_delay_alu instid0(VALU_DEP_1) | instskip(SKIP_3) | instid1(VALU_DEP_1)
	v_mul_f64_e32 v[20:21], v[32:33], v[20:21]
	global_store_b64 v[30:31], v[20:21], off
	v_lshlrev_b64_e32 v[20:21], 3, v[28:29]
	v_subrev_nc_u32_e32 v28, s4, v28
	v_lshlrev_b64_e32 v[32:33], 3, v[28:29]
	s_delay_alu instid0(VALU_DEP_3) | instskip(SKIP_1) | instid1(VALU_DEP_4)
	v_add_co_u32 v20, vcc_lo, s10, v20
	s_wait_alu 0xfffd
	v_add_co_ci_u32_e64 v21, null, s11, v21, vcc_lo
	v_add_co_u32 v16, vcc_lo, s10, v16
	s_wait_alu 0xfffd
	v_add_co_ci_u32_e64 v17, null, s11, v17, vcc_lo
	;; [unrolled: 3-line block ×3, first 2 shown]
	global_load_b64 v[30:31], v[20:21], off
	s_wait_alu 0xfffe
	v_add_nc_u32_e32 v28, s13, v28
	s_clause 0x1
	global_load_b64 v[32:33], v[32:33], off
	global_load_b64 v[44:45], v[16:17], off
	v_lshlrev_b64_e32 v[28:29], 3, v[28:29]
	s_wait_loadcnt 0x0
	v_mul_f64_e32 v[34:35], v[44:45], v[32:33]
	s_delay_alu instid0(VALU_DEP_1) | instskip(NEXT) | instid1(VALU_DEP_1)
	v_mul_f64_e32 v[34:35], v[6:7], v[34:35]
	v_div_scale_f64 v[36:37], null, v[34:35], v[34:35], 1.0
	s_delay_alu instid0(VALU_DEP_1) | instskip(NEXT) | instid1(TRANS32_DEP_1)
	v_rcp_f64_e32 v[40:41], v[36:37]
	v_fma_f64 v[42:43], -v[36:37], v[40:41], 1.0
	s_delay_alu instid0(VALU_DEP_1) | instskip(NEXT) | instid1(VALU_DEP_1)
	v_fma_f64 v[40:41], v[40:41], v[42:43], v[40:41]
	v_fma_f64 v[42:43], -v[36:37], v[40:41], 1.0
	s_delay_alu instid0(VALU_DEP_1) | instskip(SKIP_1) | instid1(VALU_DEP_1)
	v_fma_f64 v[40:41], v[40:41], v[42:43], v[40:41]
	v_div_scale_f64 v[42:43], vcc_lo, 1.0, v[34:35], 1.0
	v_mul_f64_e32 v[46:47], v[42:43], v[40:41]
	s_delay_alu instid0(VALU_DEP_1) | instskip(SKIP_1) | instid1(VALU_DEP_1)
	v_fma_f64 v[36:37], -v[36:37], v[46:47], v[42:43]
	s_wait_alu 0xfffd
	v_div_fmas_f64 v[36:37], v[36:37], v[40:41], v[46:47]
	s_delay_alu instid0(VALU_DEP_1)
	v_div_fixup_f64 v[34:35], v[36:37], v[34:35], 1.0
	v_add_co_u32 v36, vcc_lo, s6, v28
	s_wait_alu 0xfffd
	v_add_co_ci_u32_e64 v37, null, s7, v29, vcc_lo
	v_add_co_u32 v28, vcc_lo, s8, v28
	s_wait_alu 0xfffd
	v_add_co_ci_u32_e64 v29, null, s9, v29, vcc_lo
	global_load_b64 v[36:37], v[36:37], off
	v_mul_f64_e32 v[34:35], v[30:31], v[34:35]
	s_delay_alu instid0(VALU_DEP_1) | instskip(SKIP_1) | instid1(VALU_DEP_1)
	v_min_num_f64_e32 v[34:35], s[0:1], v[34:35]
	s_wait_loadcnt 0x0
	v_mul_f64_e32 v[34:35], v[36:37], v[34:35]
	global_store_b64 v[28:29], v[34:35], off
	v_lshlrev_b64_e32 v[28:29], 3, v[0:1]
	v_add_nc_u32_e32 v0, s12, v0
	s_mul_i32 s12, s2, 0xffffff79
	s_delay_alu instid0(VALU_DEP_2) | instskip(SKIP_1) | instid1(VALU_DEP_3)
	v_add_co_u32 v34, vcc_lo, s10, v28
	s_wait_alu 0xfffd
	v_add_co_ci_u32_e64 v35, null, s11, v29, vcc_lo
	v_lshlrev_b64_e32 v[28:29], 3, v[0:1]
	global_load_b64 v[40:41], v[34:35], off
	v_add_co_u32 v28, vcc_lo, s10, v28
	s_wait_alu 0xfffd
	v_add_co_ci_u32_e64 v29, null, s11, v29, vcc_lo
	global_load_b64 v[42:43], v[28:29], off
	s_wait_loadcnt 0x1
	v_mul_f64_e32 v[46:47], v[30:31], v[40:41]
	s_wait_loadcnt 0x0
	v_div_scale_f64 v[48:49], null, v[42:43], v[42:43], 1.0
	s_delay_alu instid0(VALU_DEP_2) | instskip(NEXT) | instid1(VALU_DEP_2)
	v_mul_f64_e32 v[36:37], v[6:7], v[46:47]
	v_rcp_f64_e32 v[50:51], v[48:49]
	s_delay_alu instid0(TRANS32_DEP_1) | instskip(NEXT) | instid1(VALU_DEP_1)
	v_fma_f64 v[52:53], -v[48:49], v[50:51], 1.0
	v_fma_f64 v[50:51], v[50:51], v[52:53], v[50:51]
	s_delay_alu instid0(VALU_DEP_1) | instskip(NEXT) | instid1(VALU_DEP_1)
	v_fma_f64 v[52:53], -v[48:49], v[50:51], 1.0
	v_fma_f64 v[50:51], v[50:51], v[52:53], v[50:51]
	v_div_scale_f64 v[52:53], vcc_lo, 1.0, v[42:43], 1.0
	s_delay_alu instid0(VALU_DEP_1) | instskip(NEXT) | instid1(VALU_DEP_1)
	v_mul_f64_e32 v[54:55], v[52:53], v[50:51]
	v_fma_f64 v[48:49], -v[48:49], v[54:55], v[52:53]
	s_wait_alu 0xfffd
	s_delay_alu instid0(VALU_DEP_1) | instskip(NEXT) | instid1(VALU_DEP_1)
	v_div_fmas_f64 v[48:49], v[48:49], v[50:51], v[54:55]
	v_div_fixup_f64 v[48:49], v[48:49], v[42:43], 1.0
	s_delay_alu instid0(VALU_DEP_1) | instskip(SKIP_2) | instid1(VALU_DEP_1)
	v_mul_f64_e32 v[36:37], v[36:37], v[48:49]
	v_mad_co_u64_u32 v[48:49], null, 0x85, s2, v[0:1]
	s_wait_alu 0xfffe
	v_dual_mov_b32 v49, v1 :: v_dual_add_nc_u32 v0, s12, v48
	s_delay_alu instid0(VALU_DEP_1) | instskip(NEXT) | instid1(VALU_DEP_1)
	v_lshlrev_b64_e32 v[49:50], 3, v[48:49]
	v_add_co_u32 v51, vcc_lo, s6, v49
	s_wait_alu 0xfffd
	s_delay_alu instid0(VALU_DEP_2)
	v_add_co_ci_u32_e64 v52, null, s7, v50, vcc_lo
	v_add_co_u32 v49, vcc_lo, s8, v49
	s_wait_alu 0xfffd
	v_add_co_ci_u32_e64 v50, null, s9, v50, vcc_lo
	global_load_b64 v[51:52], v[51:52], off
	v_min_num_f64_e32 v[36:37], s[0:1], v[36:37]
	s_wait_loadcnt 0x0
	s_delay_alu instid0(VALU_DEP_1) | instskip(SKIP_3) | instid1(VALU_DEP_2)
	v_mul_f64_e32 v[36:37], v[51:52], v[36:37]
	global_store_b64 v[49:50], v[36:37], off
	v_lshlrev_b64_e32 v[36:37], 3, v[0:1]
	v_add_nc_u32_e32 v0, s14, v0
	v_add_co_u32 v36, vcc_lo, s10, v36
	s_wait_alu 0xfffd
	s_delay_alu instid0(VALU_DEP_3) | instskip(SKIP_4) | instid1(VALU_DEP_2)
	v_add_co_ci_u32_e64 v37, null, s11, v37, vcc_lo
	global_load_b64 v[48:49], v[36:37], off
	s_wait_loadcnt 0x0
	v_mul_f64_e32 v[44:45], v[44:45], v[48:49]
	v_mul_f64_e32 v[18:19], v[18:19], v[48:49]
	v_div_scale_f64 v[50:51], null, v[44:45], v[44:45], 1.0
	s_delay_alu instid0(VALU_DEP_1) | instskip(NEXT) | instid1(TRANS32_DEP_1)
	v_rcp_f64_e32 v[52:53], v[50:51]
	v_fma_f64 v[54:55], -v[50:51], v[52:53], 1.0
	s_delay_alu instid0(VALU_DEP_1) | instskip(NEXT) | instid1(VALU_DEP_1)
	v_fma_f64 v[52:53], v[52:53], v[54:55], v[52:53]
	v_fma_f64 v[54:55], -v[50:51], v[52:53], 1.0
	s_delay_alu instid0(VALU_DEP_1) | instskip(SKIP_1) | instid1(VALU_DEP_1)
	v_fma_f64 v[52:53], v[52:53], v[54:55], v[52:53]
	v_div_scale_f64 v[54:55], vcc_lo, 1.0, v[44:45], 1.0
	v_mul_f64_e32 v[56:57], v[54:55], v[52:53]
	s_delay_alu instid0(VALU_DEP_1) | instskip(SKIP_1) | instid1(VALU_DEP_1)
	v_fma_f64 v[50:51], -v[50:51], v[56:57], v[54:55]
	s_wait_alu 0xfffd
	v_div_fmas_f64 v[50:51], v[50:51], v[52:53], v[56:57]
	s_delay_alu instid0(VALU_DEP_1) | instskip(NEXT) | instid1(VALU_DEP_1)
	v_div_fixup_f64 v[44:45], v[50:51], v[44:45], 1.0
	v_mul_f64_e32 v[44:45], v[46:47], v[44:45]
	v_lshlrev_b64_e32 v[46:47], 3, v[0:1]
	v_add_nc_u32_e32 v0, s2, v0
	s_delay_alu instid0(VALU_DEP_2) | instskip(SKIP_1) | instid1(VALU_DEP_3)
	v_add_co_u32 v50, vcc_lo, s6, v46
	s_wait_alu 0xfffd
	v_add_co_ci_u32_e64 v51, null, s7, v47, vcc_lo
	v_add_co_u32 v46, vcc_lo, s8, v46
	s_wait_alu 0xfffd
	v_add_co_ci_u32_e64 v47, null, s9, v47, vcc_lo
	global_load_b64 v[50:51], v[50:51], off
	v_min_num_f64_e32 v[44:45], s[0:1], v[44:45]
	s_wait_loadcnt 0x0
	s_delay_alu instid0(VALU_DEP_1) | instskip(SKIP_3) | instid1(VALU_DEP_1)
	v_mul_f64_e32 v[44:45], v[50:51], v[44:45]
	global_store_b64 v[46:47], v[44:45], off
	v_mul_f64_e32 v[44:45], v[12:13], v[30:31]
	v_mul_f64_e32 v[12:13], v[8:9], v[48:49]
	v_div_scale_f64 v[46:47], null, v[12:13], v[12:13], 1.0
	s_delay_alu instid0(VALU_DEP_1) | instskip(NEXT) | instid1(TRANS32_DEP_1)
	v_rcp_f64_e32 v[50:51], v[46:47]
	v_fma_f64 v[52:53], -v[46:47], v[50:51], 1.0
	s_delay_alu instid0(VALU_DEP_1) | instskip(NEXT) | instid1(VALU_DEP_1)
	v_fma_f64 v[50:51], v[50:51], v[52:53], v[50:51]
	v_fma_f64 v[52:53], -v[46:47], v[50:51], 1.0
	s_delay_alu instid0(VALU_DEP_1) | instskip(SKIP_1) | instid1(VALU_DEP_1)
	v_fma_f64 v[50:51], v[50:51], v[52:53], v[50:51]
	v_div_scale_f64 v[52:53], vcc_lo, 1.0, v[12:13], 1.0
	v_mul_f64_e32 v[54:55], v[52:53], v[50:51]
	s_delay_alu instid0(VALU_DEP_1) | instskip(SKIP_1) | instid1(VALU_DEP_1)
	v_fma_f64 v[46:47], -v[46:47], v[54:55], v[52:53]
	s_wait_alu 0xfffd
	v_div_fmas_f64 v[46:47], v[46:47], v[50:51], v[54:55]
	s_delay_alu instid0(VALU_DEP_1) | instskip(SKIP_1) | instid1(VALU_DEP_1)
	v_div_fixup_f64 v[12:13], v[46:47], v[12:13], 1.0
	v_lshlrev_b64_e32 v[46:47], 3, v[0:1]
	v_add_co_u32 v50, vcc_lo, s6, v46
	s_wait_alu 0xfffd
	s_delay_alu instid0(VALU_DEP_2)
	v_add_co_ci_u32_e64 v51, null, s7, v47, vcc_lo
	v_add_co_u32 v46, vcc_lo, s8, v46
	s_wait_alu 0xfffd
	v_add_co_ci_u32_e64 v47, null, s9, v47, vcc_lo
	global_load_b64 v[50:51], v[50:51], off
	v_mul_f64_e32 v[12:13], v[44:45], v[12:13]
	s_delay_alu instid0(VALU_DEP_1) | instskip(SKIP_1) | instid1(VALU_DEP_1)
	v_min_num_f64_e32 v[12:13], s[0:1], v[12:13]
	s_wait_loadcnt 0x0
	v_mul_f64_e32 v[12:13], v[50:51], v[12:13]
	global_store_b64 v[46:47], v[12:13], off
	v_mad_co_u64_u32 v[46:47], null, 0xffffff6e, s2, v[0:1]
	v_mov_b32_e32 v47, v1
	s_delay_alu instid0(VALU_DEP_2) | instskip(NEXT) | instid1(VALU_DEP_2)
	v_lshl_add_u32 v0, s2, 2, v46
	v_lshlrev_b64_e32 v[12:13], 3, v[46:47]
	s_delay_alu instid0(VALU_DEP_2) | instskip(NEXT) | instid1(VALU_DEP_2)
	v_lshlrev_b64_e32 v[46:47], 3, v[0:1]
	v_add_co_u32 v12, vcc_lo, s10, v12
	s_wait_alu 0xfffd
	s_delay_alu instid0(VALU_DEP_3) | instskip(NEXT) | instid1(VALU_DEP_3)
	v_add_co_ci_u32_e64 v13, null, s11, v13, vcc_lo
	v_add_co_u32 v46, vcc_lo, s10, v46
	s_wait_alu 0xfffd
	v_add_co_ci_u32_e64 v47, null, s11, v47, vcc_lo
	s_clause 0x1
	global_load_b64 v[50:51], v[12:13], off
	global_load_b64 v[46:47], v[46:47], off
	s_wait_loadcnt 0x0
	v_mul_f64_e32 v[50:51], v[50:51], v[46:47]
	s_delay_alu instid0(VALU_DEP_1) | instskip(NEXT) | instid1(VALU_DEP_1)
	v_div_scale_f64 v[52:53], null, v[50:51], v[50:51], 1.0
	v_rcp_f64_e32 v[54:55], v[52:53]
	s_delay_alu instid0(TRANS32_DEP_1) | instskip(NEXT) | instid1(VALU_DEP_1)
	v_fma_f64 v[56:57], -v[52:53], v[54:55], 1.0
	v_fma_f64 v[54:55], v[54:55], v[56:57], v[54:55]
	s_delay_alu instid0(VALU_DEP_1) | instskip(NEXT) | instid1(VALU_DEP_1)
	v_fma_f64 v[56:57], -v[52:53], v[54:55], 1.0
	v_fma_f64 v[54:55], v[54:55], v[56:57], v[54:55]
	v_div_scale_f64 v[56:57], vcc_lo, 1.0, v[50:51], 1.0
	s_delay_alu instid0(VALU_DEP_1) | instskip(NEXT) | instid1(VALU_DEP_1)
	v_mul_f64_e32 v[58:59], v[56:57], v[54:55]
	v_fma_f64 v[52:53], -v[52:53], v[58:59], v[56:57]
	s_wait_alu 0xfffd
	s_delay_alu instid0(VALU_DEP_1) | instskip(NEXT) | instid1(VALU_DEP_1)
	v_div_fmas_f64 v[52:53], v[52:53], v[54:55], v[58:59]
	v_div_fixup_f64 v[50:51], v[52:53], v[50:51], 1.0
	v_mad_co_u64_u32 v[52:53], null, 0x8f, s2, v[0:1]
	v_mov_b32_e32 v53, v1
	s_delay_alu instid0(VALU_DEP_1) | instskip(NEXT) | instid1(VALU_DEP_1)
	v_lshlrev_b64_e32 v[54:55], 3, v[52:53]
	v_add_co_u32 v56, vcc_lo, s6, v54
	s_wait_alu 0xfffd
	s_delay_alu instid0(VALU_DEP_2)
	v_add_co_ci_u32_e64 v57, null, s7, v55, vcc_lo
	v_add_co_u32 v54, vcc_lo, s8, v54
	s_wait_alu 0xfffd
	v_add_co_ci_u32_e64 v55, null, s9, v55, vcc_lo
	global_load_b64 v[56:57], v[56:57], off
	v_mul_f64_e32 v[50:51], v[44:45], v[50:51]
	s_delay_alu instid0(VALU_DEP_1) | instskip(SKIP_1) | instid1(VALU_DEP_1)
	v_min_num_f64_e32 v[50:51], s[0:1], v[50:51]
	s_wait_loadcnt 0x0
	v_mul_f64_e32 v[50:51], v[56:57], v[50:51]
	global_store_b64 v[54:55], v[50:51], off
	v_mad_co_u64_u32 v[50:51], null, 0xffffff6b, s2, v[52:53]
	v_mov_b32_e32 v51, v1
	s_delay_alu instid0(VALU_DEP_1) | instskip(NEXT) | instid1(VALU_DEP_1)
	v_lshlrev_b64_e32 v[51:52], 3, v[50:51]
	v_add_co_u32 v51, vcc_lo, s10, v51
	s_wait_alu 0xfffd
	s_delay_alu instid0(VALU_DEP_2) | instskip(SKIP_3) | instid1(VALU_DEP_1)
	v_add_co_ci_u32_e64 v52, null, s11, v52, vcc_lo
	global_load_b64 v[51:52], v[51:52], off
	s_wait_loadcnt 0x0
	v_mul_f64_e32 v[38:39], v[38:39], v[51:52]
	v_div_scale_f64 v[53:54], null, v[38:39], v[38:39], 1.0
	s_delay_alu instid0(VALU_DEP_1) | instskip(NEXT) | instid1(TRANS32_DEP_1)
	v_rcp_f64_e32 v[55:56], v[53:54]
	v_fma_f64 v[57:58], -v[53:54], v[55:56], 1.0
	s_delay_alu instid0(VALU_DEP_1) | instskip(NEXT) | instid1(VALU_DEP_1)
	v_fma_f64 v[55:56], v[55:56], v[57:58], v[55:56]
	v_fma_f64 v[57:58], -v[53:54], v[55:56], 1.0
	s_delay_alu instid0(VALU_DEP_1) | instskip(SKIP_1) | instid1(VALU_DEP_1)
	v_fma_f64 v[55:56], v[55:56], v[57:58], v[55:56]
	v_div_scale_f64 v[57:58], vcc_lo, 1.0, v[38:39], 1.0
	v_mul_f64_e32 v[59:60], v[57:58], v[55:56]
	s_delay_alu instid0(VALU_DEP_1) | instskip(SKIP_1) | instid1(VALU_DEP_1)
	v_fma_f64 v[53:54], -v[53:54], v[59:60], v[57:58]
	s_wait_alu 0xfffd
	v_div_fmas_f64 v[53:54], v[53:54], v[55:56], v[59:60]
	s_delay_alu instid0(VALU_DEP_1) | instskip(NEXT) | instid1(VALU_DEP_1)
	v_div_fixup_f64 v[38:39], v[53:54], v[38:39], 1.0
	v_mul_f64_e32 v[38:39], v[44:45], v[38:39]
	v_mad_co_u64_u32 v[44:45], null, 0x96, s2, v[50:51]
	v_mov_b32_e32 v45, v1
	s_delay_alu instid0(VALU_DEP_1) | instskip(SKIP_1) | instid1(VALU_DEP_2)
	v_lshlrev_b64_e32 v[53:54], 3, v[44:45]
	v_add_nc_u32_e32 v0, s2, v44
	v_add_co_u32 v55, vcc_lo, s6, v53
	s_wait_alu 0xfffd
	s_delay_alu instid0(VALU_DEP_3)
	v_add_co_ci_u32_e64 v56, null, s7, v54, vcc_lo
	v_add_co_u32 v53, vcc_lo, s8, v53
	s_wait_alu 0xfffd
	v_add_co_ci_u32_e64 v54, null, s9, v54, vcc_lo
	global_load_b64 v[55:56], v[55:56], off
	v_min_num_f64_e32 v[38:39], s[0:1], v[38:39]
	s_wait_loadcnt 0x0
	s_delay_alu instid0(VALU_DEP_1) | instskip(SKIP_3) | instid1(VALU_DEP_2)
	v_mul_f64_e32 v[38:39], v[55:56], v[38:39]
	global_store_b64 v[53:54], v[38:39], off
	v_div_scale_f64 v[53:54], null, v[18:19], v[18:19], 1.0
	v_mul_f64_e32 v[38:39], v[8:9], v[30:31]
	v_rcp_f64_e32 v[55:56], v[53:54]
	s_delay_alu instid0(TRANS32_DEP_1) | instskip(NEXT) | instid1(VALU_DEP_1)
	v_fma_f64 v[57:58], -v[53:54], v[55:56], 1.0
	v_fma_f64 v[55:56], v[55:56], v[57:58], v[55:56]
	s_delay_alu instid0(VALU_DEP_1) | instskip(NEXT) | instid1(VALU_DEP_1)
	v_fma_f64 v[57:58], -v[53:54], v[55:56], 1.0
	v_fma_f64 v[55:56], v[55:56], v[57:58], v[55:56]
	v_div_scale_f64 v[57:58], vcc_lo, 1.0, v[18:19], 1.0
	s_delay_alu instid0(VALU_DEP_1) | instskip(NEXT) | instid1(VALU_DEP_1)
	v_mul_f64_e32 v[59:60], v[57:58], v[55:56]
	v_fma_f64 v[53:54], -v[53:54], v[59:60], v[57:58]
	s_wait_alu 0xfffd
	s_delay_alu instid0(VALU_DEP_1) | instskip(NEXT) | instid1(VALU_DEP_1)
	v_div_fmas_f64 v[53:54], v[53:54], v[55:56], v[59:60]
	v_div_fixup_f64 v[18:19], v[53:54], v[18:19], 1.0
	s_delay_alu instid0(VALU_DEP_1) | instskip(SKIP_2) | instid1(VALU_DEP_2)
	v_mul_f64_e32 v[18:19], v[38:39], v[18:19]
	v_lshlrev_b64_e32 v[38:39], 3, v[0:1]
	v_add_nc_u32_e32 v0, s2, v0
	v_add_co_u32 v44, vcc_lo, s6, v38
	s_wait_alu 0xfffd
	s_delay_alu instid0(VALU_DEP_3)
	v_add_co_ci_u32_e64 v45, null, s7, v39, vcc_lo
	v_add_co_u32 v38, vcc_lo, s8, v38
	s_wait_alu 0xfffd
	v_add_co_ci_u32_e64 v39, null, s9, v39, vcc_lo
	global_load_b64 v[44:45], v[44:45], off
	v_min_num_f64_e32 v[18:19], s[0:1], v[18:19]
	s_wait_loadcnt 0x0
	s_delay_alu instid0(VALU_DEP_1) | instskip(SKIP_3) | instid1(VALU_DEP_1)
	v_mul_f64_e32 v[18:19], v[18:19], v[44:45]
	global_store_b64 v[38:39], v[18:19], off
	v_mul_f64_e32 v[18:19], v[22:23], v[30:31]
	v_mul_f64_e32 v[22:23], v[24:25], v[48:49]
	v_div_scale_f64 v[38:39], null, v[22:23], v[22:23], 1.0
	s_delay_alu instid0(VALU_DEP_1) | instskip(NEXT) | instid1(TRANS32_DEP_1)
	v_rcp_f64_e32 v[44:45], v[38:39]
	v_fma_f64 v[48:49], -v[38:39], v[44:45], 1.0
	s_delay_alu instid0(VALU_DEP_1) | instskip(NEXT) | instid1(VALU_DEP_1)
	v_fma_f64 v[44:45], v[44:45], v[48:49], v[44:45]
	v_fma_f64 v[48:49], -v[38:39], v[44:45], 1.0
	s_delay_alu instid0(VALU_DEP_1) | instskip(SKIP_1) | instid1(VALU_DEP_1)
	v_fma_f64 v[44:45], v[44:45], v[48:49], v[44:45]
	v_div_scale_f64 v[48:49], vcc_lo, 1.0, v[22:23], 1.0
	v_mul_f64_e32 v[53:54], v[48:49], v[44:45]
	s_delay_alu instid0(VALU_DEP_1) | instskip(SKIP_1) | instid1(VALU_DEP_1)
	v_fma_f64 v[38:39], -v[38:39], v[53:54], v[48:49]
	s_wait_alu 0xfffd
	v_div_fmas_f64 v[38:39], v[38:39], v[44:45], v[53:54]
	s_delay_alu instid0(VALU_DEP_1) | instskip(NEXT) | instid1(VALU_DEP_1)
	v_div_fixup_f64 v[22:23], v[38:39], v[22:23], 1.0
	v_mul_f64_e32 v[18:19], v[18:19], v[22:23]
	v_lshlrev_b64_e32 v[22:23], 3, v[0:1]
	s_delay_alu instid0(VALU_DEP_1) | instskip(SKIP_1) | instid1(VALU_DEP_2)
	v_add_co_u32 v38, vcc_lo, s6, v22
	s_wait_alu 0xfffd
	v_add_co_ci_u32_e64 v39, null, s7, v23, vcc_lo
	v_add_co_u32 v22, vcc_lo, s8, v22
	s_wait_alu 0xfffd
	v_add_co_ci_u32_e64 v23, null, s9, v23, vcc_lo
	global_load_b64 v[38:39], v[38:39], off
	v_min_num_f64_e32 v[18:19], s[0:1], v[18:19]
	s_wait_loadcnt 0x0
	s_delay_alu instid0(VALU_DEP_1) | instskip(SKIP_3) | instid1(VALU_DEP_1)
	v_mul_f64_e32 v[18:19], v[18:19], v[38:39]
	global_store_b64 v[22:23], v[18:19], off
	v_mul_f64_e32 v[22:23], v[24:25], v[30:31]
	v_mad_co_u64_u32 v[24:25], null, 0xffffff7a, s2, v[0:1]
	v_dual_mov_b32 v25, v1 :: v_dual_add_nc_u32 v0, s13, v24
	s_delay_alu instid0(VALU_DEP_1) | instskip(NEXT) | instid1(VALU_DEP_1)
	v_lshlrev_b64_e32 v[18:19], 3, v[24:25]
	v_add_co_u32 v18, vcc_lo, s10, v18
	s_wait_alu 0xfffd
	s_delay_alu instid0(VALU_DEP_2) | instskip(SKIP_3) | instid1(VALU_DEP_1)
	v_add_co_ci_u32_e64 v19, null, s11, v19, vcc_lo
	global_load_b64 v[38:39], v[18:19], off
	s_wait_loadcnt 0x0
	v_mul_f64_e32 v[8:9], v[8:9], v[38:39]
	v_div_scale_f64 v[38:39], null, v[8:9], v[8:9], 1.0
	s_delay_alu instid0(VALU_DEP_1) | instskip(NEXT) | instid1(TRANS32_DEP_1)
	v_rcp_f64_e32 v[44:45], v[38:39]
	v_fma_f64 v[48:49], -v[38:39], v[44:45], 1.0
	s_delay_alu instid0(VALU_DEP_1) | instskip(NEXT) | instid1(VALU_DEP_1)
	v_fma_f64 v[44:45], v[44:45], v[48:49], v[44:45]
	v_fma_f64 v[48:49], -v[38:39], v[44:45], 1.0
	s_delay_alu instid0(VALU_DEP_1) | instskip(SKIP_1) | instid1(VALU_DEP_1)
	v_fma_f64 v[44:45], v[44:45], v[48:49], v[44:45]
	v_div_scale_f64 v[48:49], vcc_lo, 1.0, v[8:9], 1.0
	v_mul_f64_e32 v[53:54], v[48:49], v[44:45]
	s_delay_alu instid0(VALU_DEP_1) | instskip(SKIP_1) | instid1(VALU_DEP_1)
	v_fma_f64 v[38:39], -v[38:39], v[53:54], v[48:49]
	s_wait_alu 0xfffd
	v_div_fmas_f64 v[38:39], v[38:39], v[44:45], v[53:54]
	s_delay_alu instid0(VALU_DEP_1) | instskip(NEXT) | instid1(VALU_DEP_1)
	v_div_fixup_f64 v[8:9], v[38:39], v[8:9], 1.0
	v_mul_f64_e32 v[8:9], v[22:23], v[8:9]
	v_lshlrev_b64_e32 v[22:23], 3, v[0:1]
	v_add_nc_u32_e32 v0, s2, v0
	s_delay_alu instid0(VALU_DEP_2) | instskip(SKIP_1) | instid1(VALU_DEP_3)
	v_add_co_u32 v24, vcc_lo, s6, v22
	s_wait_alu 0xfffd
	v_add_co_ci_u32_e64 v25, null, s7, v23, vcc_lo
	v_add_co_u32 v22, vcc_lo, s8, v22
	s_wait_alu 0xfffd
	v_add_co_ci_u32_e64 v23, null, s9, v23, vcc_lo
	global_load_b64 v[24:25], v[24:25], off
	v_min_num_f64_e32 v[8:9], s[0:1], v[8:9]
	s_wait_loadcnt 0x0
	s_delay_alu instid0(VALU_DEP_1) | instskip(SKIP_3) | instid1(VALU_DEP_2)
	v_mul_f64_e32 v[8:9], v[24:25], v[8:9]
	global_store_b64 v[22:23], v[8:9], off
	v_mul_f64_e32 v[22:23], v[26:27], v[42:43]
	v_mul_f64_e32 v[8:9], v[30:31], v[46:47]
	v_div_scale_f64 v[24:25], null, v[22:23], v[22:23], 1.0
	s_delay_alu instid0(VALU_DEP_1) | instskip(NEXT) | instid1(TRANS32_DEP_1)
	v_rcp_f64_e32 v[26:27], v[24:25]
	v_fma_f64 v[38:39], -v[24:25], v[26:27], 1.0
	s_delay_alu instid0(VALU_DEP_1) | instskip(NEXT) | instid1(VALU_DEP_1)
	v_fma_f64 v[26:27], v[26:27], v[38:39], v[26:27]
	v_fma_f64 v[38:39], -v[24:25], v[26:27], 1.0
	s_delay_alu instid0(VALU_DEP_1) | instskip(SKIP_1) | instid1(VALU_DEP_1)
	v_fma_f64 v[26:27], v[26:27], v[38:39], v[26:27]
	v_div_scale_f64 v[38:39], vcc_lo, 1.0, v[22:23], 1.0
	v_mul_f64_e32 v[42:43], v[38:39], v[26:27]
	s_delay_alu instid0(VALU_DEP_1) | instskip(SKIP_1) | instid1(VALU_DEP_1)
	v_fma_f64 v[24:25], -v[24:25], v[42:43], v[38:39]
	s_wait_alu 0xfffd
	v_div_fmas_f64 v[24:25], v[24:25], v[26:27], v[42:43]
	s_delay_alu instid0(VALU_DEP_1) | instskip(NEXT) | instid1(VALU_DEP_1)
	v_div_fixup_f64 v[22:23], v[24:25], v[22:23], 1.0
	v_mul_f64_e32 v[8:9], v[22:23], v[8:9]
	v_lshlrev_b64_e32 v[22:23], 3, v[0:1]
	v_add_nc_u32_e32 v0, s12, v0
	s_delay_alu instid0(VALU_DEP_2) | instskip(SKIP_1) | instid1(VALU_DEP_3)
	v_add_co_u32 v24, vcc_lo, s6, v22
	s_wait_alu 0xfffd
	v_add_co_ci_u32_e64 v25, null, s7, v23, vcc_lo
	v_add_co_u32 v22, vcc_lo, s8, v22
	s_wait_alu 0xfffd
	v_add_co_ci_u32_e64 v23, null, s9, v23, vcc_lo
	global_load_b64 v[24:25], v[24:25], off
	v_min_num_f64_e32 v[8:9], s[0:1], v[8:9]
	s_wait_loadcnt 0x0
	s_delay_alu instid0(VALU_DEP_1) | instskip(SKIP_4) | instid1(VALU_DEP_3)
	v_mul_f64_e32 v[8:9], v[8:9], v[24:25]
	global_store_b64 v[22:23], v[8:9], off
	v_lshlrev_b64_e32 v[22:23], 3, v[0:1]
	v_mul_f64_e32 v[8:9], v[30:31], v[51:52]
	v_add_nc_u32_e32 v0, s14, v0
	v_add_co_u32 v22, vcc_lo, s10, v22
	s_wait_alu 0xfffd
	s_delay_alu instid0(VALU_DEP_4) | instskip(SKIP_3) | instid1(VALU_DEP_1)
	v_add_co_ci_u32_e64 v23, null, s11, v23, vcc_lo
	global_load_b64 v[22:23], v[22:23], off
	s_wait_loadcnt 0x0
	v_mul_f64_e32 v[24:25], v[40:41], v[22:23]
	v_div_scale_f64 v[26:27], null, v[24:25], v[24:25], 1.0
	s_delay_alu instid0(VALU_DEP_1) | instskip(NEXT) | instid1(TRANS32_DEP_1)
	v_rcp_f64_e32 v[38:39], v[26:27]
	v_fma_f64 v[40:41], -v[26:27], v[38:39], 1.0
	s_delay_alu instid0(VALU_DEP_1) | instskip(NEXT) | instid1(VALU_DEP_1)
	v_fma_f64 v[38:39], v[38:39], v[40:41], v[38:39]
	v_fma_f64 v[40:41], -v[26:27], v[38:39], 1.0
	s_delay_alu instid0(VALU_DEP_1) | instskip(SKIP_1) | instid1(VALU_DEP_1)
	v_fma_f64 v[38:39], v[38:39], v[40:41], v[38:39]
	v_div_scale_f64 v[40:41], vcc_lo, 1.0, v[24:25], 1.0
	v_mul_f64_e32 v[42:43], v[40:41], v[38:39]
	s_delay_alu instid0(VALU_DEP_1) | instskip(SKIP_1) | instid1(VALU_DEP_1)
	v_fma_f64 v[26:27], -v[26:27], v[42:43], v[40:41]
	s_wait_alu 0xfffd
	v_div_fmas_f64 v[26:27], v[26:27], v[38:39], v[42:43]
	s_delay_alu instid0(VALU_DEP_1) | instskip(NEXT) | instid1(VALU_DEP_1)
	v_div_fixup_f64 v[24:25], v[26:27], v[24:25], 1.0
	v_mul_f64_e32 v[8:9], v[8:9], v[24:25]
	v_lshlrev_b64_e32 v[24:25], 3, v[0:1]
	s_delay_alu instid0(VALU_DEP_1) | instskip(SKIP_1) | instid1(VALU_DEP_2)
	v_add_co_u32 v26, vcc_lo, s6, v24
	s_wait_alu 0xfffd
	v_add_co_ci_u32_e64 v27, null, s7, v25, vcc_lo
	v_add_co_u32 v24, vcc_lo, s8, v24
	s_wait_alu 0xfffd
	v_add_co_ci_u32_e64 v25, null, s9, v25, vcc_lo
	global_load_b64 v[26:27], v[26:27], off
	v_min_num_f64_e32 v[8:9], s[0:1], v[8:9]
	s_wait_loadcnt 0x0
	s_delay_alu instid0(VALU_DEP_1) | instskip(SKIP_2) | instid1(VALU_DEP_1)
	v_mul_f64_e32 v[8:9], v[26:27], v[8:9]
	global_store_b64 v[24:25], v[8:9], off
	v_mad_co_u64_u32 v[8:9], null, 0xffffff66, s2, v[0:1]
	v_dual_mov_b32 v9, v1 :: v_dual_add_nc_u32 v0, s4, v8
	s_delay_alu instid0(VALU_DEP_1) | instskip(NEXT) | instid1(VALU_DEP_2)
	v_lshlrev_b64_e32 v[24:25], 3, v[8:9]
	v_lshlrev_b64_e32 v[8:9], 3, v[0:1]
	s_delay_alu instid0(VALU_DEP_2) | instskip(SKIP_1) | instid1(VALU_DEP_3)
	v_add_co_u32 v24, vcc_lo, s10, v24
	s_wait_alu 0xfffd
	v_add_co_ci_u32_e64 v25, null, s11, v25, vcc_lo
	s_delay_alu instid0(VALU_DEP_3)
	v_add_co_u32 v8, vcc_lo, s10, v8
	s_wait_alu 0xfffd
	v_add_co_ci_u32_e64 v9, null, s11, v9, vcc_lo
	s_clause 0x1
	global_load_b64 v[24:25], v[24:25], off
	global_load_b64 v[26:27], v[8:9], off
	s_wait_loadcnt 0x1
	v_mul_f64_e32 v[24:25], v[30:31], v[24:25]
	s_wait_loadcnt 0x0
	v_mul_f64_e32 v[8:9], v[32:33], v[26:27]
	s_delay_alu instid0(VALU_DEP_1) | instskip(NEXT) | instid1(VALU_DEP_1)
	v_div_scale_f64 v[30:31], null, v[8:9], v[8:9], 1.0
	v_rcp_f64_e32 v[32:33], v[30:31]
	s_delay_alu instid0(TRANS32_DEP_1) | instskip(NEXT) | instid1(VALU_DEP_1)
	v_fma_f64 v[38:39], -v[30:31], v[32:33], 1.0
	v_fma_f64 v[32:33], v[32:33], v[38:39], v[32:33]
	s_delay_alu instid0(VALU_DEP_1) | instskip(NEXT) | instid1(VALU_DEP_1)
	v_fma_f64 v[38:39], -v[30:31], v[32:33], 1.0
	v_fma_f64 v[32:33], v[32:33], v[38:39], v[32:33]
	v_div_scale_f64 v[38:39], vcc_lo, 1.0, v[8:9], 1.0
	s_delay_alu instid0(VALU_DEP_1) | instskip(NEXT) | instid1(VALU_DEP_1)
	v_mul_f64_e32 v[40:41], v[38:39], v[32:33]
	v_fma_f64 v[30:31], -v[30:31], v[40:41], v[38:39]
	s_wait_alu 0xfffd
	s_delay_alu instid0(VALU_DEP_1) | instskip(NEXT) | instid1(VALU_DEP_1)
	v_div_fmas_f64 v[30:31], v[30:31], v[32:33], v[40:41]
	v_div_fixup_f64 v[8:9], v[30:31], v[8:9], 1.0
	v_mad_co_u64_u32 v[30:31], null, 0x99, s2, v[0:1]
	v_mov_b32_e32 v31, v1
	s_delay_alu instid0(VALU_DEP_1) | instskip(SKIP_1) | instid1(VALU_DEP_2)
	v_lshlrev_b64_e32 v[31:32], 3, v[30:31]
	v_add_nc_u32_e32 v0, s2, v30
	v_add_co_u32 v38, vcc_lo, s6, v31
	s_wait_alu 0xfffd
	s_delay_alu instid0(VALU_DEP_3)
	v_add_co_ci_u32_e64 v39, null, s7, v32, vcc_lo
	v_add_co_u32 v31, vcc_lo, s8, v31
	s_wait_alu 0xfffd
	v_add_co_ci_u32_e64 v32, null, s9, v32, vcc_lo
	global_load_b64 v[38:39], v[38:39], off
	v_mul_f64_e32 v[8:9], v[24:25], v[8:9]
	s_delay_alu instid0(VALU_DEP_1) | instskip(SKIP_1) | instid1(VALU_DEP_1)
	v_min_num_f64_e32 v[8:9], s[0:1], v[8:9]
	s_wait_loadcnt 0x0
	v_mul_f64_e32 v[8:9], v[38:39], v[8:9]
	global_store_b64 v[31:32], v[8:9], off
	global_load_b64 v[31:32], v[34:35], off
	s_wait_loadcnt 0x0
	v_mul_f64_e32 v[8:9], v[31:32], v[22:23]
	s_delay_alu instid0(VALU_DEP_1) | instskip(NEXT) | instid1(VALU_DEP_1)
	v_div_scale_f64 v[22:23], null, v[8:9], v[8:9], 1.0
	v_rcp_f64_e32 v[33:34], v[22:23]
	s_delay_alu instid0(TRANS32_DEP_1) | instskip(NEXT) | instid1(VALU_DEP_1)
	v_fma_f64 v[38:39], -v[22:23], v[33:34], 1.0
	v_fma_f64 v[33:34], v[33:34], v[38:39], v[33:34]
	s_delay_alu instid0(VALU_DEP_1) | instskip(NEXT) | instid1(VALU_DEP_1)
	v_fma_f64 v[38:39], -v[22:23], v[33:34], 1.0
	v_fma_f64 v[33:34], v[33:34], v[38:39], v[33:34]
	v_div_scale_f64 v[38:39], vcc_lo, 1.0, v[8:9], 1.0
	s_delay_alu instid0(VALU_DEP_1) | instskip(NEXT) | instid1(VALU_DEP_1)
	v_mul_f64_e32 v[40:41], v[38:39], v[33:34]
	v_fma_f64 v[22:23], -v[22:23], v[40:41], v[38:39]
	s_wait_alu 0xfffd
	s_delay_alu instid0(VALU_DEP_1) | instskip(NEXT) | instid1(VALU_DEP_1)
	v_div_fmas_f64 v[22:23], v[22:23], v[33:34], v[40:41]
	v_div_fixup_f64 v[8:9], v[22:23], v[8:9], 1.0
	v_lshlrev_b64_e32 v[22:23], 3, v[0:1]
	v_add_nc_u32_e32 v0, s2, v0
	s_delay_alu instid0(VALU_DEP_3) | instskip(NEXT) | instid1(VALU_DEP_3)
	v_mul_f64_e32 v[8:9], v[24:25], v[8:9]
	v_add_co_u32 v24, vcc_lo, s6, v22
	s_wait_alu 0xfffd
	s_delay_alu instid0(VALU_DEP_4)
	v_add_co_ci_u32_e64 v25, null, s7, v23, vcc_lo
	v_add_co_u32 v22, vcc_lo, s8, v22
	s_wait_alu 0xfffd
	v_add_co_ci_u32_e64 v23, null, s9, v23, vcc_lo
	global_load_b64 v[24:25], v[24:25], off
	v_min_num_f64_e32 v[8:9], s[0:1], v[8:9]
	s_wait_loadcnt 0x0
	s_delay_alu instid0(VALU_DEP_1)
	v_mul_f64_e32 v[8:9], v[24:25], v[8:9]
	global_store_b64 v[22:23], v[8:9], off
	s_clause 0x6
	global_load_b64 v[22:23], v[12:13], off
	global_load_b64 v[8:9], v[20:21], off
	global_load_b64 v[20:21], v[36:37], off
	global_load_b64 v[16:17], v[16:17], off
	global_load_b64 v[14:15], v[14:15], off
	global_load_b64 v[4:5], v[4:5], off
	global_load_b64 v[2:3], v[2:3], off
	s_wait_loadcnt 0x5
	v_mul_f64_e32 v[12:13], v[22:23], v[8:9]
	s_wait_loadcnt 0x4
	v_mul_f64_e32 v[20:21], v[26:27], v[20:21]
	;; [unrolled: 2-line block ×5, first 2 shown]
	s_delay_alu instid0(VALU_DEP_4) | instskip(NEXT) | instid1(VALU_DEP_1)
	v_div_scale_f64 v[24:25], null, v[20:21], v[20:21], 1.0
	v_rcp_f64_e32 v[26:27], v[24:25]
	s_delay_alu instid0(TRANS32_DEP_1) | instskip(NEXT) | instid1(VALU_DEP_1)
	v_fma_f64 v[33:34], -v[24:25], v[26:27], 1.0
	v_fma_f64 v[26:27], v[26:27], v[33:34], v[26:27]
	s_delay_alu instid0(VALU_DEP_1) | instskip(NEXT) | instid1(VALU_DEP_1)
	v_fma_f64 v[33:34], -v[24:25], v[26:27], 1.0
	v_fma_f64 v[26:27], v[26:27], v[33:34], v[26:27]
	v_div_scale_f64 v[33:34], vcc_lo, 1.0, v[20:21], 1.0
	s_delay_alu instid0(VALU_DEP_1) | instskip(NEXT) | instid1(VALU_DEP_1)
	v_mul_f64_e32 v[35:36], v[33:34], v[26:27]
	v_fma_f64 v[24:25], -v[24:25], v[35:36], v[33:34]
	s_wait_alu 0xfffd
	s_delay_alu instid0(VALU_DEP_1) | instskip(NEXT) | instid1(VALU_DEP_1)
	v_div_fmas_f64 v[24:25], v[24:25], v[26:27], v[35:36]
	v_div_fixup_f64 v[20:21], v[24:25], v[20:21], 1.0
	v_lshlrev_b64_e32 v[24:25], 3, v[0:1]
	s_delay_alu instid0(VALU_DEP_1) | instskip(SKIP_1) | instid1(VALU_DEP_2)
	v_add_co_u32 v26, vcc_lo, s6, v24
	s_wait_alu 0xfffd
	v_add_co_ci_u32_e64 v27, null, s7, v25, vcc_lo
	v_add_co_u32 v24, vcc_lo, s8, v24
	s_wait_alu 0xfffd
	v_add_co_ci_u32_e64 v25, null, s9, v25, vcc_lo
	global_load_b64 v[26:27], v[26:27], off
	v_mul_f64_e32 v[20:21], v[12:13], v[20:21]
	v_mul_f64_e32 v[12:13], v[6:7], v[12:13]
	s_delay_alu instid0(VALU_DEP_2) | instskip(SKIP_1) | instid1(VALU_DEP_1)
	v_min_num_f64_e32 v[20:21], s[0:1], v[20:21]
	s_wait_loadcnt 0x0
	v_mul_f64_e32 v[20:21], v[26:27], v[20:21]
	global_store_b64 v[24:25], v[20:21], off
	v_mad_co_u64_u32 v[20:21], null, 0xffffff77, s2, v[0:1]
	v_mov_b32_e32 v21, v1
	s_delay_alu instid0(VALU_DEP_1) | instskip(SKIP_2) | instid1(VALU_DEP_3)
	v_lshlrev_b64_e32 v[24:25], 3, v[20:21]
	v_mad_co_u64_u32 v[20:21], null, 0x8a, s2, v[20:21]
	v_mov_b32_e32 v21, v1
	v_add_co_u32 v24, vcc_lo, s10, v24
	s_wait_alu 0xfffd
	s_delay_alu instid0(VALU_DEP_4) | instskip(NEXT) | instid1(VALU_DEP_4)
	v_add_co_ci_u32_e64 v25, null, s11, v25, vcc_lo
	v_add_nc_u32_e32 v0, s3, v20
	global_load_b64 v[24:25], v[24:25], off
	s_wait_loadcnt 0x0
	v_div_scale_f64 v[26:27], null, v[24:25], v[24:25], 1.0
	s_delay_alu instid0(VALU_DEP_1) | instskip(NEXT) | instid1(TRANS32_DEP_1)
	v_rcp_f64_e32 v[33:34], v[26:27]
	v_fma_f64 v[35:36], -v[26:27], v[33:34], 1.0
	s_delay_alu instid0(VALU_DEP_1) | instskip(NEXT) | instid1(VALU_DEP_1)
	v_fma_f64 v[33:34], v[33:34], v[35:36], v[33:34]
	v_fma_f64 v[35:36], -v[26:27], v[33:34], 1.0
	s_delay_alu instid0(VALU_DEP_1) | instskip(SKIP_1) | instid1(VALU_DEP_1)
	v_fma_f64 v[33:34], v[33:34], v[35:36], v[33:34]
	v_div_scale_f64 v[35:36], vcc_lo, 1.0, v[24:25], 1.0
	v_mul_f64_e32 v[37:38], v[35:36], v[33:34]
	s_delay_alu instid0(VALU_DEP_1) | instskip(SKIP_1) | instid1(VALU_DEP_1)
	v_fma_f64 v[26:27], -v[26:27], v[37:38], v[35:36]
	s_wait_alu 0xfffd
	v_div_fmas_f64 v[26:27], v[26:27], v[33:34], v[37:38]
	s_delay_alu instid0(VALU_DEP_1) | instskip(NEXT) | instid1(VALU_DEP_1)
	v_div_fixup_f64 v[24:25], v[26:27], v[24:25], 1.0
	v_mul_f64_e32 v[12:13], v[12:13], v[24:25]
	v_lshlrev_b64_e32 v[24:25], 3, v[20:21]
	s_delay_alu instid0(VALU_DEP_1) | instskip(SKIP_1) | instid1(VALU_DEP_2)
	v_add_co_u32 v26, vcc_lo, s6, v24
	s_wait_alu 0xfffd
	v_add_co_ci_u32_e64 v27, null, s7, v25, vcc_lo
	v_add_co_u32 v24, vcc_lo, s8, v24
	s_wait_alu 0xfffd
	v_add_co_ci_u32_e64 v25, null, s9, v25, vcc_lo
	global_load_b64 v[26:27], v[26:27], off
	v_min_num_f64_e32 v[12:13], s[0:1], v[12:13]
	s_wait_loadcnt 0x0
	s_delay_alu instid0(VALU_DEP_1)
	v_mul_f64_e32 v[12:13], v[26:27], v[12:13]
	global_store_b64 v[24:25], v[12:13], off
	global_load_b64 v[12:13], v[28:29], off
	s_wait_loadcnt 0x0
	v_mul_f64_e32 v[24:25], v[31:32], v[12:13]
	v_mul_f64_e32 v[4:5], v[4:5], v[12:13]
	;; [unrolled: 1-line block ×3, first 2 shown]
	s_delay_alu instid0(VALU_DEP_3) | instskip(SKIP_2) | instid1(VALU_DEP_2)
	v_mul_f64_e32 v[26:27], v[6:7], v[24:25]
	v_lshlrev_b64_e32 v[6:7], 3, v[0:1]
	v_add_nc_u32_e32 v0, s5, v0
	v_add_co_u32 v6, vcc_lo, s10, v6
	s_wait_alu 0xfffd
	s_delay_alu instid0(VALU_DEP_3) | instskip(SKIP_3) | instid1(VALU_DEP_1)
	v_add_co_ci_u32_e64 v7, null, s11, v7, vcc_lo
	global_load_b64 v[6:7], v[6:7], off
	s_wait_loadcnt 0x0
	v_div_scale_f64 v[20:21], null, v[6:7], v[6:7], 1.0
	v_rcp_f64_e32 v[28:29], v[20:21]
	s_delay_alu instid0(TRANS32_DEP_1) | instskip(NEXT) | instid1(VALU_DEP_1)
	v_fma_f64 v[33:34], -v[20:21], v[28:29], 1.0
	v_fma_f64 v[28:29], v[28:29], v[33:34], v[28:29]
	s_delay_alu instid0(VALU_DEP_1) | instskip(NEXT) | instid1(VALU_DEP_1)
	v_fma_f64 v[33:34], -v[20:21], v[28:29], 1.0
	v_fma_f64 v[28:29], v[28:29], v[33:34], v[28:29]
	v_div_scale_f64 v[33:34], vcc_lo, 1.0, v[6:7], 1.0
	s_delay_alu instid0(VALU_DEP_1) | instskip(NEXT) | instid1(VALU_DEP_1)
	v_mul_f64_e32 v[35:36], v[33:34], v[28:29]
	v_fma_f64 v[20:21], -v[20:21], v[35:36], v[33:34]
	s_wait_alu 0xfffd
	s_delay_alu instid0(VALU_DEP_1) | instskip(NEXT) | instid1(VALU_DEP_1)
	v_div_fmas_f64 v[20:21], v[20:21], v[28:29], v[35:36]
	v_div_fixup_f64 v[20:21], v[20:21], v[6:7], 1.0
	s_delay_alu instid0(VALU_DEP_1) | instskip(SKIP_2) | instid1(VALU_DEP_2)
	v_mul_f64_e32 v[20:21], v[26:27], v[20:21]
	v_lshlrev_b64_e32 v[26:27], 3, v[0:1]
	v_add_nc_u32_e32 v0, s2, v0
	v_add_co_u32 v28, vcc_lo, s6, v26
	s_wait_alu 0xfffd
	s_delay_alu instid0(VALU_DEP_3)
	v_add_co_ci_u32_e64 v29, null, s7, v27, vcc_lo
	v_add_co_u32 v26, vcc_lo, s8, v26
	s_wait_alu 0xfffd
	v_add_co_ci_u32_e64 v27, null, s9, v27, vcc_lo
	global_load_b64 v[28:29], v[28:29], off
	v_min_num_f64_e32 v[20:21], s[0:1], v[20:21]
	s_wait_loadcnt 0x0
	s_delay_alu instid0(VALU_DEP_1) | instskip(SKIP_2) | instid1(VALU_DEP_1)
	v_mul_f64_e32 v[20:21], v[28:29], v[20:21]
	global_store_b64 v[26:27], v[20:21], off
	v_div_scale_f64 v[20:21], null, v[16:17], v[16:17], 1.0
	v_rcp_f64_e32 v[26:27], v[20:21]
	s_delay_alu instid0(TRANS32_DEP_1) | instskip(NEXT) | instid1(VALU_DEP_1)
	v_fma_f64 v[28:29], -v[20:21], v[26:27], 1.0
	v_fma_f64 v[26:27], v[26:27], v[28:29], v[26:27]
	s_delay_alu instid0(VALU_DEP_1) | instskip(NEXT) | instid1(VALU_DEP_1)
	v_fma_f64 v[28:29], -v[20:21], v[26:27], 1.0
	v_fma_f64 v[26:27], v[26:27], v[28:29], v[26:27]
	v_div_scale_f64 v[28:29], vcc_lo, 1.0, v[16:17], 1.0
	s_delay_alu instid0(VALU_DEP_1) | instskip(NEXT) | instid1(VALU_DEP_1)
	v_mul_f64_e32 v[33:34], v[28:29], v[26:27]
	v_fma_f64 v[20:21], -v[20:21], v[33:34], v[28:29]
	s_wait_alu 0xfffd
	s_delay_alu instid0(VALU_DEP_1) | instskip(NEXT) | instid1(VALU_DEP_1)
	v_div_fmas_f64 v[20:21], v[20:21], v[26:27], v[33:34]
	v_div_fixup_f64 v[16:17], v[20:21], v[16:17], 1.0
	v_lshlrev_b64_e32 v[20:21], 3, v[0:1]
	v_add_nc_u32_e32 v0, s2, v0
	s_delay_alu instid0(VALU_DEP_3) | instskip(NEXT) | instid1(VALU_DEP_3)
	v_mul_f64_e32 v[16:17], v[24:25], v[16:17]
	v_add_co_u32 v24, vcc_lo, s6, v20
	s_wait_alu 0xfffd
	s_delay_alu instid0(VALU_DEP_4)
	v_add_co_ci_u32_e64 v25, null, s7, v21, vcc_lo
	v_add_co_u32 v20, vcc_lo, s8, v20
	s_wait_alu 0xfffd
	v_add_co_ci_u32_e64 v21, null, s9, v21, vcc_lo
	global_load_b64 v[24:25], v[24:25], off
	v_min_num_f64_e32 v[16:17], s[0:1], v[16:17]
	s_wait_loadcnt 0x0
	s_delay_alu instid0(VALU_DEP_1) | instskip(SKIP_2) | instid1(VALU_DEP_1)
	v_mul_f64_e32 v[16:17], v[24:25], v[16:17]
	global_store_b64 v[20:21], v[16:17], off
	v_div_scale_f64 v[16:17], null, v[14:15], v[14:15], 1.0
	v_rcp_f64_e32 v[20:21], v[16:17]
	s_delay_alu instid0(TRANS32_DEP_1) | instskip(NEXT) | instid1(VALU_DEP_1)
	v_fma_f64 v[22:23], -v[16:17], v[20:21], 1.0
	v_fma_f64 v[20:21], v[20:21], v[22:23], v[20:21]
	s_delay_alu instid0(VALU_DEP_1) | instskip(NEXT) | instid1(VALU_DEP_1)
	v_fma_f64 v[22:23], -v[16:17], v[20:21], 1.0
	v_fma_f64 v[20:21], v[20:21], v[22:23], v[20:21]
	v_div_scale_f64 v[22:23], vcc_lo, 1.0, v[14:15], 1.0
	s_delay_alu instid0(VALU_DEP_1) | instskip(NEXT) | instid1(VALU_DEP_1)
	v_mul_f64_e32 v[24:25], v[22:23], v[20:21]
	v_fma_f64 v[16:17], -v[16:17], v[24:25], v[22:23]
	s_wait_alu 0xfffd
	s_delay_alu instid0(VALU_DEP_1) | instskip(NEXT) | instid1(VALU_DEP_1)
	v_div_fmas_f64 v[16:17], v[16:17], v[20:21], v[24:25]
	v_div_fixup_f64 v[14:15], v[16:17], v[14:15], 1.0
	v_lshlrev_b64_e32 v[16:17], 3, v[0:1]
	v_add_nc_u32_e32 v0, s2, v0
	s_delay_alu instid0(VALU_DEP_2) | instskip(SKIP_1) | instid1(VALU_DEP_3)
	v_add_co_u32 v20, vcc_lo, s6, v16
	s_wait_alu 0xfffd
	v_add_co_ci_u32_e64 v21, null, s7, v17, vcc_lo
	v_add_co_u32 v16, vcc_lo, s8, v16
	s_wait_alu 0xfffd
	v_add_co_ci_u32_e64 v17, null, s9, v17, vcc_lo
	global_load_b64 v[20:21], v[20:21], off
	v_mul_f64_e32 v[14:15], v[4:5], v[14:15]
	s_delay_alu instid0(VALU_DEP_1) | instskip(SKIP_1) | instid1(VALU_DEP_1)
	v_min_num_f64_e32 v[14:15], s[0:1], v[14:15]
	s_wait_loadcnt 0x0
	v_mul_f64_e32 v[14:15], v[20:21], v[14:15]
	global_store_b64 v[16:17], v[14:15], off
	global_load_b64 v[14:15], v[18:19], off
	s_wait_loadcnt 0x0
	v_mul_f64_e32 v[14:15], v[31:32], v[14:15]
	s_delay_alu instid0(VALU_DEP_1) | instskip(NEXT) | instid1(VALU_DEP_1)
	v_div_scale_f64 v[16:17], null, v[14:15], v[14:15], 1.0
	v_rcp_f64_e32 v[18:19], v[16:17]
	s_delay_alu instid0(TRANS32_DEP_1) | instskip(NEXT) | instid1(VALU_DEP_1)
	v_fma_f64 v[20:21], -v[16:17], v[18:19], 1.0
	v_fma_f64 v[18:19], v[18:19], v[20:21], v[18:19]
	s_delay_alu instid0(VALU_DEP_1) | instskip(NEXT) | instid1(VALU_DEP_1)
	v_fma_f64 v[20:21], -v[16:17], v[18:19], 1.0
	v_fma_f64 v[18:19], v[18:19], v[20:21], v[18:19]
	v_div_scale_f64 v[20:21], vcc_lo, 1.0, v[14:15], 1.0
	s_delay_alu instid0(VALU_DEP_1) | instskip(NEXT) | instid1(VALU_DEP_1)
	v_mul_f64_e32 v[22:23], v[20:21], v[18:19]
	v_fma_f64 v[16:17], -v[16:17], v[22:23], v[20:21]
	s_wait_alu 0xfffd
	s_delay_alu instid0(VALU_DEP_1) | instskip(NEXT) | instid1(VALU_DEP_1)
	v_div_fmas_f64 v[16:17], v[16:17], v[18:19], v[22:23]
	v_div_fixup_f64 v[14:15], v[16:17], v[14:15], 1.0
	s_delay_alu instid0(VALU_DEP_1) | instskip(SKIP_2) | instid1(VALU_DEP_2)
	v_mul_f64_e32 v[4:5], v[4:5], v[14:15]
	v_lshlrev_b64_e32 v[14:15], 3, v[0:1]
	v_add_nc_u32_e32 v0, s2, v0
	v_add_co_u32 v16, vcc_lo, s6, v14
	s_wait_alu 0xfffd
	s_delay_alu instid0(VALU_DEP_3)
	v_add_co_ci_u32_e64 v17, null, s7, v15, vcc_lo
	v_add_co_u32 v14, vcc_lo, s8, v14
	s_wait_alu 0xfffd
	v_add_co_ci_u32_e64 v15, null, s9, v15, vcc_lo
	global_load_b64 v[16:17], v[16:17], off
	v_min_num_f64_e32 v[4:5], s[0:1], v[4:5]
	s_wait_loadcnt 0x0
	s_delay_alu instid0(VALU_DEP_1) | instskip(SKIP_4) | instid1(TRANS32_DEP_1)
	v_mul_f64_e32 v[4:5], v[16:17], v[4:5]
	global_store_b64 v[14:15], v[4:5], off
	v_div_scale_f64 v[14:15], null, v[8:9], v[8:9], 1.0
	global_load_b64 v[4:5], v[10:11], off
	v_rcp_f64_e32 v[16:17], v[14:15]
	v_fma_f64 v[18:19], -v[14:15], v[16:17], 1.0
	s_delay_alu instid0(VALU_DEP_1) | instskip(NEXT) | instid1(VALU_DEP_1)
	v_fma_f64 v[16:17], v[16:17], v[18:19], v[16:17]
	v_fma_f64 v[18:19], -v[14:15], v[16:17], 1.0
	s_delay_alu instid0(VALU_DEP_1) | instskip(SKIP_1) | instid1(VALU_DEP_1)
	v_fma_f64 v[16:17], v[16:17], v[18:19], v[16:17]
	v_div_scale_f64 v[18:19], vcc_lo, 1.0, v[8:9], 1.0
	v_mul_f64_e32 v[20:21], v[18:19], v[16:17]
	s_delay_alu instid0(VALU_DEP_1) | instskip(SKIP_1) | instid1(VALU_DEP_1)
	v_fma_f64 v[14:15], -v[14:15], v[20:21], v[18:19]
	s_wait_alu 0xfffd
	v_div_fmas_f64 v[14:15], v[14:15], v[16:17], v[20:21]
	s_wait_loadcnt 0x0
	v_mul_f64_e32 v[10:11], v[4:5], v[12:13]
	v_mul_f64_e32 v[4:5], v[4:5], v[6:7]
	s_delay_alu instid0(VALU_DEP_3) | instskip(NEXT) | instid1(VALU_DEP_2)
	v_div_fixup_f64 v[8:9], v[14:15], v[8:9], 1.0
	v_div_scale_f64 v[6:7], null, v[4:5], v[4:5], 1.0
	s_delay_alu instid0(VALU_DEP_2) | instskip(SKIP_2) | instid1(VALU_DEP_2)
	v_mul_f64_e32 v[8:9], v[10:11], v[8:9]
	v_lshlrev_b64_e32 v[10:11], 3, v[0:1]
	v_add_nc_u32_e32 v0, s2, v0
	v_add_co_u32 v14, vcc_lo, s6, v10
	s_wait_alu 0xfffd
	s_delay_alu instid0(VALU_DEP_3)
	v_add_co_ci_u32_e64 v15, null, s7, v11, vcc_lo
	v_add_co_u32 v10, vcc_lo, s8, v10
	s_wait_alu 0xfffd
	v_add_co_ci_u32_e64 v11, null, s9, v11, vcc_lo
	global_load_b64 v[14:15], v[14:15], off
	v_lshlrev_b64_e32 v[0:1], 3, v[0:1]
	v_min_num_f64_e32 v[8:9], s[0:1], v[8:9]
	s_wait_loadcnt 0x0
	s_delay_alu instid0(VALU_DEP_1) | instskip(SKIP_2) | instid1(TRANS32_DEP_1)
	v_mul_f64_e32 v[8:9], v[14:15], v[8:9]
	global_store_b64 v[10:11], v[8:9], off
	v_rcp_f64_e32 v[8:9], v[6:7]
	v_fma_f64 v[10:11], -v[6:7], v[8:9], 1.0
	s_delay_alu instid0(VALU_DEP_1) | instskip(NEXT) | instid1(VALU_DEP_1)
	v_fma_f64 v[8:9], v[8:9], v[10:11], v[8:9]
	v_fma_f64 v[10:11], -v[6:7], v[8:9], 1.0
	s_delay_alu instid0(VALU_DEP_1) | instskip(SKIP_1) | instid1(VALU_DEP_1)
	v_fma_f64 v[8:9], v[8:9], v[10:11], v[8:9]
	v_div_scale_f64 v[10:11], vcc_lo, 1.0, v[4:5], 1.0
	v_mul_f64_e32 v[12:13], v[10:11], v[8:9]
	s_delay_alu instid0(VALU_DEP_1) | instskip(SKIP_1) | instid1(VALU_DEP_1)
	v_fma_f64 v[6:7], -v[6:7], v[12:13], v[10:11]
	s_wait_alu 0xfffd
	v_div_fmas_f64 v[6:7], v[6:7], v[8:9], v[12:13]
	s_delay_alu instid0(VALU_DEP_1) | instskip(NEXT) | instid1(VALU_DEP_1)
	v_div_fixup_f64 v[4:5], v[6:7], v[4:5], 1.0
	v_mul_f64_e32 v[2:3], v[2:3], v[4:5]
	v_add_co_u32 v4, vcc_lo, s6, v0
	s_wait_alu 0xfffd
	v_add_co_ci_u32_e64 v5, null, s7, v1, vcc_lo
	v_add_co_u32 v0, vcc_lo, s8, v0
	s_wait_alu 0xfffd
	v_add_co_ci_u32_e64 v1, null, s9, v1, vcc_lo
	global_load_b64 v[4:5], v[4:5], off
	v_min_num_f64_e32 v[2:3], s[0:1], v[2:3]
	s_wait_loadcnt 0x0
	s_delay_alu instid0(VALU_DEP_1)
	v_mul_f64_e32 v[2:3], v[4:5], v[2:3]
	global_store_b64 v[0:1], v[2:3], off
	s_endpgm
	.section	.rodata,"a",@progbits
	.p2align	6, 0x0
	.amdhsa_kernel _Z12ratt8_kernelIdEvPKT_S2_PS0_S2_S0_
		.amdhsa_group_segment_fixed_size 0
		.amdhsa_private_segment_fixed_size 0
		.amdhsa_kernarg_size 296
		.amdhsa_user_sgpr_count 2
		.amdhsa_user_sgpr_dispatch_ptr 0
		.amdhsa_user_sgpr_queue_ptr 0
		.amdhsa_user_sgpr_kernarg_segment_ptr 1
		.amdhsa_user_sgpr_dispatch_id 0
		.amdhsa_user_sgpr_private_segment_size 0
		.amdhsa_wavefront_size32 1
		.amdhsa_uses_dynamic_stack 0
		.amdhsa_enable_private_segment 0
		.amdhsa_system_sgpr_workgroup_id_x 1
		.amdhsa_system_sgpr_workgroup_id_y 0
		.amdhsa_system_sgpr_workgroup_id_z 0
		.amdhsa_system_sgpr_workgroup_info 0
		.amdhsa_system_vgpr_workitem_id 0
		.amdhsa_next_free_vgpr 61
		.amdhsa_next_free_sgpr 15
		.amdhsa_reserve_vcc 1
		.amdhsa_float_round_mode_32 0
		.amdhsa_float_round_mode_16_64 0
		.amdhsa_float_denorm_mode_32 3
		.amdhsa_float_denorm_mode_16_64 3
		.amdhsa_fp16_overflow 0
		.amdhsa_workgroup_processor_mode 1
		.amdhsa_memory_ordered 1
		.amdhsa_forward_progress 1
		.amdhsa_inst_pref_size 56
		.amdhsa_round_robin_scheduling 0
		.amdhsa_exception_fp_ieee_invalid_op 0
		.amdhsa_exception_fp_denorm_src 0
		.amdhsa_exception_fp_ieee_div_zero 0
		.amdhsa_exception_fp_ieee_overflow 0
		.amdhsa_exception_fp_ieee_underflow 0
		.amdhsa_exception_fp_ieee_inexact 0
		.amdhsa_exception_int_div_zero 0
	.end_amdhsa_kernel
	.section	.text._Z12ratt8_kernelIdEvPKT_S2_PS0_S2_S0_,"axG",@progbits,_Z12ratt8_kernelIdEvPKT_S2_PS0_S2_S0_,comdat
.Lfunc_end36:
	.size	_Z12ratt8_kernelIdEvPKT_S2_PS0_S2_S0_, .Lfunc_end36-_Z12ratt8_kernelIdEvPKT_S2_PS0_S2_S0_
                                        ; -- End function
	.set _Z12ratt8_kernelIdEvPKT_S2_PS0_S2_S0_.num_vgpr, 61
	.set _Z12ratt8_kernelIdEvPKT_S2_PS0_S2_S0_.num_agpr, 0
	.set _Z12ratt8_kernelIdEvPKT_S2_PS0_S2_S0_.numbered_sgpr, 15
	.set _Z12ratt8_kernelIdEvPKT_S2_PS0_S2_S0_.num_named_barrier, 0
	.set _Z12ratt8_kernelIdEvPKT_S2_PS0_S2_S0_.private_seg_size, 0
	.set _Z12ratt8_kernelIdEvPKT_S2_PS0_S2_S0_.uses_vcc, 1
	.set _Z12ratt8_kernelIdEvPKT_S2_PS0_S2_S0_.uses_flat_scratch, 0
	.set _Z12ratt8_kernelIdEvPKT_S2_PS0_S2_S0_.has_dyn_sized_stack, 0
	.set _Z12ratt8_kernelIdEvPKT_S2_PS0_S2_S0_.has_recursion, 0
	.set _Z12ratt8_kernelIdEvPKT_S2_PS0_S2_S0_.has_indirect_call, 0
	.section	.AMDGPU.csdata,"",@progbits
; Kernel info:
; codeLenInByte = 7068
; TotalNumSgprs: 17
; NumVgprs: 61
; ScratchSize: 0
; MemoryBound: 0
; FloatMode: 240
; IeeeMode: 1
; LDSByteSize: 0 bytes/workgroup (compile time only)
; SGPRBlocks: 0
; VGPRBlocks: 7
; NumSGPRsForWavesPerEU: 17
; NumVGPRsForWavesPerEU: 61
; Occupancy: 16
; WaveLimiterHint : 0
; COMPUTE_PGM_RSRC2:SCRATCH_EN: 0
; COMPUTE_PGM_RSRC2:USER_SGPR: 2
; COMPUTE_PGM_RSRC2:TRAP_HANDLER: 0
; COMPUTE_PGM_RSRC2:TGID_X_EN: 1
; COMPUTE_PGM_RSRC2:TGID_Y_EN: 0
; COMPUTE_PGM_RSRC2:TGID_Z_EN: 0
; COMPUTE_PGM_RSRC2:TIDIG_COMP_CNT: 0
	.section	.text._Z12ratt9_kernelIdEvPKT_S2_PS0_S2_S0_,"axG",@progbits,_Z12ratt9_kernelIdEvPKT_S2_PS0_S2_S0_,comdat
	.protected	_Z12ratt9_kernelIdEvPKT_S2_PS0_S2_S0_ ; -- Begin function _Z12ratt9_kernelIdEvPKT_S2_PS0_S2_S0_
	.globl	_Z12ratt9_kernelIdEvPKT_S2_PS0_S2_S0_
	.p2align	8
	.type	_Z12ratt9_kernelIdEvPKT_S2_PS0_S2_S0_,@function
_Z12ratt9_kernelIdEvPKT_S2_PS0_S2_S0_:  ; @_Z12ratt9_kernelIdEvPKT_S2_PS0_S2_S0_
; %bb.0:
	s_clause 0x2
	s_load_b256 s[4:11], s[0:1], 0x0
	s_load_b96 s[12:14], s[0:1], 0x20
	s_load_b32 s0, s[0:1], 0x34
	s_wait_kmcnt 0x0
	s_and_b32 s2, s0, 0xffff
	s_brev_b32 s0, 12
	v_mad_co_u64_u32 v[0:1], null, ttmp9, s2, v[0:1]
	v_mov_b32_e32 v1, 0
	s_mov_b32 s1, 0x4193d2c6
	s_mul_i32 s2, s14, s2
	s_wait_alu 0xfffe
	s_mul_i32 s3, s2, 0xffffff55
	s_delay_alu instid0(VALU_DEP_2) | instskip(NEXT) | instid1(VALU_DEP_1)
	v_lshlrev_b64_e32 v[14:15], 3, v[0:1]
	v_add_co_u32 v2, vcc_lo, s4, v14
	s_delay_alu instid0(VALU_DEP_1) | instskip(SKIP_4) | instid1(VALU_DEP_1)
	v_add_co_ci_u32_e64 v3, null, s5, v15, vcc_lo
	s_mul_i32 s4, s2, 0x9a
	global_load_b64 v[2:3], v[2:3], off
	s_wait_loadcnt 0x0
	v_mul_f64_e32 v[2:3], s[12:13], v[2:3]
	v_mul_f64_e32 v[2:3], s[0:1], v[2:3]
	s_mov_b32 s0, 0x4357691b
	s_mov_b32 s1, 0x479e17b8
	s_delay_alu instid0(VALU_DEP_1) | instskip(NEXT) | instid1(VALU_DEP_1)
	v_div_scale_f64 v[4:5], null, v[2:3], v[2:3], 1.0
	v_rcp_f64_e32 v[6:7], v[4:5]
	s_delay_alu instid0(TRANS32_DEP_1) | instskip(NEXT) | instid1(VALU_DEP_1)
	v_fma_f64 v[8:9], -v[4:5], v[6:7], 1.0
	v_fma_f64 v[6:7], v[6:7], v[8:9], v[6:7]
	s_delay_alu instid0(VALU_DEP_1) | instskip(NEXT) | instid1(VALU_DEP_1)
	v_fma_f64 v[8:9], -v[4:5], v[6:7], 1.0
	v_fma_f64 v[6:7], v[6:7], v[8:9], v[6:7]
	v_div_scale_f64 v[8:9], vcc_lo, 1.0, v[2:3], 1.0
	s_delay_alu instid0(VALU_DEP_1) | instskip(NEXT) | instid1(VALU_DEP_1)
	v_mul_f64_e32 v[10:11], v[8:9], v[6:7]
	v_fma_f64 v[4:5], -v[4:5], v[10:11], v[8:9]
	s_wait_alu 0xfffd
	s_delay_alu instid0(VALU_DEP_1) | instskip(NEXT) | instid1(VALU_DEP_1)
	v_div_fmas_f64 v[4:5], v[4:5], v[6:7], v[10:11]
	v_div_fixup_f64 v[2:3], v[4:5], v[2:3], 1.0
	v_mad_co_u64_u32 v[4:5], null, s2, 6, v[0:1]
	v_dual_mov_b32 v5, v1 :: v_dual_add_nc_u32 v0, s2, v0
	s_delay_alu instid0(VALU_DEP_1) | instskip(SKIP_1) | instid1(VALU_DEP_2)
	v_lshlrev_b64_e32 v[5:6], 3, v[4:5]
	v_lshl_add_u32 v4, s2, 4, v4
	v_add_co_u32 v26, vcc_lo, s10, v5
	v_mov_b32_e32 v5, v1
	s_wait_alu 0xfffd
	s_delay_alu instid0(VALU_DEP_4) | instskip(NEXT) | instid1(VALU_DEP_2)
	v_add_co_ci_u32_e64 v27, null, s11, v6, vcc_lo
	v_lshlrev_b64_e32 v[6:7], 3, v[4:5]
	v_mad_co_u64_u32 v[4:5], null, s2, -15, v[4:5]
	v_mov_b32_e32 v5, v1
	global_load_b64 v[12:13], v[26:27], off
	v_add_co_u32 v20, vcc_lo, s10, v6
	s_wait_alu 0xfffd
	v_add_co_ci_u32_e64 v21, null, s11, v7, vcc_lo
	v_lshlrev_b64_e32 v[8:9], 3, v[4:5]
	v_mad_co_u64_u32 v[4:5], null, s2, 14, v[4:5]
	v_mov_b32_e32 v5, v1
	global_load_b64 v[6:7], v[20:21], off
	v_add_co_u32 v10, vcc_lo, s10, v8
	s_wait_alu 0xfffd
	v_add_co_ci_u32_e64 v11, null, s11, v9, vcc_lo
	v_lshlrev_b64_e32 v[8:9], 3, v[4:5]
	s_wait_alu 0xfffe
	v_add_nc_u32_e32 v4, s4, v4
	v_mul_f64_e32 v[2:3], 0x412eec04, v[2:3]
	global_load_b64 v[18:19], v[10:11], off
	v_add_co_u32 v8, vcc_lo, s10, v8
	s_wait_alu 0xfffd
	v_add_co_ci_u32_e64 v9, null, s11, v9, vcc_lo
	global_load_b64 v[30:31], v[8:9], off
	s_wait_loadcnt 0x2
	v_mul_f64_e32 v[16:17], v[12:13], v[6:7]
	s_wait_loadcnt 0x0
	v_mul_f64_e32 v[8:9], v[18:19], v[30:31]
	s_delay_alu instid0(VALU_DEP_1) | instskip(NEXT) | instid1(VALU_DEP_1)
	v_div_scale_f64 v[22:23], null, v[8:9], v[8:9], 1.0
	v_rcp_f64_e32 v[24:25], v[22:23]
	s_delay_alu instid0(TRANS32_DEP_1) | instskip(NEXT) | instid1(VALU_DEP_1)
	v_fma_f64 v[28:29], -v[22:23], v[24:25], 1.0
	v_fma_f64 v[24:25], v[24:25], v[28:29], v[24:25]
	s_delay_alu instid0(VALU_DEP_1) | instskip(NEXT) | instid1(VALU_DEP_1)
	v_fma_f64 v[28:29], -v[22:23], v[24:25], 1.0
	v_fma_f64 v[24:25], v[24:25], v[28:29], v[24:25]
	v_div_scale_f64 v[28:29], vcc_lo, 1.0, v[8:9], 1.0
	s_delay_alu instid0(VALU_DEP_1) | instskip(NEXT) | instid1(VALU_DEP_1)
	v_mul_f64_e32 v[32:33], v[28:29], v[24:25]
	v_fma_f64 v[22:23], -v[22:23], v[32:33], v[28:29]
	s_wait_alu 0xfffd
	s_delay_alu instid0(VALU_DEP_1) | instskip(NEXT) | instid1(VALU_DEP_1)
	v_div_fmas_f64 v[22:23], v[22:23], v[24:25], v[32:33]
	v_div_fixup_f64 v[8:9], v[22:23], v[8:9], 1.0
	v_lshlrev_b64_e32 v[22:23], 3, v[4:5]
	v_add_nc_u32_e32 v4, s3, v4
	s_delay_alu instid0(VALU_DEP_2) | instskip(SKIP_1) | instid1(VALU_DEP_3)
	v_add_co_u32 v24, vcc_lo, s6, v22
	s_wait_alu 0xfffd
	v_add_co_ci_u32_e64 v25, null, s7, v23, vcc_lo
	v_add_co_u32 v22, vcc_lo, s8, v22
	s_wait_alu 0xfffd
	v_add_co_ci_u32_e64 v23, null, s9, v23, vcc_lo
	global_load_b64 v[24:25], v[24:25], off
	v_mul_f64_e32 v[8:9], v[16:17], v[8:9]
	s_delay_alu instid0(VALU_DEP_1) | instskip(SKIP_1) | instid1(VALU_DEP_1)
	v_min_num_f64_e32 v[8:9], s[0:1], v[8:9]
	s_wait_loadcnt 0x0
	v_mul_f64_e32 v[8:9], v[24:25], v[8:9]
	global_store_b64 v[22:23], v[8:9], off
	v_lshlrev_b64_e32 v[8:9], 3, v[4:5]
	s_delay_alu instid0(VALU_DEP_1) | instskip(SKIP_1) | instid1(VALU_DEP_2)
	v_add_co_u32 v28, vcc_lo, s10, v8
	s_wait_alu 0xfffd
	v_add_co_ci_u32_e64 v29, null, s11, v9, vcc_lo
	v_mad_co_u64_u32 v[8:9], null, s2, 7, v[4:5]
	v_mov_b32_e32 v9, v1
	global_load_b64 v[32:33], v[28:29], off
	v_lshlrev_b64_e32 v[4:5], 3, v[8:9]
	v_mad_co_u64_u32 v[24:25], null, s2, 5, v[8:9]
	v_mov_b32_e32 v25, v1
	s_delay_alu instid0(VALU_DEP_3) | instskip(SKIP_1) | instid1(VALU_DEP_4)
	v_add_co_u32 v4, vcc_lo, s10, v4
	s_wait_alu 0xfffd
	v_add_co_ci_u32_e64 v5, null, s11, v5, vcc_lo
	s_delay_alu instid0(VALU_DEP_3)
	v_lshlrev_b64_e32 v[8:9], 3, v[24:25]
	global_load_b64 v[34:35], v[4:5], off
	v_add_co_u32 v8, vcc_lo, s10, v8
	s_wait_alu 0xfffd
	v_add_co_ci_u32_e64 v9, null, s11, v9, vcc_lo
	global_load_b64 v[36:37], v[8:9], off
	s_wait_loadcnt 0x1
	v_mul_f64_e32 v[22:23], v[32:33], v[34:35]
	v_mul_f64_e32 v[30:31], v[30:31], v[34:35]
	s_wait_loadcnt 0x0
	s_delay_alu instid0(VALU_DEP_2) | instskip(NEXT) | instid1(VALU_DEP_1)
	v_mul_f64_e32 v[22:23], v[22:23], v[36:37]
	v_mul_f64_e32 v[22:23], v[2:3], v[22:23]
	s_delay_alu instid0(VALU_DEP_1) | instskip(NEXT) | instid1(VALU_DEP_1)
	v_div_scale_f64 v[38:39], null, v[22:23], v[22:23], 1.0
	v_rcp_f64_e32 v[40:41], v[38:39]
	s_delay_alu instid0(TRANS32_DEP_1) | instskip(NEXT) | instid1(VALU_DEP_1)
	v_fma_f64 v[42:43], -v[38:39], v[40:41], 1.0
	v_fma_f64 v[40:41], v[40:41], v[42:43], v[40:41]
	s_delay_alu instid0(VALU_DEP_1) | instskip(NEXT) | instid1(VALU_DEP_1)
	v_fma_f64 v[42:43], -v[38:39], v[40:41], 1.0
	v_fma_f64 v[40:41], v[40:41], v[42:43], v[40:41]
	v_div_scale_f64 v[42:43], vcc_lo, 1.0, v[22:23], 1.0
	s_delay_alu instid0(VALU_DEP_1) | instskip(NEXT) | instid1(VALU_DEP_1)
	v_mul_f64_e32 v[44:45], v[42:43], v[40:41]
	v_fma_f64 v[38:39], -v[38:39], v[44:45], v[42:43]
	s_wait_alu 0xfffd
	s_delay_alu instid0(VALU_DEP_1) | instskip(NEXT) | instid1(VALU_DEP_1)
	v_div_fmas_f64 v[38:39], v[38:39], v[40:41], v[44:45]
	v_div_fixup_f64 v[22:23], v[38:39], v[22:23], 1.0
	s_delay_alu instid0(VALU_DEP_1) | instskip(SKIP_2) | instid1(VALU_DEP_1)
	v_mul_f64_e32 v[16:17], v[16:17], v[22:23]
	v_mad_co_u64_u32 v[22:23], null, 0xa0, s2, v[24:25]
	v_mov_b32_e32 v23, v1
	v_lshlrev_b64_e32 v[24:25], 3, v[22:23]
	s_delay_alu instid0(VALU_DEP_1) | instskip(SKIP_1) | instid1(VALU_DEP_2)
	v_add_co_u32 v38, vcc_lo, s6, v24
	s_wait_alu 0xfffd
	v_add_co_ci_u32_e64 v39, null, s7, v25, vcc_lo
	v_add_co_u32 v24, vcc_lo, s8, v24
	s_wait_alu 0xfffd
	v_add_co_ci_u32_e64 v25, null, s9, v25, vcc_lo
	global_load_b64 v[38:39], v[38:39], off
	v_min_num_f64_e32 v[16:17], s[0:1], v[16:17]
	s_wait_loadcnt 0x0
	s_delay_alu instid0(VALU_DEP_1) | instskip(SKIP_4) | instid1(VALU_DEP_1)
	v_mul_f64_e32 v[16:17], v[38:39], v[16:17]
	global_store_b64 v[24:25], v[16:17], off
	v_mul_f64_e32 v[16:17], v[6:7], v[18:19]
	v_mad_co_u64_u32 v[18:19], null, 0xffffff67, s2, v[22:23]
	v_mov_b32_e32 v19, v1
	v_lshlrev_b64_e32 v[22:23], 3, v[18:19]
	v_add_nc_u32_e32 v18, s4, v18
	s_lshl_b32 s4, s2, 1
	s_delay_alu instid0(VALU_DEP_2) | instskip(SKIP_1) | instid1(VALU_DEP_3)
	v_add_co_u32 v22, vcc_lo, s10, v22
	s_wait_alu 0xfffd
	v_add_co_ci_u32_e64 v23, null, s11, v23, vcc_lo
	global_load_b64 v[22:23], v[22:23], off
	s_wait_loadcnt 0x0
	v_mul_f64_e32 v[24:25], v[12:13], v[22:23]
	s_delay_alu instid0(VALU_DEP_1) | instskip(NEXT) | instid1(VALU_DEP_1)
	v_div_scale_f64 v[38:39], null, v[24:25], v[24:25], 1.0
	v_rcp_f64_e32 v[40:41], v[38:39]
	s_delay_alu instid0(TRANS32_DEP_1) | instskip(NEXT) | instid1(VALU_DEP_1)
	v_fma_f64 v[42:43], -v[38:39], v[40:41], 1.0
	v_fma_f64 v[40:41], v[40:41], v[42:43], v[40:41]
	s_delay_alu instid0(VALU_DEP_1) | instskip(NEXT) | instid1(VALU_DEP_1)
	v_fma_f64 v[42:43], -v[38:39], v[40:41], 1.0
	v_fma_f64 v[40:41], v[40:41], v[42:43], v[40:41]
	v_div_scale_f64 v[42:43], vcc_lo, 1.0, v[24:25], 1.0
	s_delay_alu instid0(VALU_DEP_1) | instskip(NEXT) | instid1(VALU_DEP_1)
	v_mul_f64_e32 v[44:45], v[42:43], v[40:41]
	v_fma_f64 v[38:39], -v[38:39], v[44:45], v[42:43]
	s_wait_alu 0xfffd
	s_delay_alu instid0(VALU_DEP_1) | instskip(NEXT) | instid1(VALU_DEP_1)
	v_div_fmas_f64 v[38:39], v[38:39], v[40:41], v[44:45]
	v_div_fixup_f64 v[24:25], v[38:39], v[24:25], 1.0
	s_delay_alu instid0(VALU_DEP_1) | instskip(SKIP_1) | instid1(VALU_DEP_1)
	v_mul_f64_e32 v[16:17], v[16:17], v[24:25]
	v_lshlrev_b64_e32 v[24:25], 3, v[18:19]
	v_add_co_u32 v38, vcc_lo, s6, v24
	s_wait_alu 0xfffd
	s_delay_alu instid0(VALU_DEP_2)
	v_add_co_ci_u32_e64 v39, null, s7, v25, vcc_lo
	v_add_co_u32 v24, vcc_lo, s8, v24
	s_wait_alu 0xfffd
	v_add_co_ci_u32_e64 v25, null, s9, v25, vcc_lo
	global_load_b64 v[38:39], v[38:39], off
	v_min_num_f64_e32 v[16:17], s[0:1], v[16:17]
	s_wait_loadcnt 0x0
	s_delay_alu instid0(VALU_DEP_1)
	v_mul_f64_e32 v[16:17], v[38:39], v[16:17]
	global_store_b64 v[24:25], v[16:17], off
	v_mad_co_u64_u32 v[16:17], null, 0xffffff5e, s2, v[18:19]
	v_mov_b32_e32 v17, v1
	v_mov_b32_e32 v25, v1
	s_wait_alu 0xfffe
	s_delay_alu instid0(VALU_DEP_3) | instskip(NEXT) | instid1(VALU_DEP_3)
	v_subrev_nc_u32_e32 v24, s4, v16
	v_lshlrev_b64_e32 v[17:18], 3, v[16:17]
	s_mul_i32 s4, s2, 0xb2
	s_delay_alu instid0(VALU_DEP_2) | instskip(NEXT) | instid1(VALU_DEP_2)
	v_lshlrev_b64_e32 v[38:39], 3, v[24:25]
	v_add_co_u32 v42, vcc_lo, s10, v17
	s_wait_alu 0xfffd
	s_delay_alu instid0(VALU_DEP_3) | instskip(NEXT) | instid1(VALU_DEP_3)
	v_add_co_ci_u32_e64 v43, null, s11, v18, vcc_lo
	v_add_co_u32 v38, vcc_lo, s10, v38
	s_wait_alu 0xfffd
	v_add_co_ci_u32_e64 v39, null, s11, v39, vcc_lo
	s_clause 0x1
	global_load_b64 v[46:47], v[42:43], off
	global_load_b64 v[48:49], v[38:39], off
	s_wait_loadcnt 0x1
	v_mul_f64_e32 v[17:18], v[6:7], v[46:47]
	s_wait_loadcnt 0x0
	v_mul_f64_e32 v[38:39], v[22:23], v[48:49]
	s_delay_alu instid0(VALU_DEP_1) | instskip(NEXT) | instid1(VALU_DEP_1)
	v_div_scale_f64 v[40:41], null, v[38:39], v[38:39], 1.0
	v_rcp_f64_e32 v[44:45], v[40:41]
	s_delay_alu instid0(TRANS32_DEP_1) | instskip(NEXT) | instid1(VALU_DEP_1)
	v_fma_f64 v[50:51], -v[40:41], v[44:45], 1.0
	v_fma_f64 v[44:45], v[44:45], v[50:51], v[44:45]
	s_delay_alu instid0(VALU_DEP_1) | instskip(NEXT) | instid1(VALU_DEP_1)
	v_fma_f64 v[50:51], -v[40:41], v[44:45], 1.0
	v_fma_f64 v[44:45], v[44:45], v[50:51], v[44:45]
	v_div_scale_f64 v[50:51], vcc_lo, 1.0, v[38:39], 1.0
	s_delay_alu instid0(VALU_DEP_1) | instskip(NEXT) | instid1(VALU_DEP_1)
	v_mul_f64_e32 v[52:53], v[50:51], v[44:45]
	v_fma_f64 v[40:41], -v[40:41], v[52:53], v[50:51]
	s_wait_alu 0xfffd
	s_delay_alu instid0(VALU_DEP_1) | instskip(NEXT) | instid1(VALU_DEP_1)
	v_div_fmas_f64 v[40:41], v[40:41], v[44:45], v[52:53]
	v_div_fixup_f64 v[38:39], v[40:41], v[38:39], 1.0
	s_delay_alu instid0(VALU_DEP_1) | instskip(SKIP_2) | instid1(VALU_DEP_1)
	v_mul_f64_e32 v[16:17], v[17:18], v[38:39]
	v_mad_co_u64_u32 v[18:19], null, 0xa5, s2, v[24:25]
	v_mov_b32_e32 v19, v1
	v_lshlrev_b64_e32 v[18:19], 3, v[18:19]
	s_delay_alu instid0(VALU_DEP_1) | instskip(SKIP_1) | instid1(VALU_DEP_2)
	v_add_co_u32 v24, vcc_lo, s6, v18
	s_wait_alu 0xfffd
	v_add_co_ci_u32_e64 v25, null, s7, v19, vcc_lo
	v_add_co_u32 v18, vcc_lo, s8, v18
	s_wait_alu 0xfffd
	v_add_co_ci_u32_e64 v19, null, s9, v19, vcc_lo
	global_load_b64 v[24:25], v[24:25], off
	v_min_num_f64_e32 v[16:17], s[0:1], v[16:17]
	s_wait_loadcnt 0x0
	s_delay_alu instid0(VALU_DEP_1) | instskip(SKIP_4) | instid1(VALU_DEP_2)
	v_mul_f64_e32 v[16:17], v[24:25], v[16:17]
	global_store_b64 v[18:19], v[16:17], off
	v_lshlrev_b64_e32 v[16:17], 3, v[0:1]
	s_wait_alu 0xfffe
	v_add_nc_u32_e32 v0, s4, v0
	v_add_co_u32 v40, vcc_lo, s10, v16
	s_wait_alu 0xfffd
	s_delay_alu instid0(VALU_DEP_3)
	v_add_co_ci_u32_e64 v41, null, s11, v17, vcc_lo
	v_add_co_u32 v14, vcc_lo, s10, v14
	s_wait_alu 0xfffd
	v_add_co_ci_u32_e64 v15, null, s11, v15, vcc_lo
	s_clause 0x1
	global_load_b64 v[38:39], v[40:41], off
	global_load_b64 v[18:19], v[14:15], off
	s_wait_loadcnt 0x1
	v_mul_f64_e32 v[16:17], v[22:23], v[38:39]
	s_wait_loadcnt 0x0
	v_mul_f64_e32 v[18:19], v[6:7], v[18:19]
	s_delay_alu instid0(VALU_DEP_1) | instskip(NEXT) | instid1(VALU_DEP_1)
	v_div_scale_f64 v[24:25], null, v[18:19], v[18:19], 1.0
	v_rcp_f64_e32 v[44:45], v[24:25]
	s_delay_alu instid0(TRANS32_DEP_1) | instskip(NEXT) | instid1(VALU_DEP_1)
	v_fma_f64 v[50:51], -v[24:25], v[44:45], 1.0
	v_fma_f64 v[44:45], v[44:45], v[50:51], v[44:45]
	s_delay_alu instid0(VALU_DEP_1) | instskip(NEXT) | instid1(VALU_DEP_1)
	v_fma_f64 v[50:51], -v[24:25], v[44:45], 1.0
	v_fma_f64 v[44:45], v[44:45], v[50:51], v[44:45]
	v_div_scale_f64 v[50:51], vcc_lo, 1.0, v[18:19], 1.0
	s_delay_alu instid0(VALU_DEP_1) | instskip(NEXT) | instid1(VALU_DEP_1)
	v_mul_f64_e32 v[52:53], v[50:51], v[44:45]
	v_fma_f64 v[24:25], -v[24:25], v[52:53], v[50:51]
	s_wait_alu 0xfffd
	s_delay_alu instid0(VALU_DEP_1) | instskip(SKIP_1) | instid1(VALU_DEP_2)
	v_div_fmas_f64 v[24:25], v[24:25], v[44:45], v[52:53]
	v_mul_f64_e32 v[44:45], v[6:7], v[32:33]
	v_div_fixup_f64 v[18:19], v[24:25], v[18:19], 1.0
	s_delay_alu instid0(VALU_DEP_2) | instskip(NEXT) | instid1(VALU_DEP_2)
	v_div_scale_f64 v[50:51], null, v[44:45], v[44:45], 1.0
	v_mul_f64_e32 v[16:17], v[16:17], v[18:19]
	v_lshlrev_b64_e32 v[18:19], 3, v[0:1]
	s_delay_alu instid0(VALU_DEP_3) | instskip(NEXT) | instid1(VALU_DEP_1)
	v_rcp_f64_e32 v[52:53], v[50:51]
	v_add_co_u32 v24, vcc_lo, s6, v18
	s_wait_alu 0xfffd
	s_delay_alu instid0(VALU_DEP_2)
	v_add_co_ci_u32_e64 v25, null, s7, v19, vcc_lo
	v_add_co_u32 v18, vcc_lo, s8, v18
	s_wait_alu 0xfffd
	v_add_co_ci_u32_e64 v19, null, s9, v19, vcc_lo
	global_load_b64 v[24:25], v[24:25], off
	v_min_num_f64_e32 v[16:17], s[0:1], v[16:17]
	v_fma_f64 v[54:55], -v[50:51], v[52:53], 1.0
	s_delay_alu instid0(VALU_DEP_1) | instskip(NEXT) | instid1(VALU_DEP_1)
	v_fma_f64 v[52:53], v[52:53], v[54:55], v[52:53]
	v_fma_f64 v[54:55], -v[50:51], v[52:53], 1.0
	s_delay_alu instid0(VALU_DEP_1)
	v_fma_f64 v[52:53], v[52:53], v[54:55], v[52:53]
	s_wait_loadcnt 0x0
	v_mul_f64_e32 v[16:17], v[24:25], v[16:17]
	global_store_b64 v[18:19], v[16:17], off
	v_mad_co_u64_u32 v[18:19], null, 0xffffff4f, s2, v[0:1]
	v_mov_b32_e32 v19, v1
	s_delay_alu instid0(VALU_DEP_1) | instskip(SKIP_2) | instid1(VALU_DEP_2)
	v_lshlrev_b64_e32 v[16:17], 3, v[18:19]
	v_add_nc_u32_e32 v0, s4, v18
	s_mul_i32 s4, s2, 0xffffff5a
	v_add_co_u32 v16, vcc_lo, s10, v16
	s_wait_alu 0xfffd
	s_delay_alu instid0(VALU_DEP_3) | instskip(SKIP_4) | instid1(VALU_DEP_1)
	v_add_co_ci_u32_e64 v17, null, s11, v17, vcc_lo
	v_div_scale_f64 v[54:55], vcc_lo, 1.0, v[44:45], 1.0
	v_lshlrev_b64_e32 v[18:19], 3, v[0:1]
	global_load_b64 v[24:25], v[16:17], off
	v_mul_f64_e32 v[56:57], v[54:55], v[52:53]
	v_fma_f64 v[50:51], -v[50:51], v[56:57], v[54:55]
	s_wait_alu 0xfffd
	s_delay_alu instid0(VALU_DEP_1) | instskip(NEXT) | instid1(VALU_DEP_1)
	v_div_fmas_f64 v[50:51], v[50:51], v[52:53], v[56:57]
	v_div_fixup_f64 v[44:45], v[50:51], v[44:45], 1.0
	s_wait_loadcnt 0x0
	v_mul_f64_e32 v[24:25], v[22:23], v[24:25]
	s_delay_alu instid0(VALU_DEP_1)
	v_mul_f64_e32 v[24:25], v[44:45], v[24:25]
	v_add_co_u32 v44, vcc_lo, s6, v18
	s_wait_alu 0xfffd
	v_add_co_ci_u32_e64 v45, null, s7, v19, vcc_lo
	v_add_co_u32 v18, vcc_lo, s8, v18
	s_wait_alu 0xfffd
	v_add_co_ci_u32_e64 v19, null, s9, v19, vcc_lo
	global_load_b64 v[44:45], v[44:45], off
	v_min_num_f64_e32 v[24:25], s[0:1], v[24:25]
	s_wait_loadcnt 0x0
	s_delay_alu instid0(VALU_DEP_1)
	v_mul_f64_e32 v[24:25], v[44:45], v[24:25]
	global_store_b64 v[18:19], v[24:25], off
	v_mad_co_u64_u32 v[24:25], null, 0xffffff51, s2, v[0:1]
	v_mov_b32_e32 v25, v1
	v_mul_f64_e32 v[18:19], v[32:33], v[22:23]
	v_mul_f64_e32 v[32:33], v[32:33], v[36:37]
	s_delay_alu instid0(VALU_DEP_3) | instskip(SKIP_1) | instid1(VALU_DEP_2)
	v_lshlrev_b64_e32 v[44:45], 3, v[24:25]
	v_mad_co_u64_u32 v[24:25], null, 0xb0, s2, v[24:25]
	v_add_co_u32 v44, vcc_lo, s10, v44
	s_wait_alu 0xfffd
	s_delay_alu instid0(VALU_DEP_3) | instskip(NEXT) | instid1(VALU_DEP_3)
	v_add_co_ci_u32_e64 v45, null, s11, v45, vcc_lo
	v_add_nc_u32_e32 v0, s3, v24
	s_mul_i32 s3, s2, 0xa7
	v_mov_b32_e32 v25, v1
	global_load_b64 v[50:51], v[44:45], off
	s_wait_loadcnt 0x0
	v_mul_f64_e32 v[50:51], v[6:7], v[50:51]
	s_delay_alu instid0(VALU_DEP_1) | instskip(NEXT) | instid1(VALU_DEP_1)
	v_div_scale_f64 v[52:53], null, v[50:51], v[50:51], 1.0
	v_rcp_f64_e32 v[54:55], v[52:53]
	s_delay_alu instid0(TRANS32_DEP_1) | instskip(NEXT) | instid1(VALU_DEP_1)
	v_fma_f64 v[56:57], -v[52:53], v[54:55], 1.0
	v_fma_f64 v[54:55], v[54:55], v[56:57], v[54:55]
	s_delay_alu instid0(VALU_DEP_1) | instskip(NEXT) | instid1(VALU_DEP_1)
	v_fma_f64 v[56:57], -v[52:53], v[54:55], 1.0
	v_fma_f64 v[54:55], v[54:55], v[56:57], v[54:55]
	v_div_scale_f64 v[56:57], vcc_lo, 1.0, v[50:51], 1.0
	s_delay_alu instid0(VALU_DEP_1) | instskip(NEXT) | instid1(VALU_DEP_1)
	v_mul_f64_e32 v[58:59], v[56:57], v[54:55]
	v_fma_f64 v[52:53], -v[52:53], v[58:59], v[56:57]
	s_wait_alu 0xfffd
	s_delay_alu instid0(VALU_DEP_1) | instskip(NEXT) | instid1(VALU_DEP_1)
	v_div_fmas_f64 v[52:53], v[52:53], v[54:55], v[58:59]
	v_div_fixup_f64 v[50:51], v[52:53], v[50:51], 1.0
	s_delay_alu instid0(VALU_DEP_1) | instskip(SKIP_2) | instid1(VALU_DEP_2)
	v_mul_f64_e32 v[18:19], v[18:19], v[50:51]
	v_lshlrev_b64_e32 v[50:51], 3, v[24:25]
	v_mul_f64_e32 v[24:25], v[6:7], v[34:35]
	v_add_co_u32 v52, vcc_lo, s6, v50
	s_wait_alu 0xfffd
	s_delay_alu instid0(VALU_DEP_3)
	v_add_co_ci_u32_e64 v53, null, s7, v51, vcc_lo
	v_add_co_u32 v50, vcc_lo, s8, v50
	s_wait_alu 0xfffd
	v_add_co_ci_u32_e64 v51, null, s9, v51, vcc_lo
	global_load_b64 v[52:53], v[52:53], off
	v_min_num_f64_e32 v[18:19], s[0:1], v[18:19]
	s_wait_loadcnt 0x0
	s_delay_alu instid0(VALU_DEP_1) | instskip(SKIP_3) | instid1(VALU_DEP_1)
	v_mul_f64_e32 v[18:19], v[52:53], v[18:19]
	global_store_b64 v[50:51], v[18:19], off
	v_div_scale_f64 v[50:51], null, v[24:25], v[24:25], 1.0
	v_lshlrev_b64_e32 v[18:19], 3, v[0:1]
	v_add_co_u32 v18, vcc_lo, s10, v18
	s_wait_alu 0xfffd
	s_delay_alu instid0(VALU_DEP_2) | instskip(SKIP_2) | instid1(TRANS32_DEP_1)
	v_add_co_ci_u32_e64 v19, null, s11, v19, vcc_lo
	global_load_b64 v[18:19], v[18:19], off
	v_rcp_f64_e32 v[52:53], v[50:51]
	v_fma_f64 v[54:55], -v[50:51], v[52:53], 1.0
	s_delay_alu instid0(VALU_DEP_1) | instskip(NEXT) | instid1(VALU_DEP_1)
	v_fma_f64 v[52:53], v[52:53], v[54:55], v[52:53]
	v_fma_f64 v[54:55], -v[50:51], v[52:53], 1.0
	s_delay_alu instid0(VALU_DEP_1) | instskip(SKIP_1) | instid1(VALU_DEP_1)
	v_fma_f64 v[52:53], v[52:53], v[54:55], v[52:53]
	v_div_scale_f64 v[54:55], vcc_lo, 1.0, v[24:25], 1.0
	v_mul_f64_e32 v[56:57], v[54:55], v[52:53]
	s_delay_alu instid0(VALU_DEP_1) | instskip(SKIP_1) | instid1(VALU_DEP_1)
	v_fma_f64 v[50:51], -v[50:51], v[56:57], v[54:55]
	s_wait_alu 0xfffd
	v_div_fmas_f64 v[50:51], v[50:51], v[52:53], v[56:57]
	s_wait_loadcnt 0x0
	v_mul_f64_e32 v[18:19], v[22:23], v[18:19]
	s_delay_alu instid0(VALU_DEP_2) | instskip(NEXT) | instid1(VALU_DEP_1)
	v_div_fixup_f64 v[24:25], v[50:51], v[24:25], 1.0
	v_mul_f64_e32 v[18:19], v[24:25], v[18:19]
	v_mad_co_u64_u32 v[24:25], null, 0xac, s2, v[0:1]
	v_mov_b32_e32 v25, v1
	s_delay_alu instid0(VALU_DEP_1) | instskip(NEXT) | instid1(VALU_DEP_1)
	v_lshlrev_b64_e32 v[50:51], 3, v[24:25]
	v_add_co_u32 v52, vcc_lo, s6, v50
	s_wait_alu 0xfffd
	s_delay_alu instid0(VALU_DEP_2)
	v_add_co_ci_u32_e64 v53, null, s7, v51, vcc_lo
	v_add_co_u32 v50, vcc_lo, s8, v50
	s_wait_alu 0xfffd
	v_add_co_ci_u32_e64 v51, null, s9, v51, vcc_lo
	global_load_b64 v[52:53], v[52:53], off
	v_min_num_f64_e32 v[18:19], s[0:1], v[18:19]
	s_wait_loadcnt 0x0
	s_delay_alu instid0(VALU_DEP_1)
	v_mul_f64_e32 v[18:19], v[52:53], v[18:19]
	global_store_b64 v[50:51], v[18:19], off
	v_mul_f64_e32 v[18:19], v[34:35], v[22:23]
	v_mad_co_u64_u32 v[22:23], null, 0xffffff56, s2, v[24:25]
	v_mov_b32_e32 v23, v1
	v_div_scale_f64 v[34:35], null, v[30:31], v[30:31], 1.0
	s_delay_alu instid0(VALU_DEP_2) | instskip(NEXT) | instid1(VALU_DEP_1)
	v_lshlrev_b64_e32 v[24:25], 3, v[22:23]
	v_add_co_u32 v24, vcc_lo, s10, v24
	s_wait_alu 0xfffd
	s_delay_alu instid0(VALU_DEP_2) | instskip(SKIP_3) | instid1(VALU_DEP_1)
	v_add_co_ci_u32_e64 v25, null, s11, v25, vcc_lo
	global_load_b64 v[50:51], v[24:25], off
	s_wait_loadcnt 0x0
	v_mul_f64_e32 v[6:7], v[6:7], v[50:51]
	v_div_scale_f64 v[52:53], null, v[6:7], v[6:7], 1.0
	s_delay_alu instid0(VALU_DEP_1) | instskip(NEXT) | instid1(TRANS32_DEP_1)
	v_rcp_f64_e32 v[54:55], v[52:53]
	v_fma_f64 v[56:57], -v[52:53], v[54:55], 1.0
	s_delay_alu instid0(VALU_DEP_1) | instskip(NEXT) | instid1(VALU_DEP_1)
	v_fma_f64 v[54:55], v[54:55], v[56:57], v[54:55]
	v_fma_f64 v[56:57], -v[52:53], v[54:55], 1.0
	s_delay_alu instid0(VALU_DEP_1) | instskip(SKIP_1) | instid1(VALU_DEP_1)
	v_fma_f64 v[54:55], v[54:55], v[56:57], v[54:55]
	v_div_scale_f64 v[56:57], vcc_lo, 1.0, v[6:7], 1.0
	v_mul_f64_e32 v[58:59], v[56:57], v[54:55]
	s_delay_alu instid0(VALU_DEP_1) | instskip(SKIP_1) | instid1(VALU_DEP_1)
	v_fma_f64 v[52:53], -v[52:53], v[58:59], v[56:57]
	s_wait_alu 0xfffd
	v_div_fmas_f64 v[52:53], v[52:53], v[54:55], v[58:59]
	s_delay_alu instid0(VALU_DEP_1) | instskip(NEXT) | instid1(VALU_DEP_1)
	v_div_fixup_f64 v[6:7], v[52:53], v[6:7], 1.0
	v_mul_f64_e32 v[6:7], v[18:19], v[6:7]
	v_mad_co_u64_u32 v[18:19], null, 0xab, s2, v[22:23]
	v_mov_b32_e32 v19, v1
	s_delay_alu instid0(VALU_DEP_1) | instskip(SKIP_2) | instid1(VALU_DEP_3)
	v_lshlrev_b64_e32 v[22:23], 3, v[18:19]
	v_mad_co_u64_u32 v[18:19], null, 0xffffff65, s2, v[18:19]
	v_mov_b32_e32 v19, v1
	v_add_co_u32 v52, vcc_lo, s6, v22
	s_wait_alu 0xfffd
	s_delay_alu instid0(VALU_DEP_4)
	v_add_co_ci_u32_e64 v53, null, s7, v23, vcc_lo
	v_add_co_u32 v22, vcc_lo, s8, v22
	s_wait_alu 0xfffd
	v_add_co_ci_u32_e64 v23, null, s9, v23, vcc_lo
	global_load_b64 v[52:53], v[52:53], off
	v_add_nc_u32_e32 v0, s2, v18
	v_min_num_f64_e32 v[6:7], s[0:1], v[6:7]
	s_wait_loadcnt 0x0
	s_delay_alu instid0(VALU_DEP_1) | instskip(SKIP_3) | instid1(VALU_DEP_2)
	v_mul_f64_e32 v[6:7], v[52:53], v[6:7]
	global_store_b64 v[22:23], v[6:7], off
	v_lshlrev_b64_e32 v[6:7], 3, v[18:19]
	v_lshlrev_b64_e32 v[18:19], 3, v[0:1]
	v_add_co_u32 v6, vcc_lo, s10, v6
	s_wait_alu 0xfffd
	s_delay_alu instid0(VALU_DEP_3) | instskip(NEXT) | instid1(VALU_DEP_3)
	v_add_co_ci_u32_e64 v7, null, s11, v7, vcc_lo
	v_add_co_u32 v22, vcc_lo, s10, v18
	s_wait_alu 0xfffd
	v_add_co_ci_u32_e64 v23, null, s11, v19, vcc_lo
	s_clause 0x1
	global_load_b64 v[52:53], v[6:7], off
	global_load_b64 v[58:59], v[22:23], off
	s_wait_loadcnt 0x1
	v_mul_f64_e32 v[54:55], v[38:39], v[52:53]
	s_wait_loadcnt 0x0
	v_div_scale_f64 v[18:19], null, v[58:59], v[58:59], 1.0
	s_delay_alu instid0(VALU_DEP_2) | instskip(NEXT) | instid1(VALU_DEP_2)
	v_mul_f64_e32 v[56:57], v[2:3], v[54:55]
	v_rcp_f64_e32 v[60:61], v[18:19]
	s_delay_alu instid0(TRANS32_DEP_1) | instskip(NEXT) | instid1(VALU_DEP_1)
	v_fma_f64 v[62:63], -v[18:19], v[60:61], 1.0
	v_fma_f64 v[60:61], v[60:61], v[62:63], v[60:61]
	s_delay_alu instid0(VALU_DEP_1) | instskip(NEXT) | instid1(VALU_DEP_1)
	v_fma_f64 v[62:63], -v[18:19], v[60:61], 1.0
	v_fma_f64 v[60:61], v[60:61], v[62:63], v[60:61]
	v_div_scale_f64 v[62:63], vcc_lo, 1.0, v[58:59], 1.0
	s_delay_alu instid0(VALU_DEP_1) | instskip(NEXT) | instid1(VALU_DEP_1)
	v_mul_f64_e32 v[64:65], v[62:63], v[60:61]
	v_fma_f64 v[18:19], -v[18:19], v[64:65], v[62:63]
	s_wait_alu 0xfffd
	s_delay_alu instid0(VALU_DEP_1) | instskip(NEXT) | instid1(VALU_DEP_1)
	v_div_fmas_f64 v[18:19], v[18:19], v[60:61], v[64:65]
	v_div_fixup_f64 v[18:19], v[18:19], v[58:59], 1.0
	s_delay_alu instid0(VALU_DEP_1) | instskip(SKIP_2) | instid1(VALU_DEP_1)
	v_mul_f64_e32 v[18:19], v[56:57], v[18:19]
	v_mad_co_u64_u32 v[56:57], null, 0x9b, s2, v[0:1]
	v_mov_b32_e32 v57, v1
	v_lshlrev_b64_e32 v[60:61], 3, v[56:57]
	s_delay_alu instid0(VALU_DEP_1) | instskip(SKIP_1) | instid1(VALU_DEP_2)
	v_add_co_u32 v62, vcc_lo, s6, v60
	s_wait_alu 0xfffd
	v_add_co_ci_u32_e64 v63, null, s7, v61, vcc_lo
	v_add_co_u32 v60, vcc_lo, s8, v60
	s_wait_alu 0xfffd
	v_add_co_ci_u32_e64 v61, null, s9, v61, vcc_lo
	global_load_b64 v[62:63], v[62:63], off
	v_min_num_f64_e32 v[18:19], s[0:1], v[18:19]
	s_wait_loadcnt 0x0
	s_delay_alu instid0(VALU_DEP_1) | instskip(SKIP_3) | instid1(VALU_DEP_1)
	v_mul_f64_e32 v[18:19], v[62:63], v[18:19]
	global_store_b64 v[60:61], v[18:19], off
	v_mad_co_u64_u32 v[18:19], null, 0xffffff5b, s2, v[56:57]
	v_mov_b32_e32 v19, v1
	v_lshlrev_b64_e32 v[56:57], 3, v[18:19]
	v_mad_co_u64_u32 v[18:19], null, 0xa6, s2, v[18:19]
	v_mov_b32_e32 v19, v1
	s_delay_alu instid0(VALU_DEP_3) | instskip(SKIP_1) | instid1(VALU_DEP_4)
	v_add_co_u32 v56, vcc_lo, s10, v56
	s_wait_alu 0xfffd
	v_add_co_ci_u32_e64 v57, null, s11, v57, vcc_lo
	global_load_b64 v[56:57], v[56:57], off
	s_wait_loadcnt 0x0
	v_mul_f64_e32 v[50:51], v[50:51], v[56:57]
	s_delay_alu instid0(VALU_DEP_1) | instskip(NEXT) | instid1(VALU_DEP_1)
	v_div_scale_f64 v[56:57], null, v[50:51], v[50:51], 1.0
	v_rcp_f64_e32 v[60:61], v[56:57]
	s_delay_alu instid0(TRANS32_DEP_1) | instskip(NEXT) | instid1(VALU_DEP_1)
	v_fma_f64 v[62:63], -v[56:57], v[60:61], 1.0
	v_fma_f64 v[60:61], v[60:61], v[62:63], v[60:61]
	s_delay_alu instid0(VALU_DEP_1) | instskip(NEXT) | instid1(VALU_DEP_1)
	v_fma_f64 v[62:63], -v[56:57], v[60:61], 1.0
	v_fma_f64 v[60:61], v[60:61], v[62:63], v[60:61]
	v_div_scale_f64 v[62:63], vcc_lo, 1.0, v[50:51], 1.0
	s_delay_alu instid0(VALU_DEP_1) | instskip(NEXT) | instid1(VALU_DEP_1)
	v_mul_f64_e32 v[64:65], v[62:63], v[60:61]
	v_fma_f64 v[56:57], -v[56:57], v[64:65], v[62:63]
	s_wait_alu 0xfffd
	s_delay_alu instid0(VALU_DEP_1) | instskip(NEXT) | instid1(VALU_DEP_1)
	v_div_fmas_f64 v[56:57], v[56:57], v[60:61], v[64:65]
	v_div_fixup_f64 v[50:51], v[56:57], v[50:51], 1.0
	s_delay_alu instid0(VALU_DEP_1) | instskip(SKIP_1) | instid1(VALU_DEP_1)
	v_mul_f64_e32 v[50:51], v[54:55], v[50:51]
	v_lshlrev_b64_e32 v[54:55], 3, v[18:19]
	v_add_co_u32 v56, vcc_lo, s6, v54
	s_wait_alu 0xfffd
	s_delay_alu instid0(VALU_DEP_2)
	v_add_co_ci_u32_e64 v57, null, s7, v55, vcc_lo
	v_add_co_u32 v54, vcc_lo, s8, v54
	s_wait_alu 0xfffd
	v_add_co_ci_u32_e64 v55, null, s9, v55, vcc_lo
	global_load_b64 v[56:57], v[56:57], off
	v_min_num_f64_e32 v[50:51], s[0:1], v[50:51]
	s_wait_loadcnt 0x0
	s_delay_alu instid0(VALU_DEP_1) | instskip(SKIP_4) | instid1(VALU_DEP_1)
	v_mul_f64_e32 v[50:51], v[56:57], v[50:51]
	global_store_b64 v[54:55], v[50:51], off
	v_mul_f64_e32 v[50:51], v[12:13], v[52:53]
	v_mad_co_u64_u32 v[12:13], null, 0xffffff4a, s2, v[18:19]
	v_mov_b32_e32 v13, v1
	v_lshlrev_b64_e32 v[18:19], 3, v[12:13]
	v_mad_co_u64_u32 v[12:13], null, 0xb7, s2, v[12:13]
	v_mov_b32_e32 v13, v1
	s_delay_alu instid0(VALU_DEP_3) | instskip(SKIP_1) | instid1(VALU_DEP_4)
	v_add_co_u32 v18, vcc_lo, s10, v18
	s_wait_alu 0xfffd
	v_add_co_ci_u32_e64 v19, null, s11, v19, vcc_lo
	s_wait_alu 0xfffe
	s_delay_alu instid0(VALU_DEP_4) | instskip(SKIP_3) | instid1(VALU_DEP_1)
	v_add_nc_u32_e32 v0, s4, v12
	global_load_b64 v[54:55], v[18:19], off
	s_wait_loadcnt 0x0
	v_mul_f64_e32 v[54:55], v[58:59], v[54:55]
	v_div_scale_f64 v[56:57], null, v[54:55], v[54:55], 1.0
	s_delay_alu instid0(VALU_DEP_1) | instskip(NEXT) | instid1(TRANS32_DEP_1)
	v_rcp_f64_e32 v[60:61], v[56:57]
	v_fma_f64 v[62:63], -v[56:57], v[60:61], 1.0
	s_delay_alu instid0(VALU_DEP_1) | instskip(NEXT) | instid1(VALU_DEP_1)
	v_fma_f64 v[60:61], v[60:61], v[62:63], v[60:61]
	v_fma_f64 v[62:63], -v[56:57], v[60:61], 1.0
	s_delay_alu instid0(VALU_DEP_1) | instskip(SKIP_1) | instid1(VALU_DEP_1)
	v_fma_f64 v[60:61], v[60:61], v[62:63], v[60:61]
	v_div_scale_f64 v[62:63], vcc_lo, 1.0, v[54:55], 1.0
	v_mul_f64_e32 v[64:65], v[62:63], v[60:61]
	s_delay_alu instid0(VALU_DEP_1) | instskip(SKIP_1) | instid1(VALU_DEP_1)
	v_fma_f64 v[56:57], -v[56:57], v[64:65], v[62:63]
	s_wait_alu 0xfffd
	v_div_fmas_f64 v[56:57], v[56:57], v[60:61], v[64:65]
	s_delay_alu instid0(VALU_DEP_1) | instskip(SKIP_3) | instid1(VALU_DEP_3)
	v_div_fixup_f64 v[54:55], v[56:57], v[54:55], 1.0
	v_lshlrev_b64_e32 v[56:57], 3, v[12:13]
	v_lshlrev_b64_e32 v[12:13], 3, v[0:1]
	v_add_nc_u32_e32 v0, s3, v0
	v_add_co_u32 v60, vcc_lo, s6, v56
	s_wait_alu 0xfffd
	s_delay_alu instid0(VALU_DEP_4)
	v_add_co_ci_u32_e64 v61, null, s7, v57, vcc_lo
	v_add_co_u32 v56, vcc_lo, s8, v56
	s_wait_alu 0xfffd
	v_add_co_ci_u32_e64 v57, null, s9, v57, vcc_lo
	v_add_co_u32 v12, vcc_lo, s10, v12
	s_wait_alu 0xfffd
	v_add_co_ci_u32_e64 v13, null, s11, v13, vcc_lo
	global_load_b64 v[60:61], v[60:61], off
	global_load_b64 v[36:37], v[12:13], off
	v_mul_f64_e32 v[54:55], v[50:51], v[54:55]
	s_delay_alu instid0(VALU_DEP_1) | instskip(SKIP_1) | instid1(VALU_DEP_1)
	v_min_num_f64_e32 v[54:55], s[0:1], v[54:55]
	s_wait_loadcnt 0x1
	v_mul_f64_e32 v[54:55], v[60:61], v[54:55]
	s_wait_loadcnt 0x0
	v_mul_f64_e32 v[32:33], v[32:33], v[36:37]
	global_store_b64 v[56:57], v[54:55], off
	v_mul_f64_e32 v[32:33], v[2:3], v[32:33]
	s_delay_alu instid0(VALU_DEP_1) | instskip(NEXT) | instid1(VALU_DEP_1)
	v_div_scale_f64 v[36:37], null, v[32:33], v[32:33], 1.0
	v_rcp_f64_e32 v[54:55], v[36:37]
	s_delay_alu instid0(TRANS32_DEP_1) | instskip(NEXT) | instid1(VALU_DEP_1)
	v_fma_f64 v[56:57], -v[36:37], v[54:55], 1.0
	v_fma_f64 v[54:55], v[54:55], v[56:57], v[54:55]
	s_delay_alu instid0(VALU_DEP_1) | instskip(NEXT) | instid1(VALU_DEP_1)
	v_fma_f64 v[56:57], -v[36:37], v[54:55], 1.0
	v_fma_f64 v[54:55], v[54:55], v[56:57], v[54:55]
	v_div_scale_f64 v[56:57], vcc_lo, 1.0, v[32:33], 1.0
	s_delay_alu instid0(VALU_DEP_1) | instskip(NEXT) | instid1(VALU_DEP_1)
	v_mul_f64_e32 v[60:61], v[56:57], v[54:55]
	v_fma_f64 v[36:37], -v[36:37], v[60:61], v[56:57]
	s_wait_alu 0xfffd
	s_delay_alu instid0(VALU_DEP_1) | instskip(NEXT) | instid1(VALU_DEP_1)
	v_div_fmas_f64 v[36:37], v[36:37], v[54:55], v[60:61]
	v_div_fixup_f64 v[32:33], v[36:37], v[32:33], 1.0
	v_lshlrev_b64_e32 v[36:37], 3, v[0:1]
	v_add_nc_u32_e32 v0, s2, v0
	s_delay_alu instid0(VALU_DEP_3) | instskip(NEXT) | instid1(VALU_DEP_3)
	v_mul_f64_e32 v[32:33], v[50:51], v[32:33]
	v_add_co_u32 v50, vcc_lo, s6, v36
	s_wait_alu 0xfffd
	s_delay_alu instid0(VALU_DEP_4)
	v_add_co_ci_u32_e64 v51, null, s7, v37, vcc_lo
	v_add_co_u32 v36, vcc_lo, s8, v36
	s_wait_alu 0xfffd
	v_add_co_ci_u32_e64 v37, null, s9, v37, vcc_lo
	global_load_b64 v[50:51], v[50:51], off
	v_min_num_f64_e32 v[32:33], s[0:1], v[32:33]
	s_wait_loadcnt 0x0
	s_delay_alu instid0(VALU_DEP_1) | instskip(SKIP_3) | instid1(VALU_DEP_2)
	v_mul_f64_e32 v[32:33], v[50:51], v[32:33]
	global_store_b64 v[36:37], v[32:33], off
	v_mul_f64_e32 v[36:37], v[48:49], v[58:59]
	v_mul_f64_e32 v[32:33], v[46:47], v[52:53]
	v_div_scale_f64 v[46:47], null, v[36:37], v[36:37], 1.0
	s_delay_alu instid0(VALU_DEP_1) | instskip(NEXT) | instid1(TRANS32_DEP_1)
	v_rcp_f64_e32 v[48:49], v[46:47]
	v_fma_f64 v[50:51], -v[46:47], v[48:49], 1.0
	s_delay_alu instid0(VALU_DEP_1) | instskip(NEXT) | instid1(VALU_DEP_1)
	v_fma_f64 v[48:49], v[48:49], v[50:51], v[48:49]
	v_fma_f64 v[50:51], -v[46:47], v[48:49], 1.0
	s_delay_alu instid0(VALU_DEP_1) | instskip(SKIP_1) | instid1(VALU_DEP_1)
	v_fma_f64 v[48:49], v[48:49], v[50:51], v[48:49]
	v_div_scale_f64 v[50:51], vcc_lo, 1.0, v[36:37], 1.0
	v_mul_f64_e32 v[52:53], v[50:51], v[48:49]
	s_delay_alu instid0(VALU_DEP_1) | instskip(SKIP_1) | instid1(VALU_DEP_1)
	v_fma_f64 v[46:47], -v[46:47], v[52:53], v[50:51]
	s_wait_alu 0xfffd
	v_div_fmas_f64 v[46:47], v[46:47], v[48:49], v[52:53]
	v_mad_co_u64_u32 v[48:49], null, 0xffffff62, s2, v[0:1]
	v_mov_b32_e32 v49, v1
	s_delay_alu instid0(VALU_DEP_3) | instskip(NEXT) | instid1(VALU_DEP_1)
	v_div_fixup_f64 v[36:37], v[46:47], v[36:37], 1.0
	v_mul_f64_e32 v[32:33], v[32:33], v[36:37]
	v_lshlrev_b64_e32 v[36:37], 3, v[0:1]
	s_delay_alu instid0(VALU_DEP_1) | instskip(SKIP_1) | instid1(VALU_DEP_2)
	v_add_co_u32 v46, vcc_lo, s6, v36
	s_wait_alu 0xfffd
	v_add_co_ci_u32_e64 v47, null, s7, v37, vcc_lo
	v_add_co_u32 v36, vcc_lo, s8, v36
	s_wait_alu 0xfffd
	v_add_co_ci_u32_e64 v37, null, s9, v37, vcc_lo
	global_load_b64 v[46:47], v[46:47], off
	v_min_num_f64_e32 v[32:33], s[0:1], v[32:33]
	s_wait_loadcnt 0x0
	s_delay_alu instid0(VALU_DEP_1) | instskip(SKIP_3) | instid1(VALU_DEP_2)
	v_mul_f64_e32 v[32:33], v[32:33], v[46:47]
	global_store_b64 v[36:37], v[32:33], off
	v_lshlrev_b64_e32 v[32:33], 3, v[48:49]
	v_mul_f64_e32 v[36:37], v[38:39], v[58:59]
	v_add_co_u32 v32, vcc_lo, s10, v32
	s_wait_alu 0xfffd
	s_delay_alu instid0(VALU_DEP_3) | instskip(SKIP_4) | instid1(VALU_DEP_1)
	v_add_co_ci_u32_e64 v33, null, s11, v33, vcc_lo
	global_load_b64 v[49:50], v[32:33], off
	v_mul_f64_e32 v[46:47], v[2:3], v[36:37]
	s_wait_loadcnt 0x0
	v_div_scale_f64 v[51:52], null, v[49:50], v[49:50], 1.0
	v_rcp_f64_e32 v[53:54], v[51:52]
	s_delay_alu instid0(TRANS32_DEP_1) | instskip(NEXT) | instid1(VALU_DEP_1)
	v_fma_f64 v[55:56], -v[51:52], v[53:54], 1.0
	v_fma_f64 v[53:54], v[53:54], v[55:56], v[53:54]
	s_delay_alu instid0(VALU_DEP_1) | instskip(NEXT) | instid1(VALU_DEP_1)
	v_fma_f64 v[55:56], -v[51:52], v[53:54], 1.0
	v_fma_f64 v[53:54], v[53:54], v[55:56], v[53:54]
	v_div_scale_f64 v[55:56], vcc_lo, 1.0, v[49:50], 1.0
	s_delay_alu instid0(VALU_DEP_1) | instskip(NEXT) | instid1(VALU_DEP_1)
	v_mul_f64_e32 v[57:58], v[55:56], v[53:54]
	v_fma_f64 v[51:52], -v[51:52], v[57:58], v[55:56]
	s_wait_alu 0xfffd
	s_delay_alu instid0(VALU_DEP_1) | instskip(NEXT) | instid1(VALU_DEP_1)
	v_div_fmas_f64 v[51:52], v[51:52], v[53:54], v[57:58]
	v_div_fixup_f64 v[49:50], v[51:52], v[49:50], 1.0
	s_delay_alu instid0(VALU_DEP_1) | instskip(SKIP_2) | instid1(VALU_DEP_1)
	v_mul_f64_e32 v[46:47], v[46:47], v[49:50]
	v_mad_co_u64_u32 v[48:49], null, 0x9f, s2, v[48:49]
	v_mov_b32_e32 v49, v1
	v_lshlrev_b64_e32 v[49:50], 3, v[48:49]
	v_add_nc_u32_e32 v0, s2, v48
	s_delay_alu instid0(VALU_DEP_2) | instskip(SKIP_1) | instid1(VALU_DEP_3)
	v_add_co_u32 v51, vcc_lo, s6, v49
	s_wait_alu 0xfffd
	v_add_co_ci_u32_e64 v52, null, s7, v50, vcc_lo
	v_add_co_u32 v49, vcc_lo, s8, v49
	s_wait_alu 0xfffd
	v_add_co_ci_u32_e64 v50, null, s9, v50, vcc_lo
	global_load_b64 v[51:52], v[51:52], off
	v_min_num_f64_e32 v[46:47], s[0:1], v[46:47]
	s_wait_loadcnt 0x0
	s_delay_alu instid0(VALU_DEP_1) | instskip(SKIP_2) | instid1(TRANS32_DEP_1)
	v_mul_f64_e32 v[46:47], v[51:52], v[46:47]
	global_store_b64 v[49:50], v[46:47], off
	v_rcp_f64_e32 v[46:47], v[34:35]
	v_fma_f64 v[49:50], -v[34:35], v[46:47], 1.0
	s_delay_alu instid0(VALU_DEP_1) | instskip(NEXT) | instid1(VALU_DEP_1)
	v_fma_f64 v[46:47], v[46:47], v[49:50], v[46:47]
	v_fma_f64 v[49:50], -v[34:35], v[46:47], 1.0
	s_delay_alu instid0(VALU_DEP_1) | instskip(SKIP_1) | instid1(VALU_DEP_1)
	v_fma_f64 v[46:47], v[46:47], v[49:50], v[46:47]
	v_div_scale_f64 v[49:50], vcc_lo, 1.0, v[30:31], 1.0
	v_mul_f64_e32 v[51:52], v[49:50], v[46:47]
	s_delay_alu instid0(VALU_DEP_1) | instskip(SKIP_1) | instid1(VALU_DEP_1)
	v_fma_f64 v[34:35], -v[34:35], v[51:52], v[49:50]
	s_wait_alu 0xfffd
	v_div_fmas_f64 v[34:35], v[34:35], v[46:47], v[51:52]
	s_delay_alu instid0(VALU_DEP_1) | instskip(SKIP_2) | instid1(VALU_DEP_3)
	v_div_fixup_f64 v[30:31], v[34:35], v[30:31], 1.0
	v_lshlrev_b64_e32 v[34:35], 3, v[0:1]
	v_add_nc_u32_e32 v0, s2, v0
	v_mul_f64_e32 v[30:31], v[30:31], v[36:37]
	s_delay_alu instid0(VALU_DEP_3) | instskip(SKIP_1) | instid1(VALU_DEP_4)
	v_add_co_u32 v36, vcc_lo, s6, v34
	s_wait_alu 0xfffd
	v_add_co_ci_u32_e64 v37, null, s7, v35, vcc_lo
	v_add_co_u32 v34, vcc_lo, s8, v34
	s_wait_alu 0xfffd
	v_add_co_ci_u32_e64 v35, null, s9, v35, vcc_lo
	global_load_b64 v[36:37], v[36:37], off
	v_min_num_f64_e32 v[30:31], s[0:1], v[30:31]
	s_wait_loadcnt 0x0
	s_delay_alu instid0(VALU_DEP_1)
	v_mul_f64_e32 v[30:31], v[30:31], v[36:37]
	global_store_b64 v[34:35], v[30:31], off
	global_load_b64 v[34:35], v[22:23], off
	s_wait_loadcnt 0x0
	v_mul_f64_e32 v[30:31], v[38:39], v[34:35]
	s_clause 0x1
	global_load_b64 v[36:37], v[14:15], off
	global_load_b64 v[38:39], v[6:7], off
	s_wait_loadcnt 0x0
	v_mul_f64_e32 v[36:37], v[36:37], v[38:39]
	s_delay_alu instid0(VALU_DEP_1) | instskip(NEXT) | instid1(VALU_DEP_1)
	v_div_scale_f64 v[46:47], null, v[36:37], v[36:37], 1.0
	v_rcp_f64_e32 v[48:49], v[46:47]
	s_delay_alu instid0(TRANS32_DEP_1) | instskip(NEXT) | instid1(VALU_DEP_1)
	v_fma_f64 v[50:51], -v[46:47], v[48:49], 1.0
	v_fma_f64 v[48:49], v[48:49], v[50:51], v[48:49]
	s_delay_alu instid0(VALU_DEP_1) | instskip(NEXT) | instid1(VALU_DEP_1)
	v_fma_f64 v[50:51], -v[46:47], v[48:49], 1.0
	v_fma_f64 v[48:49], v[48:49], v[50:51], v[48:49]
	v_div_scale_f64 v[50:51], vcc_lo, 1.0, v[36:37], 1.0
	s_delay_alu instid0(VALU_DEP_1) | instskip(NEXT) | instid1(VALU_DEP_1)
	v_mul_f64_e32 v[52:53], v[50:51], v[48:49]
	v_fma_f64 v[46:47], -v[46:47], v[52:53], v[50:51]
	s_wait_alu 0xfffd
	s_delay_alu instid0(VALU_DEP_1) | instskip(NEXT) | instid1(VALU_DEP_1)
	v_div_fmas_f64 v[46:47], v[46:47], v[48:49], v[52:53]
	v_div_fixup_f64 v[36:37], v[46:47], v[36:37], 1.0
	s_delay_alu instid0(VALU_DEP_1) | instskip(SKIP_2) | instid1(VALU_DEP_2)
	v_mul_f64_e32 v[30:31], v[30:31], v[36:37]
	v_lshlrev_b64_e32 v[36:37], 3, v[0:1]
	v_add_nc_u32_e32 v0, s4, v0
	v_add_co_u32 v46, vcc_lo, s6, v36
	s_wait_alu 0xfffd
	s_delay_alu instid0(VALU_DEP_3)
	v_add_co_ci_u32_e64 v47, null, s7, v37, vcc_lo
	v_add_co_u32 v36, vcc_lo, s8, v36
	s_wait_alu 0xfffd
	v_add_co_ci_u32_e64 v37, null, s9, v37, vcc_lo
	global_load_b64 v[46:47], v[46:47], off
	v_lshlrev_b64_e32 v[48:49], 3, v[0:1]
	v_add_nc_u32_e32 v0, s3, v0
	s_delay_alu instid0(VALU_DEP_2) | instskip(SKIP_1) | instid1(VALU_DEP_3)
	v_add_co_u32 v48, vcc_lo, s10, v48
	s_wait_alu 0xfffd
	v_add_co_ci_u32_e64 v49, null, s11, v49, vcc_lo
	v_min_num_f64_e32 v[30:31], s[0:1], v[30:31]
	s_wait_loadcnt 0x0
	s_delay_alu instid0(VALU_DEP_1)
	v_mul_f64_e32 v[30:31], v[46:47], v[30:31]
	global_store_b64 v[36:37], v[30:31], off
	s_clause 0x3
	global_load_b64 v[30:31], v[16:17], off
	global_load_b64 v[40:41], v[40:41], off
	global_load_b64 v[36:37], v[4:5], off
	global_load_b64 v[48:49], v[48:49], off
	s_wait_loadcnt 0x3
	v_mul_f64_e32 v[30:31], v[30:31], v[34:35]
	s_wait_loadcnt 0x1
	v_mul_f64_e32 v[46:47], v[40:41], v[36:37]
	s_wait_loadcnt 0x0
	s_delay_alu instid0(VALU_DEP_1) | instskip(NEXT) | instid1(VALU_DEP_1)
	v_mul_f64_e32 v[46:47], v[46:47], v[48:49]
	v_mul_f64_e32 v[46:47], v[2:3], v[46:47]
	s_delay_alu instid0(VALU_DEP_1) | instskip(NEXT) | instid1(VALU_DEP_1)
	v_div_scale_f64 v[48:49], null, v[46:47], v[46:47], 1.0
	v_rcp_f64_e32 v[50:51], v[48:49]
	s_delay_alu instid0(TRANS32_DEP_1) | instskip(NEXT) | instid1(VALU_DEP_1)
	v_fma_f64 v[52:53], -v[48:49], v[50:51], 1.0
	v_fma_f64 v[50:51], v[50:51], v[52:53], v[50:51]
	s_delay_alu instid0(VALU_DEP_1) | instskip(NEXT) | instid1(VALU_DEP_1)
	v_fma_f64 v[52:53], -v[48:49], v[50:51], 1.0
	v_fma_f64 v[50:51], v[50:51], v[52:53], v[50:51]
	v_div_scale_f64 v[52:53], vcc_lo, 1.0, v[46:47], 1.0
	s_delay_alu instid0(VALU_DEP_1) | instskip(NEXT) | instid1(VALU_DEP_1)
	v_mul_f64_e32 v[54:55], v[52:53], v[50:51]
	v_fma_f64 v[48:49], -v[48:49], v[54:55], v[52:53]
	s_wait_alu 0xfffd
	s_delay_alu instid0(VALU_DEP_1) | instskip(NEXT) | instid1(VALU_DEP_1)
	v_div_fmas_f64 v[48:49], v[48:49], v[50:51], v[54:55]
	v_div_fixup_f64 v[46:47], v[48:49], v[46:47], 1.0
	v_lshlrev_b64_e32 v[48:49], 3, v[0:1]
	v_add_nc_u32_e32 v0, s2, v0
	s_delay_alu instid0(VALU_DEP_2) | instskip(SKIP_1) | instid1(VALU_DEP_3)
	v_add_co_u32 v50, vcc_lo, s6, v48
	s_wait_alu 0xfffd
	v_add_co_ci_u32_e64 v51, null, s7, v49, vcc_lo
	v_add_co_u32 v48, vcc_lo, s8, v48
	s_wait_alu 0xfffd
	v_add_co_ci_u32_e64 v49, null, s9, v49, vcc_lo
	global_load_b64 v[50:51], v[50:51], off
	v_mul_f64_e32 v[46:47], v[30:31], v[46:47]
	s_delay_alu instid0(VALU_DEP_1) | instskip(SKIP_1) | instid1(VALU_DEP_1)
	v_min_num_f64_e32 v[46:47], s[0:1], v[46:47]
	s_wait_loadcnt 0x0
	v_mul_f64_e32 v[46:47], v[50:51], v[46:47]
	global_store_b64 v[48:49], v[46:47], off
	s_clause 0x4
	global_load_b64 v[42:43], v[42:43], off
	global_load_b64 v[20:21], v[20:21], off
	;; [unrolled: 1-line block ×5, first 2 shown]
	s_wait_loadcnt 0x3
	v_mul_f64_e32 v[42:43], v[42:43], v[20:21]
	s_wait_loadcnt 0x0
	v_mul_f64_e32 v[10:11], v[10:11], v[38:39]
	s_delay_alu instid0(VALU_DEP_2) | instskip(NEXT) | instid1(VALU_DEP_1)
	v_div_scale_f64 v[46:47], null, v[42:43], v[42:43], 1.0
	v_rcp_f64_e32 v[48:49], v[46:47]
	s_delay_alu instid0(TRANS32_DEP_1) | instskip(NEXT) | instid1(VALU_DEP_1)
	v_fma_f64 v[50:51], -v[46:47], v[48:49], 1.0
	v_fma_f64 v[48:49], v[48:49], v[50:51], v[48:49]
	s_delay_alu instid0(VALU_DEP_1) | instskip(NEXT) | instid1(VALU_DEP_1)
	v_fma_f64 v[50:51], -v[46:47], v[48:49], 1.0
	v_fma_f64 v[48:49], v[48:49], v[50:51], v[48:49]
	v_div_scale_f64 v[50:51], vcc_lo, 1.0, v[42:43], 1.0
	s_delay_alu instid0(VALU_DEP_1) | instskip(NEXT) | instid1(VALU_DEP_1)
	v_mul_f64_e32 v[52:53], v[50:51], v[48:49]
	v_fma_f64 v[46:47], -v[46:47], v[52:53], v[50:51]
	s_wait_alu 0xfffd
	s_delay_alu instid0(VALU_DEP_1) | instskip(NEXT) | instid1(VALU_DEP_1)
	v_div_fmas_f64 v[46:47], v[46:47], v[48:49], v[52:53]
	v_div_fixup_f64 v[42:43], v[46:47], v[42:43], 1.0
	v_lshlrev_b64_e32 v[46:47], 3, v[0:1]
	v_add_nc_u32_e32 v0, s2, v0
	s_delay_alu instid0(VALU_DEP_2) | instskip(SKIP_1) | instid1(VALU_DEP_3)
	v_add_co_u32 v48, vcc_lo, s6, v46
	s_wait_alu 0xfffd
	v_add_co_ci_u32_e64 v49, null, s7, v47, vcc_lo
	v_add_co_u32 v46, vcc_lo, s8, v46
	s_wait_alu 0xfffd
	v_add_co_ci_u32_e64 v47, null, s9, v47, vcc_lo
	global_load_b64 v[48:49], v[48:49], off
	v_mul_f64_e32 v[42:43], v[30:31], v[42:43]
	s_delay_alu instid0(VALU_DEP_1) | instskip(SKIP_1) | instid1(VALU_DEP_1)
	v_min_num_f64_e32 v[42:43], s[0:1], v[42:43]
	s_wait_loadcnt 0x0
	v_mul_f64_e32 v[42:43], v[48:49], v[42:43]
	global_store_b64 v[46:47], v[42:43], off
	v_mul_f64_e32 v[42:43], v[28:29], v[38:39]
	s_delay_alu instid0(VALU_DEP_1) | instskip(NEXT) | instid1(VALU_DEP_1)
	v_div_scale_f64 v[46:47], null, v[42:43], v[42:43], 1.0
	v_rcp_f64_e32 v[48:49], v[46:47]
	s_delay_alu instid0(TRANS32_DEP_1) | instskip(NEXT) | instid1(VALU_DEP_1)
	v_fma_f64 v[50:51], -v[46:47], v[48:49], 1.0
	v_fma_f64 v[48:49], v[48:49], v[50:51], v[48:49]
	s_delay_alu instid0(VALU_DEP_1) | instskip(NEXT) | instid1(VALU_DEP_1)
	v_fma_f64 v[50:51], -v[46:47], v[48:49], 1.0
	v_fma_f64 v[48:49], v[48:49], v[50:51], v[48:49]
	v_div_scale_f64 v[50:51], vcc_lo, 1.0, v[42:43], 1.0
	s_delay_alu instid0(VALU_DEP_1) | instskip(NEXT) | instid1(VALU_DEP_1)
	v_mul_f64_e32 v[52:53], v[50:51], v[48:49]
	v_fma_f64 v[46:47], -v[46:47], v[52:53], v[50:51]
	s_wait_alu 0xfffd
	s_delay_alu instid0(VALU_DEP_1) | instskip(NEXT) | instid1(VALU_DEP_1)
	v_div_fmas_f64 v[46:47], v[46:47], v[48:49], v[52:53]
	v_div_fixup_f64 v[42:43], v[46:47], v[42:43], 1.0
	s_delay_alu instid0(VALU_DEP_1) | instskip(SKIP_2) | instid1(VALU_DEP_2)
	v_mul_f64_e32 v[30:31], v[30:31], v[42:43]
	v_lshlrev_b64_e32 v[42:43], 3, v[0:1]
	v_add_nc_u32_e32 v0, s2, v0
	v_add_co_u32 v46, vcc_lo, s6, v42
	s_wait_alu 0xfffd
	s_delay_alu instid0(VALU_DEP_3)
	v_add_co_ci_u32_e64 v47, null, s7, v43, vcc_lo
	v_add_co_u32 v42, vcc_lo, s8, v42
	s_wait_alu 0xfffd
	v_add_co_ci_u32_e64 v43, null, s9, v43, vcc_lo
	global_load_b64 v[46:47], v[46:47], off
	v_min_num_f64_e32 v[30:31], s[0:1], v[30:31]
	s_wait_loadcnt 0x0
	s_delay_alu instid0(VALU_DEP_1)
	v_mul_f64_e32 v[30:31], v[46:47], v[30:31]
	global_store_b64 v[42:43], v[30:31], off
	global_load_b64 v[30:31], v[44:45], off
	v_mul_f64_e32 v[42:43], v[28:29], v[34:35]
	s_wait_loadcnt 0x0
	v_mul_f64_e32 v[44:45], v[30:31], v[38:39]
	s_delay_alu instid0(VALU_DEP_1) | instskip(NEXT) | instid1(VALU_DEP_1)
	v_div_scale_f64 v[46:47], null, v[44:45], v[44:45], 1.0
	v_rcp_f64_e32 v[48:49], v[46:47]
	s_delay_alu instid0(TRANS32_DEP_1) | instskip(NEXT) | instid1(VALU_DEP_1)
	v_fma_f64 v[50:51], -v[46:47], v[48:49], 1.0
	v_fma_f64 v[48:49], v[48:49], v[50:51], v[48:49]
	s_delay_alu instid0(VALU_DEP_1) | instskip(NEXT) | instid1(VALU_DEP_1)
	v_fma_f64 v[50:51], -v[46:47], v[48:49], 1.0
	v_fma_f64 v[48:49], v[48:49], v[50:51], v[48:49]
	v_div_scale_f64 v[50:51], vcc_lo, 1.0, v[44:45], 1.0
	s_delay_alu instid0(VALU_DEP_1) | instskip(NEXT) | instid1(VALU_DEP_1)
	v_mul_f64_e32 v[52:53], v[50:51], v[48:49]
	v_fma_f64 v[46:47], -v[46:47], v[52:53], v[50:51]
	s_wait_alu 0xfffd
	s_delay_alu instid0(VALU_DEP_1) | instskip(NEXT) | instid1(VALU_DEP_1)
	v_div_fmas_f64 v[46:47], v[46:47], v[48:49], v[52:53]
	v_div_fixup_f64 v[44:45], v[46:47], v[44:45], 1.0
	s_delay_alu instid0(VALU_DEP_1) | instskip(SKIP_2) | instid1(VALU_DEP_2)
	v_mul_f64_e32 v[42:43], v[42:43], v[44:45]
	v_lshlrev_b64_e32 v[44:45], 3, v[0:1]
	v_add_nc_u32_e32 v0, s2, v0
	v_add_co_u32 v46, vcc_lo, s6, v44
	s_wait_alu 0xfffd
	s_delay_alu instid0(VALU_DEP_3)
	v_add_co_ci_u32_e64 v47, null, s7, v45, vcc_lo
	v_add_co_u32 v44, vcc_lo, s8, v44
	s_wait_alu 0xfffd
	v_add_co_ci_u32_e64 v45, null, s9, v45, vcc_lo
	global_load_b64 v[46:47], v[46:47], off
	v_min_num_f64_e32 v[42:43], s[0:1], v[42:43]
	s_wait_loadcnt 0x0
	s_delay_alu instid0(VALU_DEP_1) | instskip(SKIP_4) | instid1(VALU_DEP_3)
	v_mul_f64_e32 v[42:43], v[46:47], v[42:43]
	global_store_b64 v[44:45], v[42:43], off
	v_div_scale_f64 v[44:45], null, v[10:11], v[10:11], 1.0
	v_mul_f64_e32 v[42:43], v[26:27], v[34:35]
	v_mul_f64_e32 v[34:35], v[36:37], v[34:35]
	v_rcp_f64_e32 v[46:47], v[44:45]
	s_delay_alu instid0(TRANS32_DEP_1) | instskip(NEXT) | instid1(VALU_DEP_1)
	v_fma_f64 v[48:49], -v[44:45], v[46:47], 1.0
	v_fma_f64 v[46:47], v[46:47], v[48:49], v[46:47]
	s_delay_alu instid0(VALU_DEP_1) | instskip(NEXT) | instid1(VALU_DEP_1)
	v_fma_f64 v[48:49], -v[44:45], v[46:47], 1.0
	v_fma_f64 v[46:47], v[46:47], v[48:49], v[46:47]
	v_div_scale_f64 v[48:49], vcc_lo, 1.0, v[10:11], 1.0
	s_delay_alu instid0(VALU_DEP_1) | instskip(NEXT) | instid1(VALU_DEP_1)
	v_mul_f64_e32 v[50:51], v[48:49], v[46:47]
	v_fma_f64 v[44:45], -v[44:45], v[50:51], v[48:49]
	s_wait_alu 0xfffd
	s_delay_alu instid0(VALU_DEP_1) | instskip(NEXT) | instid1(VALU_DEP_1)
	v_div_fmas_f64 v[44:45], v[44:45], v[46:47], v[50:51]
	v_div_fixup_f64 v[10:11], v[44:45], v[10:11], 1.0
	s_delay_alu instid0(VALU_DEP_1) | instskip(SKIP_2) | instid1(VALU_DEP_2)
	v_mul_f64_e32 v[10:11], v[42:43], v[10:11]
	v_lshlrev_b64_e32 v[42:43], 3, v[0:1]
	v_add_nc_u32_e32 v0, s2, v0
	v_add_co_u32 v44, vcc_lo, s6, v42
	s_wait_alu 0xfffd
	s_delay_alu instid0(VALU_DEP_3)
	v_add_co_ci_u32_e64 v45, null, s7, v43, vcc_lo
	v_add_co_u32 v42, vcc_lo, s8, v42
	s_wait_alu 0xfffd
	v_add_co_ci_u32_e64 v43, null, s9, v43, vcc_lo
	global_load_b64 v[44:45], v[44:45], off
	v_min_num_f64_e32 v[10:11], s[0:1], v[10:11]
	s_wait_loadcnt 0x0
	s_delay_alu instid0(VALU_DEP_1) | instskip(SKIP_4) | instid1(VALU_DEP_1)
	v_mul_f64_e32 v[10:11], v[44:45], v[10:11]
	global_store_b64 v[42:43], v[10:11], off
	global_load_b64 v[10:11], v[24:25], off
	s_wait_loadcnt 0x0
	v_mul_f64_e32 v[24:25], v[10:11], v[38:39]
	v_div_scale_f64 v[38:39], null, v[24:25], v[24:25], 1.0
	s_delay_alu instid0(VALU_DEP_1) | instskip(NEXT) | instid1(TRANS32_DEP_1)
	v_rcp_f64_e32 v[42:43], v[38:39]
	v_fma_f64 v[44:45], -v[38:39], v[42:43], 1.0
	s_delay_alu instid0(VALU_DEP_1) | instskip(NEXT) | instid1(VALU_DEP_1)
	v_fma_f64 v[42:43], v[42:43], v[44:45], v[42:43]
	v_fma_f64 v[44:45], -v[38:39], v[42:43], 1.0
	s_delay_alu instid0(VALU_DEP_1) | instskip(SKIP_1) | instid1(VALU_DEP_1)
	v_fma_f64 v[42:43], v[42:43], v[44:45], v[42:43]
	v_div_scale_f64 v[44:45], vcc_lo, 1.0, v[24:25], 1.0
	v_mul_f64_e32 v[46:47], v[44:45], v[42:43]
	s_delay_alu instid0(VALU_DEP_1) | instskip(SKIP_1) | instid1(VALU_DEP_1)
	v_fma_f64 v[38:39], -v[38:39], v[46:47], v[44:45]
	s_wait_alu 0xfffd
	v_div_fmas_f64 v[38:39], v[38:39], v[42:43], v[46:47]
	s_delay_alu instid0(VALU_DEP_1) | instskip(NEXT) | instid1(VALU_DEP_1)
	v_div_fixup_f64 v[24:25], v[38:39], v[24:25], 1.0
	v_mul_f64_e32 v[24:25], v[34:35], v[24:25]
	v_lshlrev_b64_e32 v[34:35], 3, v[0:1]
	v_add_nc_u32_e32 v0, s2, v0
	s_delay_alu instid0(VALU_DEP_2) | instskip(SKIP_1) | instid1(VALU_DEP_3)
	v_add_co_u32 v38, vcc_lo, s6, v34
	s_wait_alu 0xfffd
	v_add_co_ci_u32_e64 v39, null, s7, v35, vcc_lo
	v_add_co_u32 v34, vcc_lo, s8, v34
	s_wait_alu 0xfffd
	v_add_co_ci_u32_e64 v35, null, s9, v35, vcc_lo
	global_load_b64 v[38:39], v[38:39], off
	v_min_num_f64_e32 v[24:25], s[0:1], v[24:25]
	s_wait_loadcnt 0x0
	s_delay_alu instid0(VALU_DEP_1) | instskip(SKIP_3) | instid1(VALU_DEP_1)
	v_mul_f64_e32 v[24:25], v[38:39], v[24:25]
	global_store_b64 v[34:35], v[24:25], off
	global_load_b64 v[24:25], v[32:33], off
	v_mul_f64_e32 v[34:35], v[36:37], v[20:21]
	v_div_scale_f64 v[36:37], null, v[34:35], v[34:35], 1.0
	s_delay_alu instid0(VALU_DEP_1) | instskip(SKIP_2) | instid1(TRANS32_DEP_1)
	v_rcp_f64_e32 v[38:39], v[36:37]
	s_wait_loadcnt 0x0
	v_mul_f64_e32 v[32:33], v[40:41], v[24:25]
	v_fma_f64 v[40:41], -v[36:37], v[38:39], 1.0
	s_delay_alu instid0(VALU_DEP_1) | instskip(NEXT) | instid1(VALU_DEP_1)
	v_fma_f64 v[38:39], v[38:39], v[40:41], v[38:39]
	v_fma_f64 v[40:41], -v[36:37], v[38:39], 1.0
	s_delay_alu instid0(VALU_DEP_1) | instskip(SKIP_1) | instid1(VALU_DEP_1)
	v_fma_f64 v[38:39], v[38:39], v[40:41], v[38:39]
	v_div_scale_f64 v[40:41], vcc_lo, 1.0, v[34:35], 1.0
	v_mul_f64_e32 v[42:43], v[40:41], v[38:39]
	s_delay_alu instid0(VALU_DEP_1) | instskip(SKIP_1) | instid1(VALU_DEP_1)
	v_fma_f64 v[36:37], -v[36:37], v[42:43], v[40:41]
	s_wait_alu 0xfffd
	v_div_fmas_f64 v[36:37], v[36:37], v[38:39], v[42:43]
	s_delay_alu instid0(VALU_DEP_1) | instskip(SKIP_2) | instid1(VALU_DEP_2)
	v_div_fixup_f64 v[34:35], v[36:37], v[34:35], 1.0
	v_lshlrev_b64_e32 v[36:37], 3, v[0:1]
	v_add_nc_u32_e32 v0, s2, v0
	v_add_co_u32 v38, vcc_lo, s6, v36
	s_wait_alu 0xfffd
	s_delay_alu instid0(VALU_DEP_3)
	v_add_co_ci_u32_e64 v39, null, s7, v37, vcc_lo
	v_add_co_u32 v36, vcc_lo, s8, v36
	s_wait_alu 0xfffd
	v_add_co_ci_u32_e64 v37, null, s9, v37, vcc_lo
	global_load_b64 v[38:39], v[38:39], off
	v_mul_f64_e32 v[34:35], v[32:33], v[34:35]
	s_delay_alu instid0(VALU_DEP_1) | instskip(SKIP_1) | instid1(VALU_DEP_1)
	v_min_num_f64_e32 v[34:35], s[0:1], v[34:35]
	s_wait_loadcnt 0x0
	v_mul_f64_e32 v[34:35], v[38:39], v[34:35]
	global_store_b64 v[36:37], v[34:35], off
	s_clause 0x5
	global_load_b64 v[34:35], v[14:15], off
	global_load_b64 v[14:15], v[22:23], off
	global_load_b64 v[16:17], v[16:17], off
	global_load_b64 v[8:9], v[8:9], off
	global_load_b64 v[4:5], v[4:5], off
	global_load_b64 v[6:7], v[6:7], off
	s_wait_loadcnt 0x4
	v_mul_f64_e32 v[22:23], v[34:35], v[14:15]
	s_wait_loadcnt 0x3
	v_mul_f64_e32 v[16:17], v[16:17], v[24:25]
	s_delay_alu instid0(VALU_DEP_2) | instskip(NEXT) | instid1(VALU_DEP_1)
	v_div_scale_f64 v[34:35], null, v[22:23], v[22:23], 1.0
	v_rcp_f64_e32 v[36:37], v[34:35]
	s_delay_alu instid0(TRANS32_DEP_1) | instskip(NEXT) | instid1(VALU_DEP_1)
	v_fma_f64 v[38:39], -v[34:35], v[36:37], 1.0
	v_fma_f64 v[36:37], v[36:37], v[38:39], v[36:37]
	s_delay_alu instid0(VALU_DEP_1) | instskip(NEXT) | instid1(VALU_DEP_1)
	v_fma_f64 v[38:39], -v[34:35], v[36:37], 1.0
	v_fma_f64 v[36:37], v[36:37], v[38:39], v[36:37]
	v_div_scale_f64 v[38:39], vcc_lo, 1.0, v[22:23], 1.0
	s_delay_alu instid0(VALU_DEP_1) | instskip(NEXT) | instid1(VALU_DEP_1)
	v_mul_f64_e32 v[40:41], v[38:39], v[36:37]
	v_fma_f64 v[34:35], -v[34:35], v[40:41], v[38:39]
	s_wait_alu 0xfffd
	s_delay_alu instid0(VALU_DEP_1) | instskip(NEXT) | instid1(VALU_DEP_1)
	v_div_fmas_f64 v[34:35], v[34:35], v[36:37], v[40:41]
	v_div_fixup_f64 v[22:23], v[34:35], v[22:23], 1.0
	s_delay_alu instid0(VALU_DEP_1) | instskip(SKIP_2) | instid1(VALU_DEP_2)
	v_mul_f64_e32 v[22:23], v[32:33], v[22:23]
	v_lshlrev_b64_e32 v[32:33], 3, v[0:1]
	v_add_nc_u32_e32 v0, s2, v0
	v_add_co_u32 v34, vcc_lo, s6, v32
	s_wait_alu 0xfffd
	s_delay_alu instid0(VALU_DEP_3)
	v_add_co_ci_u32_e64 v35, null, s7, v33, vcc_lo
	v_add_co_u32 v32, vcc_lo, s8, v32
	s_wait_alu 0xfffd
	v_add_co_ci_u32_e64 v33, null, s9, v33, vcc_lo
	global_load_b64 v[34:35], v[34:35], off
	v_min_num_f64_e32 v[22:23], s[0:1], v[22:23]
	s_wait_loadcnt 0x0
	s_delay_alu instid0(VALU_DEP_1) | instskip(SKIP_3) | instid1(VALU_DEP_2)
	v_mul_f64_e32 v[22:23], v[34:35], v[22:23]
	global_store_b64 v[32:33], v[22:23], off
	v_mul_f64_e32 v[22:23], v[8:9], v[20:21]
	v_mul_f64_e32 v[8:9], v[28:29], v[8:9]
	v_div_scale_f64 v[32:33], null, v[22:23], v[22:23], 1.0
	s_delay_alu instid0(VALU_DEP_2) | instskip(NEXT) | instid1(VALU_DEP_2)
	v_mul_f64_e32 v[8:9], v[8:9], v[20:21]
	v_rcp_f64_e32 v[34:35], v[32:33]
	s_delay_alu instid0(VALU_DEP_1) | instskip(NEXT) | instid1(TRANS32_DEP_1)
	v_mul_f64_e32 v[2:3], v[2:3], v[8:9]
	v_fma_f64 v[36:37], -v[32:33], v[34:35], 1.0
	s_delay_alu instid0(VALU_DEP_2) | instskip(NEXT) | instid1(VALU_DEP_2)
	v_div_scale_f64 v[8:9], null, v[2:3], v[2:3], 1.0
	v_fma_f64 v[34:35], v[34:35], v[36:37], v[34:35]
	s_delay_alu instid0(VALU_DEP_1) | instskip(NEXT) | instid1(VALU_DEP_1)
	v_fma_f64 v[36:37], -v[32:33], v[34:35], 1.0
	v_fma_f64 v[34:35], v[34:35], v[36:37], v[34:35]
	v_div_scale_f64 v[36:37], vcc_lo, 1.0, v[22:23], 1.0
	s_delay_alu instid0(VALU_DEP_1) | instskip(NEXT) | instid1(VALU_DEP_1)
	v_mul_f64_e32 v[38:39], v[36:37], v[34:35]
	v_fma_f64 v[32:33], -v[32:33], v[38:39], v[36:37]
	s_wait_alu 0xfffd
	s_delay_alu instid0(VALU_DEP_1) | instskip(NEXT) | instid1(VALU_DEP_1)
	v_div_fmas_f64 v[32:33], v[32:33], v[34:35], v[38:39]
	v_div_fixup_f64 v[22:23], v[32:33], v[22:23], 1.0
	s_delay_alu instid0(VALU_DEP_1) | instskip(SKIP_2) | instid1(VALU_DEP_2)
	v_mul_f64_e32 v[16:17], v[16:17], v[22:23]
	v_lshlrev_b64_e32 v[22:23], 3, v[0:1]
	v_add_nc_u32_e32 v0, s2, v0
	v_add_co_u32 v32, vcc_lo, s6, v22
	s_wait_alu 0xfffd
	s_delay_alu instid0(VALU_DEP_3)
	v_add_co_ci_u32_e64 v33, null, s7, v23, vcc_lo
	v_add_co_u32 v22, vcc_lo, s8, v22
	s_wait_alu 0xfffd
	v_add_co_ci_u32_e64 v23, null, s9, v23, vcc_lo
	global_load_b64 v[32:33], v[32:33], off
	v_min_num_f64_e32 v[16:17], s[0:1], v[16:17]
	s_wait_loadcnt 0x0
	s_delay_alu instid0(VALU_DEP_1) | instskip(SKIP_3) | instid1(VALU_DEP_2)
	v_mul_f64_e32 v[16:17], v[32:33], v[16:17]
	global_store_b64 v[22:23], v[16:17], off
	v_mul_f64_e32 v[22:23], v[30:31], v[14:15]
	v_mul_f64_e32 v[16:17], v[28:29], v[24:25]
	v_div_scale_f64 v[30:31], null, v[22:23], v[22:23], 1.0
	s_delay_alu instid0(VALU_DEP_1) | instskip(NEXT) | instid1(TRANS32_DEP_1)
	v_rcp_f64_e32 v[32:33], v[30:31]
	v_fma_f64 v[34:35], -v[30:31], v[32:33], 1.0
	s_delay_alu instid0(VALU_DEP_1) | instskip(NEXT) | instid1(VALU_DEP_1)
	v_fma_f64 v[32:33], v[32:33], v[34:35], v[32:33]
	v_fma_f64 v[34:35], -v[30:31], v[32:33], 1.0
	s_delay_alu instid0(VALU_DEP_1) | instskip(SKIP_1) | instid1(VALU_DEP_1)
	v_fma_f64 v[32:33], v[32:33], v[34:35], v[32:33]
	v_div_scale_f64 v[34:35], vcc_lo, 1.0, v[22:23], 1.0
	v_mul_f64_e32 v[36:37], v[34:35], v[32:33]
	s_delay_alu instid0(VALU_DEP_1) | instskip(SKIP_1) | instid1(VALU_DEP_1)
	v_fma_f64 v[30:31], -v[30:31], v[36:37], v[34:35]
	s_wait_alu 0xfffd
	v_div_fmas_f64 v[30:31], v[30:31], v[32:33], v[36:37]
	s_delay_alu instid0(VALU_DEP_1) | instskip(NEXT) | instid1(VALU_DEP_1)
	v_div_fixup_f64 v[22:23], v[30:31], v[22:23], 1.0
	v_mul_f64_e32 v[16:17], v[16:17], v[22:23]
	v_lshlrev_b64_e32 v[22:23], 3, v[0:1]
	v_add_nc_u32_e32 v0, s2, v0
	s_delay_alu instid0(VALU_DEP_2) | instskip(SKIP_1) | instid1(VALU_DEP_3)
	v_add_co_u32 v30, vcc_lo, s6, v22
	s_wait_alu 0xfffd
	v_add_co_ci_u32_e64 v31, null, s7, v23, vcc_lo
	v_add_co_u32 v22, vcc_lo, s8, v22
	s_wait_alu 0xfffd
	v_add_co_ci_u32_e64 v23, null, s9, v23, vcc_lo
	global_load_b64 v[30:31], v[30:31], off
	v_min_num_f64_e32 v[16:17], s[0:1], v[16:17]
	s_wait_loadcnt 0x0
	s_delay_alu instid0(VALU_DEP_1) | instskip(SKIP_3) | instid1(VALU_DEP_1)
	v_mul_f64_e32 v[16:17], v[30:31], v[16:17]
	global_store_b64 v[22:23], v[16:17], off
	global_load_b64 v[16:17], v[18:19], off
	v_mul_f64_e32 v[18:19], v[26:27], v[14:15]
	v_div_scale_f64 v[22:23], null, v[18:19], v[18:19], 1.0
	s_delay_alu instid0(VALU_DEP_1) | instskip(NEXT) | instid1(TRANS32_DEP_1)
	v_rcp_f64_e32 v[30:31], v[22:23]
	v_fma_f64 v[32:33], -v[22:23], v[30:31], 1.0
	s_delay_alu instid0(VALU_DEP_1) | instskip(NEXT) | instid1(VALU_DEP_1)
	v_fma_f64 v[30:31], v[30:31], v[32:33], v[30:31]
	v_fma_f64 v[32:33], -v[22:23], v[30:31], 1.0
	s_delay_alu instid0(VALU_DEP_1) | instskip(SKIP_1) | instid1(VALU_DEP_1)
	v_fma_f64 v[30:31], v[30:31], v[32:33], v[30:31]
	v_div_scale_f64 v[32:33], vcc_lo, 1.0, v[18:19], 1.0
	v_mul_f64_e32 v[34:35], v[32:33], v[30:31]
	s_delay_alu instid0(VALU_DEP_1) | instskip(SKIP_3) | instid1(VALU_DEP_2)
	v_fma_f64 v[22:23], -v[22:23], v[34:35], v[32:33]
	s_wait_loadcnt 0x0
	v_mul_f64_e32 v[16:17], v[16:17], v[24:25]
	s_wait_alu 0xfffd
	v_div_fmas_f64 v[22:23], v[22:23], v[30:31], v[34:35]
	s_delay_alu instid0(VALU_DEP_1) | instskip(NEXT) | instid1(VALU_DEP_1)
	v_div_fixup_f64 v[18:19], v[22:23], v[18:19], 1.0
	v_mul_f64_e32 v[16:17], v[16:17], v[18:19]
	v_lshlrev_b64_e32 v[18:19], 3, v[0:1]
	v_add_nc_u32_e32 v0, s2, v0
	s_delay_alu instid0(VALU_DEP_2) | instskip(SKIP_1) | instid1(VALU_DEP_3)
	v_add_co_u32 v22, vcc_lo, s6, v18
	s_wait_alu 0xfffd
	v_add_co_ci_u32_e64 v23, null, s7, v19, vcc_lo
	v_add_co_u32 v18, vcc_lo, s8, v18
	s_wait_alu 0xfffd
	v_add_co_ci_u32_e64 v19, null, s9, v19, vcc_lo
	global_load_b64 v[22:23], v[22:23], off
	v_min_num_f64_e32 v[16:17], s[0:1], v[16:17]
	s_wait_loadcnt 0x0
	s_delay_alu instid0(VALU_DEP_1) | instskip(SKIP_3) | instid1(TRANS32_DEP_1)
	v_mul_f64_e32 v[16:17], v[22:23], v[16:17]
	global_store_b64 v[18:19], v[16:17], off
	v_rcp_f64_e32 v[18:19], v[8:9]
	v_mul_f64_e32 v[16:17], v[26:27], v[24:25]
	v_fma_f64 v[22:23], -v[8:9], v[18:19], 1.0
	s_delay_alu instid0(VALU_DEP_1) | instskip(NEXT) | instid1(VALU_DEP_1)
	v_fma_f64 v[18:19], v[18:19], v[22:23], v[18:19]
	v_fma_f64 v[22:23], -v[8:9], v[18:19], 1.0
	s_delay_alu instid0(VALU_DEP_1) | instskip(SKIP_1) | instid1(VALU_DEP_1)
	v_fma_f64 v[18:19], v[18:19], v[22:23], v[18:19]
	v_div_scale_f64 v[22:23], vcc_lo, 1.0, v[2:3], 1.0
	v_mul_f64_e32 v[26:27], v[22:23], v[18:19]
	s_delay_alu instid0(VALU_DEP_1) | instskip(SKIP_1) | instid1(VALU_DEP_1)
	v_fma_f64 v[8:9], -v[8:9], v[26:27], v[22:23]
	s_wait_alu 0xfffd
	v_div_fmas_f64 v[8:9], v[8:9], v[18:19], v[26:27]
	s_delay_alu instid0(VALU_DEP_1) | instskip(SKIP_2) | instid1(VALU_DEP_3)
	v_div_fixup_f64 v[2:3], v[8:9], v[2:3], 1.0
	v_lshlrev_b64_e32 v[8:9], 3, v[0:1]
	v_add_nc_u32_e32 v0, s2, v0
	v_mul_f64_e32 v[2:3], v[16:17], v[2:3]
	s_delay_alu instid0(VALU_DEP_3) | instskip(SKIP_1) | instid1(VALU_DEP_4)
	v_add_co_u32 v16, vcc_lo, s6, v8
	s_wait_alu 0xfffd
	v_add_co_ci_u32_e64 v17, null, s7, v9, vcc_lo
	v_add_co_u32 v8, vcc_lo, s8, v8
	s_wait_alu 0xfffd
	v_add_co_ci_u32_e64 v9, null, s9, v9, vcc_lo
	global_load_b64 v[16:17], v[16:17], off
	v_min_num_f64_e32 v[2:3], s[0:1], v[2:3]
	s_wait_loadcnt 0x0
	s_delay_alu instid0(VALU_DEP_1) | instskip(SKIP_4) | instid1(VALU_DEP_3)
	v_mul_f64_e32 v[2:3], v[16:17], v[2:3]
	global_store_b64 v[8:9], v[2:3], off
	v_mul_f64_e32 v[8:9], v[10:11], v[14:15]
	v_mul_f64_e32 v[2:3], v[4:5], v[24:25]
	;; [unrolled: 1-line block ×3, first 2 shown]
	v_div_scale_f64 v[10:11], null, v[8:9], v[8:9], 1.0
	s_delay_alu instid0(VALU_DEP_2) | instskip(NEXT) | instid1(VALU_DEP_2)
	v_div_scale_f64 v[6:7], null, v[4:5], v[4:5], 1.0
	v_rcp_f64_e32 v[14:15], v[10:11]
	s_delay_alu instid0(TRANS32_DEP_1) | instskip(NEXT) | instid1(VALU_DEP_1)
	v_fma_f64 v[16:17], -v[10:11], v[14:15], 1.0
	v_fma_f64 v[14:15], v[14:15], v[16:17], v[14:15]
	s_delay_alu instid0(VALU_DEP_1) | instskip(NEXT) | instid1(VALU_DEP_1)
	v_fma_f64 v[16:17], -v[10:11], v[14:15], 1.0
	v_fma_f64 v[14:15], v[14:15], v[16:17], v[14:15]
	v_div_scale_f64 v[16:17], vcc_lo, 1.0, v[8:9], 1.0
	s_delay_alu instid0(VALU_DEP_1) | instskip(NEXT) | instid1(VALU_DEP_1)
	v_mul_f64_e32 v[18:19], v[16:17], v[14:15]
	v_fma_f64 v[10:11], -v[10:11], v[18:19], v[16:17]
	s_wait_alu 0xfffd
	s_delay_alu instid0(VALU_DEP_1) | instskip(NEXT) | instid1(VALU_DEP_1)
	v_div_fmas_f64 v[10:11], v[10:11], v[14:15], v[18:19]
	v_div_fixup_f64 v[8:9], v[10:11], v[8:9], 1.0
	s_delay_alu instid0(VALU_DEP_1) | instskip(SKIP_2) | instid1(VALU_DEP_2)
	v_mul_f64_e32 v[2:3], v[2:3], v[8:9]
	v_lshlrev_b64_e32 v[8:9], 3, v[0:1]
	v_add_nc_u32_e32 v0, s2, v0
	v_add_co_u32 v10, vcc_lo, s6, v8
	s_wait_alu 0xfffd
	s_delay_alu instid0(VALU_DEP_3)
	v_add_co_ci_u32_e64 v11, null, s7, v9, vcc_lo
	v_add_co_u32 v8, vcc_lo, s8, v8
	s_wait_alu 0xfffd
	v_add_co_ci_u32_e64 v9, null, s9, v9, vcc_lo
	global_load_b64 v[10:11], v[10:11], off
	v_lshlrev_b64_e32 v[0:1], 3, v[0:1]
	v_min_num_f64_e32 v[2:3], s[0:1], v[2:3]
	s_wait_loadcnt 0x0
	s_delay_alu instid0(VALU_DEP_1) | instskip(SKIP_3) | instid1(TRANS32_DEP_1)
	v_mul_f64_e32 v[2:3], v[10:11], v[2:3]
	global_store_b64 v[8:9], v[2:3], off
	global_load_b64 v[2:3], v[12:13], off
	v_rcp_f64_e32 v[8:9], v[6:7]
	v_fma_f64 v[10:11], -v[6:7], v[8:9], 1.0
	s_delay_alu instid0(VALU_DEP_1) | instskip(NEXT) | instid1(VALU_DEP_1)
	v_fma_f64 v[8:9], v[8:9], v[10:11], v[8:9]
	v_fma_f64 v[10:11], -v[6:7], v[8:9], 1.0
	s_delay_alu instid0(VALU_DEP_1) | instskip(SKIP_1) | instid1(VALU_DEP_1)
	v_fma_f64 v[8:9], v[8:9], v[10:11], v[8:9]
	v_div_scale_f64 v[10:11], vcc_lo, 1.0, v[4:5], 1.0
	v_mul_f64_e32 v[12:13], v[10:11], v[8:9]
	s_delay_alu instid0(VALU_DEP_1) | instskip(SKIP_1) | instid1(VALU_DEP_1)
	v_fma_f64 v[6:7], -v[6:7], v[12:13], v[10:11]
	s_wait_alu 0xfffd
	v_div_fmas_f64 v[6:7], v[6:7], v[8:9], v[12:13]
	s_delay_alu instid0(VALU_DEP_1) | instskip(SKIP_2) | instid1(VALU_DEP_1)
	v_div_fixup_f64 v[4:5], v[6:7], v[4:5], 1.0
	s_wait_loadcnt 0x0
	v_mul_f64_e32 v[2:3], v[2:3], v[20:21]
	v_mul_f64_e32 v[2:3], v[2:3], v[4:5]
	v_add_co_u32 v4, vcc_lo, s6, v0
	s_wait_alu 0xfffd
	v_add_co_ci_u32_e64 v5, null, s7, v1, vcc_lo
	v_add_co_u32 v0, vcc_lo, s8, v0
	s_wait_alu 0xfffd
	v_add_co_ci_u32_e64 v1, null, s9, v1, vcc_lo
	global_load_b64 v[4:5], v[4:5], off
	v_min_num_f64_e32 v[2:3], s[0:1], v[2:3]
	s_wait_loadcnt 0x0
	s_delay_alu instid0(VALU_DEP_1)
	v_mul_f64_e32 v[2:3], v[4:5], v[2:3]
	global_store_b64 v[0:1], v[2:3], off
	s_endpgm
	.section	.rodata,"a",@progbits
	.p2align	6, 0x0
	.amdhsa_kernel _Z12ratt9_kernelIdEvPKT_S2_PS0_S2_S0_
		.amdhsa_group_segment_fixed_size 0
		.amdhsa_private_segment_fixed_size 0
		.amdhsa_kernarg_size 296
		.amdhsa_user_sgpr_count 2
		.amdhsa_user_sgpr_dispatch_ptr 0
		.amdhsa_user_sgpr_queue_ptr 0
		.amdhsa_user_sgpr_kernarg_segment_ptr 1
		.amdhsa_user_sgpr_dispatch_id 0
		.amdhsa_user_sgpr_private_segment_size 0
		.amdhsa_wavefront_size32 1
		.amdhsa_uses_dynamic_stack 0
		.amdhsa_enable_private_segment 0
		.amdhsa_system_sgpr_workgroup_id_x 1
		.amdhsa_system_sgpr_workgroup_id_y 0
		.amdhsa_system_sgpr_workgroup_id_z 0
		.amdhsa_system_sgpr_workgroup_info 0
		.amdhsa_system_vgpr_workitem_id 0
		.amdhsa_next_free_vgpr 66
		.amdhsa_next_free_sgpr 15
		.amdhsa_reserve_vcc 1
		.amdhsa_float_round_mode_32 0
		.amdhsa_float_round_mode_16_64 0
		.amdhsa_float_denorm_mode_32 3
		.amdhsa_float_denorm_mode_16_64 3
		.amdhsa_fp16_overflow 0
		.amdhsa_workgroup_processor_mode 1
		.amdhsa_memory_ordered 1
		.amdhsa_forward_progress 1
		.amdhsa_inst_pref_size 67
		.amdhsa_round_robin_scheduling 0
		.amdhsa_exception_fp_ieee_invalid_op 0
		.amdhsa_exception_fp_denorm_src 0
		.amdhsa_exception_fp_ieee_div_zero 0
		.amdhsa_exception_fp_ieee_overflow 0
		.amdhsa_exception_fp_ieee_underflow 0
		.amdhsa_exception_fp_ieee_inexact 0
		.amdhsa_exception_int_div_zero 0
	.end_amdhsa_kernel
	.section	.text._Z12ratt9_kernelIdEvPKT_S2_PS0_S2_S0_,"axG",@progbits,_Z12ratt9_kernelIdEvPKT_S2_PS0_S2_S0_,comdat
.Lfunc_end37:
	.size	_Z12ratt9_kernelIdEvPKT_S2_PS0_S2_S0_, .Lfunc_end37-_Z12ratt9_kernelIdEvPKT_S2_PS0_S2_S0_
                                        ; -- End function
	.set _Z12ratt9_kernelIdEvPKT_S2_PS0_S2_S0_.num_vgpr, 66
	.set _Z12ratt9_kernelIdEvPKT_S2_PS0_S2_S0_.num_agpr, 0
	.set _Z12ratt9_kernelIdEvPKT_S2_PS0_S2_S0_.numbered_sgpr, 15
	.set _Z12ratt9_kernelIdEvPKT_S2_PS0_S2_S0_.num_named_barrier, 0
	.set _Z12ratt9_kernelIdEvPKT_S2_PS0_S2_S0_.private_seg_size, 0
	.set _Z12ratt9_kernelIdEvPKT_S2_PS0_S2_S0_.uses_vcc, 1
	.set _Z12ratt9_kernelIdEvPKT_S2_PS0_S2_S0_.uses_flat_scratch, 0
	.set _Z12ratt9_kernelIdEvPKT_S2_PS0_S2_S0_.has_dyn_sized_stack, 0
	.set _Z12ratt9_kernelIdEvPKT_S2_PS0_S2_S0_.has_recursion, 0
	.set _Z12ratt9_kernelIdEvPKT_S2_PS0_S2_S0_.has_indirect_call, 0
	.section	.AMDGPU.csdata,"",@progbits
; Kernel info:
; codeLenInByte = 8512
; TotalNumSgprs: 17
; NumVgprs: 66
; ScratchSize: 0
; MemoryBound: 0
; FloatMode: 240
; IeeeMode: 1
; LDSByteSize: 0 bytes/workgroup (compile time only)
; SGPRBlocks: 0
; VGPRBlocks: 8
; NumSGPRsForWavesPerEU: 17
; NumVGPRsForWavesPerEU: 66
; Occupancy: 16
; WaveLimiterHint : 0
; COMPUTE_PGM_RSRC2:SCRATCH_EN: 0
; COMPUTE_PGM_RSRC2:USER_SGPR: 2
; COMPUTE_PGM_RSRC2:TRAP_HANDLER: 0
; COMPUTE_PGM_RSRC2:TGID_X_EN: 1
; COMPUTE_PGM_RSRC2:TGID_Y_EN: 0
; COMPUTE_PGM_RSRC2:TGID_Z_EN: 0
; COMPUTE_PGM_RSRC2:TIDIG_COMP_CNT: 0
	.section	.text._Z13ratt10_kernelIdEvPKT_PS0_S0_,"axG",@progbits,_Z13ratt10_kernelIdEvPKT_PS0_S0_,comdat
	.protected	_Z13ratt10_kernelIdEvPKT_PS0_S0_ ; -- Begin function _Z13ratt10_kernelIdEvPKT_PS0_S0_
	.globl	_Z13ratt10_kernelIdEvPKT_PS0_S0_
	.p2align	8
	.type	_Z13ratt10_kernelIdEvPKT_PS0_S0_,@function
_Z13ratt10_kernelIdEvPKT_PS0_S0_:       ; @_Z13ratt10_kernelIdEvPKT_PS0_S0_
; %bb.0:
	s_clause 0x2
	s_load_b128 s[4:7], s[0:1], 0x0
	s_load_b96 s[8:10], s[0:1], 0x10
	s_load_b32 s0, s[0:1], 0x24
	s_mov_b32 s3, 0x3fe55555
	s_mov_b32 s2, 0x55555555
	;; [unrolled: 1-line block ×19, first 2 shown]
	s_wait_kmcnt 0x0
	s_and_b32 s1, s0, 0xffff
	s_mov_b32 s29, 0x3fc55555
	v_mad_co_u64_u32 v[0:1], null, ttmp9, s1, v[0:1]
	v_mov_b32_e32 v1, 0
	s_mov_b32 s30, 11
	s_mov_b32 s31, 0x3fe00000
	;; [unrolled: 1-line block ×5, first 2 shown]
	s_delay_alu instid0(VALU_DEP_2)
	v_lshlrev_b64_e32 v[6:7], 3, v[0:1]
	s_mov_b32 s37, 0xc00b5c28
	s_mul_i32 s1, s10, s1
	s_mov_b32 s10, 0x28d78f9e
	s_wait_alu 0xfffe
	v_add_nc_u32_e32 v0, s1, v0
	s_mov_b32 s11, 0x40505d90
	v_add_co_u32 v2, vcc_lo, s4, v6
	s_delay_alu instid0(VALU_DEP_1)
	v_add_co_ci_u32_e64 v3, null, s5, v7, vcc_lo
	s_mov_b32 s4, 0x6b47b09a
	s_mov_b32 s5, 0x3fc38538
	;; [unrolled: 1-line block ×3, first 2 shown]
	global_load_b64 v[2:3], v[2:3], off
	s_mov_b32 s39, 0xc01470a3
	s_mov_b32 s40, 0x70a3d70a
	;; [unrolled: 1-line block ×3, first 2 shown]
	s_wait_loadcnt 0x0
	v_mul_f64_e32 v[4:5], s[8:9], v[2:3]
	s_mov_b32 s8, 0xbf559e2b
	s_mov_b32 s9, 0x3fc3ab76
	s_delay_alu instid0(VALU_DEP_1) | instskip(SKIP_1) | instid1(VALU_DEP_2)
	v_frexp_mant_f64_e32 v[2:3], v[4:5]
	v_frexp_exp_i32_f64_e32 v8, v[4:5]
	v_cmp_gt_f64_e32 vcc_lo, s[2:3], v[2:3]
	s_mov_b32 s2, 0x55555780
	s_wait_alu 0xfffd
	v_cndmask_b32_e64 v9, 0, 1, vcc_lo
	s_delay_alu instid0(VALU_DEP_3) | instskip(SKIP_1) | instid1(VALU_DEP_3)
	v_subrev_co_ci_u32_e64 v20, null, 0, v8, vcc_lo
	v_cmp_class_f64_e64 vcc_lo, v[4:5], 0x204
	v_ldexp_f64 v[2:3], v[2:3], v9
	s_delay_alu instid0(VALU_DEP_1) | instskip(SKIP_1) | instid1(VALU_DEP_2)
	v_add_f64_e32 v[10:11], 1.0, v[2:3]
	v_add_f64_e32 v[8:9], -1.0, v[2:3]
	v_add_f64_e32 v[12:13], -1.0, v[10:11]
	s_delay_alu instid0(VALU_DEP_1) | instskip(SKIP_1) | instid1(TRANS32_DEP_1)
	v_add_f64_e64 v[2:3], v[2:3], -v[12:13]
	v_rcp_f64_e32 v[12:13], v[10:11]
	v_fma_f64 v[14:15], -v[10:11], v[12:13], 1.0
	s_delay_alu instid0(VALU_DEP_1) | instskip(NEXT) | instid1(VALU_DEP_1)
	v_fma_f64 v[12:13], v[14:15], v[12:13], v[12:13]
	v_fma_f64 v[14:15], -v[10:11], v[12:13], 1.0
	s_delay_alu instid0(VALU_DEP_1) | instskip(NEXT) | instid1(VALU_DEP_1)
	v_fma_f64 v[12:13], v[14:15], v[12:13], v[12:13]
	v_mul_f64_e32 v[14:15], v[8:9], v[12:13]
	s_delay_alu instid0(VALU_DEP_1) | instskip(NEXT) | instid1(VALU_DEP_1)
	v_mul_f64_e32 v[16:17], v[10:11], v[14:15]
	v_fma_f64 v[10:11], v[14:15], v[10:11], -v[16:17]
	s_delay_alu instid0(VALU_DEP_1) | instskip(NEXT) | instid1(VALU_DEP_1)
	v_fma_f64 v[2:3], v[14:15], v[2:3], v[10:11]
	v_add_f64_e32 v[10:11], v[16:17], v[2:3]
	s_delay_alu instid0(VALU_DEP_1) | instskip(SKIP_1) | instid1(VALU_DEP_2)
	v_add_f64_e64 v[18:19], v[8:9], -v[10:11]
	v_add_f64_e64 v[16:17], v[10:11], -v[16:17]
	;; [unrolled: 1-line block ×3, first 2 shown]
	s_delay_alu instid0(VALU_DEP_2) | instskip(NEXT) | instid1(VALU_DEP_2)
	v_add_f64_e64 v[2:3], v[16:17], -v[2:3]
	v_add_f64_e64 v[8:9], v[8:9], -v[10:11]
	s_delay_alu instid0(VALU_DEP_1) | instskip(NEXT) | instid1(VALU_DEP_1)
	v_add_f64_e32 v[2:3], v[2:3], v[8:9]
	v_add_f64_e32 v[2:3], v[18:19], v[2:3]
	s_delay_alu instid0(VALU_DEP_1) | instskip(NEXT) | instid1(VALU_DEP_1)
	v_mul_f64_e32 v[2:3], v[12:13], v[2:3]
	v_add_f64_e32 v[8:9], v[14:15], v[2:3]
	s_delay_alu instid0(VALU_DEP_1) | instskip(SKIP_1) | instid1(VALU_DEP_2)
	v_add_f64_e64 v[10:11], v[8:9], -v[14:15]
	v_ldexp_f64 v[14:15], v[8:9], 1
	v_add_f64_e64 v[2:3], v[2:3], -v[10:11]
	v_mul_f64_e32 v[10:11], v[8:9], v[8:9]
	s_delay_alu instid0(VALU_DEP_2) | instskip(SKIP_1) | instid1(VALU_DEP_2)
	v_ldexp_f64 v[2:3], v[2:3], 1
	s_wait_alu 0xfffe
	v_fma_f64 v[12:13], v[10:11], s[8:9], s[4:5]
	s_mov_b32 s4, 0xd7f4df2e
	s_mov_b32 s5, 0x3fc7474d
	v_mul_f64_e32 v[8:9], v[8:9], v[10:11]
	s_mov_b32 s8, 0xb7549584
	s_mov_b32 s9, 0x404523c4
	s_wait_alu 0xfffe
	s_delay_alu instid0(VALU_DEP_2) | instskip(SKIP_3) | instid1(VALU_DEP_1)
	v_fma_f64 v[12:13], v[10:11], v[12:13], s[4:5]
	s_mov_b32 s4, 0x16291751
	s_mov_b32 s5, 0x3fcc71c0
	s_wait_alu 0xfffe
	v_fma_f64 v[12:13], v[10:11], v[12:13], s[4:5]
	s_mov_b32 s4, 0x9b27acf1
	s_mov_b32 s5, 0x3fd24924
	s_wait_alu 0xfffe
	s_delay_alu instid0(VALU_DEP_1) | instskip(SKIP_3) | instid1(VALU_DEP_1)
	v_fma_f64 v[12:13], v[10:11], v[12:13], s[4:5]
	s_mov_b32 s4, 0x998ef7b6
	s_mov_b32 s5, 0x3fd99999
	s_wait_alu 0xfffe
	v_fma_f64 v[12:13], v[10:11], v[12:13], s[4:5]
	s_mov_b32 s5, 0x3c7abc9e
	s_mov_b32 s4, 0x3b39803f
	s_delay_alu instid0(VALU_DEP_1) | instskip(SKIP_2) | instid1(VALU_DEP_1)
	v_fma_f64 v[12:13], v[10:11], v[12:13], s[2:3]
	s_mov_b32 s3, 0x3fe62e42
	s_mov_b32 s2, 0xfefa39ef
	v_mul_f64_e32 v[8:9], v[8:9], v[12:13]
	s_delay_alu instid0(VALU_DEP_1) | instskip(NEXT) | instid1(VALU_DEP_1)
	v_add_f64_e32 v[10:11], v[14:15], v[8:9]
	v_add_f64_e64 v[12:13], v[10:11], -v[14:15]
	s_delay_alu instid0(VALU_DEP_1) | instskip(NEXT) | instid1(VALU_DEP_1)
	v_add_f64_e64 v[8:9], v[8:9], -v[12:13]
	v_add_f64_e32 v[2:3], v[2:3], v[8:9]
	s_delay_alu instid0(VALU_DEP_1) | instskip(NEXT) | instid1(VALU_DEP_1)
	v_add_f64_e32 v[8:9], v[10:11], v[2:3]
	v_add_f64_e64 v[10:11], v[8:9], -v[10:11]
	s_delay_alu instid0(VALU_DEP_1) | instskip(SKIP_2) | instid1(VALU_DEP_1)
	v_add_f64_e64 v[2:3], v[2:3], -v[10:11]
	v_cvt_f64_i32_e32 v[10:11], v20
	s_wait_alu 0xfffe
	v_mul_f64_e32 v[12:13], s[2:3], v[10:11]
	s_delay_alu instid0(VALU_DEP_1) | instskip(SKIP_1) | instid1(VALU_DEP_1)
	v_fma_f64 v[14:15], v[10:11], s[2:3], -v[12:13]
	s_mov_b32 s3, 0xbfe62e42
	v_fma_f64 v[10:11], v[10:11], s[4:5], v[14:15]
	s_mov_b32 s5, 0xbc7abc9e
	s_delay_alu instid0(VALU_DEP_1) | instskip(NEXT) | instid1(VALU_DEP_1)
	v_add_f64_e32 v[14:15], v[12:13], v[10:11]
	v_add_f64_e64 v[12:13], v[14:15], -v[12:13]
	s_delay_alu instid0(VALU_DEP_1) | instskip(SKIP_1) | instid1(VALU_DEP_1)
	v_add_f64_e64 v[10:11], v[10:11], -v[12:13]
	v_add_f64_e32 v[12:13], v[14:15], v[8:9]
	v_add_f64_e64 v[16:17], v[12:13], -v[14:15]
	s_delay_alu instid0(VALU_DEP_1) | instskip(SKIP_1) | instid1(VALU_DEP_2)
	v_add_f64_e64 v[18:19], v[12:13], -v[16:17]
	v_add_f64_e64 v[8:9], v[8:9], -v[16:17]
	;; [unrolled: 1-line block ×3, first 2 shown]
	s_delay_alu instid0(VALU_DEP_1) | instskip(SKIP_1) | instid1(VALU_DEP_1)
	v_add_f64_e32 v[8:9], v[8:9], v[14:15]
	v_add_f64_e32 v[14:15], v[10:11], v[2:3]
	v_add_f64_e64 v[16:17], v[14:15], -v[10:11]
	s_delay_alu instid0(VALU_DEP_3) | instskip(NEXT) | instid1(VALU_DEP_2)
	v_add_f64_e32 v[8:9], v[14:15], v[8:9]
	v_add_f64_e64 v[18:19], v[14:15], -v[16:17]
	v_add_f64_e64 v[2:3], v[2:3], -v[16:17]
	s_delay_alu instid0(VALU_DEP_2) | instskip(NEXT) | instid1(VALU_DEP_1)
	v_add_f64_e64 v[10:11], v[10:11], -v[18:19]
	v_add_f64_e32 v[2:3], v[2:3], v[10:11]
	v_add_f64_e32 v[10:11], v[12:13], v[8:9]
	s_delay_alu instid0(VALU_DEP_1) | instskip(NEXT) | instid1(VALU_DEP_1)
	v_add_f64_e64 v[12:13], v[10:11], -v[12:13]
	v_add_f64_e64 v[8:9], v[8:9], -v[12:13]
	s_delay_alu instid0(VALU_DEP_1) | instskip(NEXT) | instid1(VALU_DEP_1)
	v_add_f64_e32 v[2:3], v[2:3], v[8:9]
	v_add_f64_e32 v[2:3], v[10:11], v[2:3]
	v_div_scale_f64 v[10:11], null, v[4:5], v[4:5], 1.0
	s_wait_alu 0xfffd
	s_delay_alu instid0(VALU_DEP_2) | instskip(NEXT) | instid1(VALU_DEP_2)
	v_cndmask_b32_e32 v2, v2, v4, vcc_lo
	v_rcp_f64_e32 v[12:13], v[10:11]
	s_delay_alu instid0(VALU_DEP_3) | instskip(SKIP_2) | instid1(VALU_DEP_2)
	v_cndmask_b32_e32 v3, v3, v5, vcc_lo
	v_cmp_ngt_f64_e32 vcc_lo, 0, v[4:5]
	s_wait_alu 0xfffd
	v_cndmask_b32_e32 v3, 0x7ff80000, v3, vcc_lo
	s_delay_alu instid0(TRANS32_DEP_1) | instskip(SKIP_1) | instid1(VALU_DEP_2)
	v_fma_f64 v[14:15], -v[10:11], v[12:13], 1.0
	v_cmp_nge_f64_e32 vcc_lo, 0, v[4:5]
	v_fma_f64 v[12:13], v[12:13], v[14:15], v[12:13]
	s_wait_alu 0xfffd
	v_cndmask_b32_e32 v2, 0, v2, vcc_lo
	v_cmp_neq_f64_e32 vcc_lo, 0, v[4:5]
	s_delay_alu instid0(VALU_DEP_3) | instskip(SKIP_2) | instid1(VALU_DEP_1)
	v_fma_f64 v[14:15], -v[10:11], v[12:13], 1.0
	s_wait_alu 0xfffd
	v_cndmask_b32_e32 v3, 0xfff00000, v3, vcc_lo
	v_fma_f64 v[8:9], v[2:3], s[12:13], s[8:9]
	s_mov_b32 s8, 0x266ba494
	s_mov_b32 s9, 0x408abbbf
	;; [unrolled: 1-line block ×4, first 2 shown]
	s_delay_alu instid0(VALU_DEP_3) | instskip(SKIP_1) | instid1(VALU_DEP_1)
	v_fma_f64 v[12:13], v[12:13], v[14:15], v[12:13]
	v_div_scale_f64 v[14:15], vcc_lo, 1.0, v[4:5], 1.0
	v_mul_f64_e32 v[16:17], v[14:15], v[12:13]
	s_delay_alu instid0(VALU_DEP_1) | instskip(SKIP_1) | instid1(VALU_DEP_1)
	v_fma_f64 v[10:11], -v[10:11], v[16:17], v[14:15]
	s_wait_alu 0xfffd
	v_div_fmas_f64 v[10:11], v[10:11], v[12:13], v[16:17]
	s_delay_alu instid0(VALU_DEP_1) | instskip(SKIP_1) | instid1(VALU_DEP_1)
	v_div_fixup_f64 v[4:5], v[10:11], v[4:5], 1.0
	s_wait_alu 0xfffe
	v_fma_f64 v[8:9], v[4:5], s[8:9], v[8:9]
	s_mov_b32 s8, 0x652b82fe
	s_mov_b32 s9, 0x3ff71547
	s_wait_alu 0xfffe
	s_delay_alu instid0(VALU_DEP_1) | instskip(SKIP_2) | instid1(VALU_DEP_3)
	v_mul_f64_e32 v[10:11], s[8:9], v[8:9]
	v_cmp_nlt_f64_e32 vcc_lo, 0x40900000, v[8:9]
	v_cmp_ngt_f64_e64 s0, 0xc090cc00, v[8:9]
	v_rndne_f64_e32 v[10:11], v[10:11]
	s_delay_alu instid0(VALU_DEP_1) | instskip(NEXT) | instid1(VALU_DEP_1)
	v_fma_f64 v[12:13], v[10:11], s[2:3], v[8:9]
	v_fma_f64 v[12:13], v[10:11], s[4:5], v[12:13]
	v_cvt_i32_f64_e32 v10, v[10:11]
	s_delay_alu instid0(VALU_DEP_2) | instskip(NEXT) | instid1(VALU_DEP_1)
	v_fma_f64 v[14:15], v[12:13], s[14:15], s[12:13]
	v_fma_f64 v[14:15], v[12:13], v[14:15], s[16:17]
	s_delay_alu instid0(VALU_DEP_1) | instskip(NEXT) | instid1(VALU_DEP_1)
	v_fma_f64 v[14:15], v[12:13], v[14:15], s[18:19]
	v_fma_f64 v[14:15], v[12:13], v[14:15], s[20:21]
	s_delay_alu instid0(VALU_DEP_1) | instskip(NEXT) | instid1(VALU_DEP_1)
	v_fma_f64 v[14:15], v[12:13], v[14:15], s[22:23]
	v_fma_f64 v[14:15], v[12:13], v[14:15], s[24:25]
	s_delay_alu instid0(VALU_DEP_1) | instskip(NEXT) | instid1(VALU_DEP_1)
	v_fma_f64 v[14:15], v[12:13], v[14:15], s[26:27]
	v_fma_f64 v[14:15], v[12:13], v[14:15], s[28:29]
	s_delay_alu instid0(VALU_DEP_1) | instskip(NEXT) | instid1(VALU_DEP_1)
	v_fma_f64 v[14:15], v[12:13], v[14:15], s[30:31]
	v_fma_f64 v[14:15], v[12:13], v[14:15], 1.0
	s_delay_alu instid0(VALU_DEP_1) | instskip(NEXT) | instid1(VALU_DEP_1)
	v_fma_f64 v[12:13], v[12:13], v[14:15], 1.0
	v_ldexp_f64 v[10:11], v[12:13], v10
	s_wait_alu 0xfffd
	s_delay_alu instid0(VALU_DEP_1) | instskip(SKIP_2) | instid1(VALU_DEP_2)
	v_cndmask_b32_e32 v11, 0x7ff00000, v11, vcc_lo
	s_and_b32 vcc_lo, s0, vcc_lo
	s_wait_alu 0xfffe
	v_cndmask_b32_e32 v8, 0, v10, vcc_lo
	v_add_co_u32 v6, vcc_lo, s6, v6
	v_cndmask_b32_e64 v9, 0, v11, s0
	s_wait_alu 0xfffd
	v_add_co_ci_u32_e64 v7, null, s7, v7, vcc_lo
	global_store_b64 v[6:7], v[8:9], off
	v_fma_f64 v[6:7], v[2:3], s[36:37], s[34:35]
	s_mov_b32 s34, 0x6dc5d639
	s_mov_b32 s35, 0xc0e4b9ca
	;; [unrolled: 1-line block ×4, first 2 shown]
	s_wait_alu 0xfffe
	s_delay_alu instid0(VALU_DEP_1) | instskip(SKIP_2) | instid1(VALU_DEP_1)
	v_fma_f64 v[6:7], v[4:5], s[34:35], v[6:7]
	s_mov_b32 s34, 0x1eb851ec
	s_mov_b32 s35, 0xc00deb85
	v_mul_f64_e32 v[8:9], s[8:9], v[6:7]
	v_cmp_nlt_f64_e32 vcc_lo, 0x40900000, v[6:7]
	v_cmp_ngt_f64_e64 s0, 0xc090cc00, v[6:7]
	s_delay_alu instid0(VALU_DEP_3) | instskip(NEXT) | instid1(VALU_DEP_1)
	v_rndne_f64_e32 v[8:9], v[8:9]
	v_fma_f64 v[10:11], v[8:9], s[2:3], v[6:7]
	s_delay_alu instid0(VALU_DEP_1) | instskip(SKIP_1) | instid1(VALU_DEP_2)
	v_fma_f64 v[10:11], v[8:9], s[4:5], v[10:11]
	v_cvt_i32_f64_e32 v8, v[8:9]
	v_fma_f64 v[12:13], v[10:11], s[14:15], s[12:13]
	s_delay_alu instid0(VALU_DEP_1) | instskip(NEXT) | instid1(VALU_DEP_1)
	v_fma_f64 v[12:13], v[10:11], v[12:13], s[16:17]
	v_fma_f64 v[12:13], v[10:11], v[12:13], s[18:19]
	s_delay_alu instid0(VALU_DEP_1) | instskip(NEXT) | instid1(VALU_DEP_1)
	v_fma_f64 v[12:13], v[10:11], v[12:13], s[20:21]
	;; [unrolled: 3-line block ×4, first 2 shown]
	v_fma_f64 v[12:13], v[10:11], v[12:13], s[30:31]
	s_delay_alu instid0(VALU_DEP_1) | instskip(NEXT) | instid1(VALU_DEP_1)
	v_fma_f64 v[12:13], v[10:11], v[12:13], 1.0
	v_fma_f64 v[10:11], v[10:11], v[12:13], 1.0
	s_delay_alu instid0(VALU_DEP_1) | instskip(SKIP_1) | instid1(VALU_DEP_1)
	v_ldexp_f64 v[8:9], v[10:11], v8
	s_wait_alu 0xfffd
	v_cndmask_b32_e32 v9, 0x7ff00000, v9, vcc_lo
	s_and_b32 vcc_lo, s0, vcc_lo
	s_wait_alu 0xfffe
	s_delay_alu instid0(VALU_DEP_2) | instskip(NEXT) | instid1(VALU_DEP_2)
	v_cndmask_b32_e32 v6, 0, v8, vcc_lo
	v_cndmask_b32_e64 v7, 0, v9, s0
	v_lshlrev_b64_e32 v[8:9], 3, v[0:1]
	v_add_nc_u32_e32 v0, s1, v0
	s_delay_alu instid0(VALU_DEP_2) | instskip(SKIP_1) | instid1(VALU_DEP_3)
	v_add_co_u32 v8, vcc_lo, s6, v8
	s_wait_alu 0xfffd
	v_add_co_ci_u32_e64 v9, null, s7, v9, vcc_lo
	global_store_b64 v[8:9], v[6:7], off
	v_fma_f64 v[6:7], v[2:3], s[34:35], s[10:11]
	s_mov_b32 s10, 0xdb445ed5
	s_mov_b32 s11, 0xc08e71d1
	;; [unrolled: 1-line block ×4, first 2 shown]
	s_wait_alu 0xfffe
	s_delay_alu instid0(VALU_DEP_1) | instskip(SKIP_2) | instid1(VALU_DEP_1)
	v_fma_f64 v[6:7], v[4:5], s[10:11], v[6:7]
	s_mov_b32 s10, 0x6d24c689
	s_mov_b32 s11, 0x404bc7f4
	v_mul_f64_e32 v[8:9], s[8:9], v[6:7]
	v_cmp_nlt_f64_e32 vcc_lo, 0x40900000, v[6:7]
	v_cmp_ngt_f64_e64 s0, 0xc090cc00, v[6:7]
	s_delay_alu instid0(VALU_DEP_3) | instskip(NEXT) | instid1(VALU_DEP_1)
	v_rndne_f64_e32 v[8:9], v[8:9]
	v_fma_f64 v[10:11], v[8:9], s[2:3], v[6:7]
	s_delay_alu instid0(VALU_DEP_1) | instskip(SKIP_1) | instid1(VALU_DEP_2)
	v_fma_f64 v[10:11], v[8:9], s[4:5], v[10:11]
	v_cvt_i32_f64_e32 v8, v[8:9]
	v_fma_f64 v[12:13], v[10:11], s[14:15], s[12:13]
	s_delay_alu instid0(VALU_DEP_1) | instskip(NEXT) | instid1(VALU_DEP_1)
	v_fma_f64 v[12:13], v[10:11], v[12:13], s[16:17]
	v_fma_f64 v[12:13], v[10:11], v[12:13], s[18:19]
	s_delay_alu instid0(VALU_DEP_1) | instskip(NEXT) | instid1(VALU_DEP_1)
	v_fma_f64 v[12:13], v[10:11], v[12:13], s[20:21]
	v_fma_f64 v[12:13], v[10:11], v[12:13], s[22:23]
	s_delay_alu instid0(VALU_DEP_1) | instskip(NEXT) | instid1(VALU_DEP_1)
	v_fma_f64 v[12:13], v[10:11], v[12:13], s[24:25]
	v_fma_f64 v[12:13], v[10:11], v[12:13], s[26:27]
	s_delay_alu instid0(VALU_DEP_1) | instskip(NEXT) | instid1(VALU_DEP_1)
	v_fma_f64 v[12:13], v[10:11], v[12:13], s[28:29]
	v_fma_f64 v[12:13], v[10:11], v[12:13], s[30:31]
	s_delay_alu instid0(VALU_DEP_1) | instskip(NEXT) | instid1(VALU_DEP_1)
	v_fma_f64 v[12:13], v[10:11], v[12:13], 1.0
	v_fma_f64 v[10:11], v[10:11], v[12:13], 1.0
	s_delay_alu instid0(VALU_DEP_1) | instskip(SKIP_1) | instid1(VALU_DEP_1)
	v_ldexp_f64 v[8:9], v[10:11], v8
	s_wait_alu 0xfffd
	v_cndmask_b32_e32 v9, 0x7ff00000, v9, vcc_lo
	s_and_b32 vcc_lo, s0, vcc_lo
	s_wait_alu 0xfffe
	s_delay_alu instid0(VALU_DEP_2) | instskip(NEXT) | instid1(VALU_DEP_2)
	v_cndmask_b32_e32 v6, 0, v8, vcc_lo
	v_cndmask_b32_e64 v7, 0, v9, s0
	v_lshlrev_b64_e32 v[8:9], 3, v[0:1]
	v_add_nc_u32_e32 v0, s1, v0
	s_delay_alu instid0(VALU_DEP_2) | instskip(SKIP_1) | instid1(VALU_DEP_3)
	v_add_co_u32 v8, vcc_lo, s6, v8
	s_wait_alu 0xfffd
	v_add_co_ci_u32_e64 v9, null, s7, v9, vcc_lo
	global_store_b64 v[8:9], v[6:7], off
	v_fma_f64 v[6:7], v[2:3], s[34:35], s[10:11]
	s_mov_b32 s10, 0x85a4f00f
	s_mov_b32 s11, 0xc08668ab
	s_mov_b32 s35, 0xc01e8f5c
	s_wait_alu 0xfffe
	s_delay_alu instid0(VALU_DEP_1) | instskip(SKIP_2) | instid1(VALU_DEP_1)
	v_fma_f64 v[6:7], v[4:5], s[10:11], v[6:7]
	s_mov_b32 s11, 0xc0091eb8
	s_mov_b32 s10, 0x51eb851f
	v_mul_f64_e32 v[8:9], s[8:9], v[6:7]
	v_cmp_nlt_f64_e32 vcc_lo, 0x40900000, v[6:7]
	v_cmp_ngt_f64_e64 s0, 0xc090cc00, v[6:7]
	s_delay_alu instid0(VALU_DEP_3) | instskip(NEXT) | instid1(VALU_DEP_1)
	v_rndne_f64_e32 v[8:9], v[8:9]
	v_fma_f64 v[10:11], v[8:9], s[2:3], v[6:7]
	s_delay_alu instid0(VALU_DEP_1) | instskip(SKIP_1) | instid1(VALU_DEP_2)
	v_fma_f64 v[10:11], v[8:9], s[4:5], v[10:11]
	v_cvt_i32_f64_e32 v8, v[8:9]
	v_fma_f64 v[12:13], v[10:11], s[14:15], s[12:13]
	s_delay_alu instid0(VALU_DEP_1) | instskip(NEXT) | instid1(VALU_DEP_1)
	v_fma_f64 v[12:13], v[10:11], v[12:13], s[16:17]
	v_fma_f64 v[12:13], v[10:11], v[12:13], s[18:19]
	s_delay_alu instid0(VALU_DEP_1) | instskip(NEXT) | instid1(VALU_DEP_1)
	v_fma_f64 v[12:13], v[10:11], v[12:13], s[20:21]
	v_fma_f64 v[12:13], v[10:11], v[12:13], s[22:23]
	s_delay_alu instid0(VALU_DEP_1) | instskip(NEXT) | instid1(VALU_DEP_1)
	v_fma_f64 v[12:13], v[10:11], v[12:13], s[24:25]
	v_fma_f64 v[12:13], v[10:11], v[12:13], s[26:27]
	s_delay_alu instid0(VALU_DEP_1) | instskip(NEXT) | instid1(VALU_DEP_1)
	v_fma_f64 v[12:13], v[10:11], v[12:13], s[28:29]
	v_fma_f64 v[12:13], v[10:11], v[12:13], s[30:31]
	s_delay_alu instid0(VALU_DEP_1) | instskip(NEXT) | instid1(VALU_DEP_1)
	v_fma_f64 v[12:13], v[10:11], v[12:13], 1.0
	v_fma_f64 v[10:11], v[10:11], v[12:13], 1.0
	s_delay_alu instid0(VALU_DEP_1) | instskip(SKIP_1) | instid1(VALU_DEP_1)
	v_ldexp_f64 v[8:9], v[10:11], v8
	s_wait_alu 0xfffd
	v_cndmask_b32_e32 v9, 0x7ff00000, v9, vcc_lo
	s_and_b32 vcc_lo, s0, vcc_lo
	s_wait_alu 0xfffe
	s_delay_alu instid0(VALU_DEP_2) | instskip(NEXT) | instid1(VALU_DEP_2)
	v_cndmask_b32_e32 v6, 0, v8, vcc_lo
	v_cndmask_b32_e64 v7, 0, v9, s0
	v_lshlrev_b64_e32 v[8:9], 3, v[0:1]
	v_add_nc_u32_e32 v0, s1, v0
	s_delay_alu instid0(VALU_DEP_2) | instskip(SKIP_1) | instid1(VALU_DEP_3)
	v_add_co_u32 v8, vcc_lo, s6, v8
	s_wait_alu 0xfffd
	v_add_co_ci_u32_e64 v9, null, s7, v9, vcc_lo
	global_store_b64 v[8:9], v[6:7], off
	v_fma_f64 v[6:7], v[2:3], s[10:11], s[36:37]
	s_mov_b32 s36, 0xe9ff0cbb
	s_mov_b32 s37, 0xc08357a6
	s_mov_b32 s11, 0xc0229eb8
	;; [unrolled: 50-line block ×3, first 2 shown]
	s_mov_b32 s38, 0x33333333
	s_wait_alu 0xfffe
	s_delay_alu instid0(VALU_DEP_1) | instskip(SKIP_2) | instid1(VALU_DEP_1)
	v_fma_f64 v[6:7], v[4:5], s[36:37], v[6:7]
	s_mov_b32 s36, 0xb60bc028
	s_mov_b32 s37, 0x4051776c
	v_mul_f64_e32 v[8:9], s[8:9], v[6:7]
	v_cmp_nlt_f64_e32 vcc_lo, 0x40900000, v[6:7]
	v_cmp_ngt_f64_e64 s0, 0xc090cc00, v[6:7]
	s_delay_alu instid0(VALU_DEP_3) | instskip(NEXT) | instid1(VALU_DEP_1)
	v_rndne_f64_e32 v[8:9], v[8:9]
	v_fma_f64 v[10:11], v[8:9], s[2:3], v[6:7]
	s_delay_alu instid0(VALU_DEP_1) | instskip(SKIP_1) | instid1(VALU_DEP_2)
	v_fma_f64 v[10:11], v[8:9], s[4:5], v[10:11]
	v_cvt_i32_f64_e32 v8, v[8:9]
	v_fma_f64 v[12:13], v[10:11], s[14:15], s[12:13]
	s_delay_alu instid0(VALU_DEP_1) | instskip(NEXT) | instid1(VALU_DEP_1)
	v_fma_f64 v[12:13], v[10:11], v[12:13], s[16:17]
	v_fma_f64 v[12:13], v[10:11], v[12:13], s[18:19]
	s_delay_alu instid0(VALU_DEP_1) | instskip(NEXT) | instid1(VALU_DEP_1)
	v_fma_f64 v[12:13], v[10:11], v[12:13], s[20:21]
	;; [unrolled: 3-line block ×4, first 2 shown]
	v_fma_f64 v[12:13], v[10:11], v[12:13], s[30:31]
	s_delay_alu instid0(VALU_DEP_1) | instskip(NEXT) | instid1(VALU_DEP_1)
	v_fma_f64 v[12:13], v[10:11], v[12:13], 1.0
	v_fma_f64 v[10:11], v[10:11], v[12:13], 1.0
	s_delay_alu instid0(VALU_DEP_1) | instskip(SKIP_1) | instid1(VALU_DEP_1)
	v_ldexp_f64 v[8:9], v[10:11], v8
	s_wait_alu 0xfffd
	v_cndmask_b32_e32 v9, 0x7ff00000, v9, vcc_lo
	s_and_b32 vcc_lo, s0, vcc_lo
	s_wait_alu 0xfffe
	s_delay_alu instid0(VALU_DEP_2) | instskip(NEXT) | instid1(VALU_DEP_2)
	v_cndmask_b32_e32 v6, 0, v8, vcc_lo
	v_cndmask_b32_e64 v7, 0, v9, s0
	v_lshlrev_b64_e32 v[8:9], 3, v[0:1]
	v_add_nc_u32_e32 v0, s1, v0
	s_delay_alu instid0(VALU_DEP_2) | instskip(SKIP_1) | instid1(VALU_DEP_3)
	v_add_co_u32 v8, vcc_lo, s6, v8
	s_wait_alu 0xfffd
	v_add_co_ci_u32_e64 v9, null, s7, v9, vcc_lo
	global_store_b64 v[8:9], v[6:7], off
	v_fma_f64 v[6:7], v[2:3], s[38:39], s[36:37]
	s_mov_b32 s36, 0xf3775b81
	s_mov_b32 s37, 0xc0a5dbc4
	s_mov_b32 s39, 0xc00b3333
	s_wait_alu 0xfffe
	s_delay_alu instid0(VALU_DEP_1) | instskip(SKIP_2) | instid1(VALU_DEP_1)
	v_fma_f64 v[6:7], v[4:5], s[36:37], v[6:7]
	s_mov_b32 s36, 0x5d2dd880
	s_mov_b32 s37, 0x4053391c
	v_mul_f64_e32 v[8:9], s[8:9], v[6:7]
	v_cmp_nlt_f64_e32 vcc_lo, 0x40900000, v[6:7]
	v_cmp_ngt_f64_e64 s0, 0xc090cc00, v[6:7]
	s_delay_alu instid0(VALU_DEP_3) | instskip(NEXT) | instid1(VALU_DEP_1)
	v_rndne_f64_e32 v[8:9], v[8:9]
	v_fma_f64 v[10:11], v[8:9], s[2:3], v[6:7]
	s_delay_alu instid0(VALU_DEP_1) | instskip(SKIP_1) | instid1(VALU_DEP_2)
	v_fma_f64 v[10:11], v[8:9], s[4:5], v[10:11]
	v_cvt_i32_f64_e32 v8, v[8:9]
	v_fma_f64 v[12:13], v[10:11], s[14:15], s[12:13]
	s_delay_alu instid0(VALU_DEP_1) | instskip(NEXT) | instid1(VALU_DEP_1)
	v_fma_f64 v[12:13], v[10:11], v[12:13], s[16:17]
	v_fma_f64 v[12:13], v[10:11], v[12:13], s[18:19]
	s_delay_alu instid0(VALU_DEP_1) | instskip(NEXT) | instid1(VALU_DEP_1)
	v_fma_f64 v[12:13], v[10:11], v[12:13], s[20:21]
	v_fma_f64 v[12:13], v[10:11], v[12:13], s[22:23]
	s_delay_alu instid0(VALU_DEP_1) | instskip(NEXT) | instid1(VALU_DEP_1)
	v_fma_f64 v[12:13], v[10:11], v[12:13], s[24:25]
	v_fma_f64 v[12:13], v[10:11], v[12:13], s[26:27]
	s_delay_alu instid0(VALU_DEP_1) | instskip(NEXT) | instid1(VALU_DEP_1)
	v_fma_f64 v[12:13], v[10:11], v[12:13], s[28:29]
	v_fma_f64 v[12:13], v[10:11], v[12:13], s[30:31]
	s_delay_alu instid0(VALU_DEP_1) | instskip(NEXT) | instid1(VALU_DEP_1)
	v_fma_f64 v[12:13], v[10:11], v[12:13], 1.0
	v_fma_f64 v[10:11], v[10:11], v[12:13], 1.0
	s_delay_alu instid0(VALU_DEP_1) | instskip(SKIP_1) | instid1(VALU_DEP_1)
	v_ldexp_f64 v[8:9], v[10:11], v8
	s_wait_alu 0xfffd
	v_cndmask_b32_e32 v9, 0x7ff00000, v9, vcc_lo
	s_and_b32 vcc_lo, s0, vcc_lo
	s_wait_alu 0xfffe
	s_delay_alu instid0(VALU_DEP_2) | instskip(NEXT) | instid1(VALU_DEP_2)
	v_cndmask_b32_e32 v6, 0, v8, vcc_lo
	v_cndmask_b32_e64 v7, 0, v9, s0
	v_lshlrev_b64_e32 v[8:9], 3, v[0:1]
	v_add_nc_u32_e32 v0, s1, v0
	s_delay_alu instid0(VALU_DEP_2) | instskip(SKIP_1) | instid1(VALU_DEP_3)
	v_add_co_u32 v8, vcc_lo, s6, v8
	s_wait_alu 0xfffd
	v_add_co_ci_u32_e64 v9, null, s7, v9, vcc_lo
	global_store_b64 v[8:9], v[6:7], off
	v_fma_f64 v[6:7], v[2:3], s[40:41], s[36:37]
	s_mov_b32 s36, 0x9bf9c63
	s_mov_b32 s37, 0xc0932f65
	s_mov_b32 s40, 0x56041893
	s_mov_b32 s41, 0xc0232d0e
	s_wait_alu 0xfffe
	s_delay_alu instid0(VALU_DEP_1) | instskip(SKIP_2) | instid1(VALU_DEP_1)
	v_fma_f64 v[6:7], v[4:5], s[36:37], v[6:7]
	s_mov_b32 s36, 0xb0292817
	s_mov_b32 s37, 0x405bd400
	v_mul_f64_e32 v[8:9], s[8:9], v[6:7]
	v_cmp_nlt_f64_e32 vcc_lo, 0x40900000, v[6:7]
	v_cmp_ngt_f64_e64 s0, 0xc090cc00, v[6:7]
	s_delay_alu instid0(VALU_DEP_3) | instskip(NEXT) | instid1(VALU_DEP_1)
	v_rndne_f64_e32 v[8:9], v[8:9]
	v_fma_f64 v[10:11], v[8:9], s[2:3], v[6:7]
	s_delay_alu instid0(VALU_DEP_1) | instskip(SKIP_1) | instid1(VALU_DEP_2)
	v_fma_f64 v[10:11], v[8:9], s[4:5], v[10:11]
	v_cvt_i32_f64_e32 v8, v[8:9]
	v_fma_f64 v[12:13], v[10:11], s[14:15], s[12:13]
	s_delay_alu instid0(VALU_DEP_1) | instskip(NEXT) | instid1(VALU_DEP_1)
	v_fma_f64 v[12:13], v[10:11], v[12:13], s[16:17]
	v_fma_f64 v[12:13], v[10:11], v[12:13], s[18:19]
	s_delay_alu instid0(VALU_DEP_1) | instskip(NEXT) | instid1(VALU_DEP_1)
	v_fma_f64 v[12:13], v[10:11], v[12:13], s[20:21]
	v_fma_f64 v[12:13], v[10:11], v[12:13], s[22:23]
	s_delay_alu instid0(VALU_DEP_1) | instskip(NEXT) | instid1(VALU_DEP_1)
	v_fma_f64 v[12:13], v[10:11], v[12:13], s[24:25]
	v_fma_f64 v[12:13], v[10:11], v[12:13], s[26:27]
	s_delay_alu instid0(VALU_DEP_1) | instskip(NEXT) | instid1(VALU_DEP_1)
	v_fma_f64 v[12:13], v[10:11], v[12:13], s[28:29]
	v_fma_f64 v[12:13], v[10:11], v[12:13], s[30:31]
	s_delay_alu instid0(VALU_DEP_1) | instskip(NEXT) | instid1(VALU_DEP_1)
	v_fma_f64 v[12:13], v[10:11], v[12:13], 1.0
	v_fma_f64 v[10:11], v[10:11], v[12:13], 1.0
	s_delay_alu instid0(VALU_DEP_1) | instskip(SKIP_1) | instid1(VALU_DEP_1)
	v_ldexp_f64 v[8:9], v[10:11], v8
	s_wait_alu 0xfffd
	v_cndmask_b32_e32 v9, 0x7ff00000, v9, vcc_lo
	s_and_b32 vcc_lo, s0, vcc_lo
	s_wait_alu 0xfffe
	s_delay_alu instid0(VALU_DEP_2) | instskip(NEXT) | instid1(VALU_DEP_2)
	v_cndmask_b32_e32 v6, 0, v8, vcc_lo
	v_cndmask_b32_e64 v7, 0, v9, s0
	v_lshlrev_b64_e32 v[8:9], 3, v[0:1]
	v_add_nc_u32_e32 v0, s1, v0
	s_delay_alu instid0(VALU_DEP_2) | instskip(SKIP_1) | instid1(VALU_DEP_3)
	v_add_co_u32 v8, vcc_lo, s6, v8
	s_wait_alu 0xfffd
	v_add_co_ci_u32_e64 v9, null, s7, v9, vcc_lo
	global_store_b64 v[8:9], v[6:7], off
	v_fma_f64 v[6:7], v[2:3], s[40:41], s[36:37]
	s_mov_b32 s36, 0x5c28f5c3
	;; [unrolled: 51-line block ×4, first 2 shown]
	s_mov_b32 s41, 0xc0d86c77
	s_mov_b32 s37, 0xc01e7ae1
	s_wait_alu 0xfffe
	s_delay_alu instid0(VALU_DEP_1) | instskip(SKIP_2) | instid1(VALU_DEP_1)
	v_fma_f64 v[6:7], v[4:5], s[40:41], v[6:7]
	s_mov_b32 s40, 0x54690de
	s_mov_b32 s41, 0x404f8e4e
	v_mul_f64_e32 v[8:9], s[8:9], v[6:7]
	v_cmp_nlt_f64_e32 vcc_lo, 0x40900000, v[6:7]
	v_cmp_ngt_f64_e64 s0, 0xc090cc00, v[6:7]
	s_delay_alu instid0(VALU_DEP_3) | instskip(NEXT) | instid1(VALU_DEP_1)
	v_rndne_f64_e32 v[8:9], v[8:9]
	v_fma_f64 v[10:11], v[8:9], s[2:3], v[6:7]
	s_delay_alu instid0(VALU_DEP_1) | instskip(SKIP_1) | instid1(VALU_DEP_2)
	v_fma_f64 v[10:11], v[8:9], s[4:5], v[10:11]
	v_cvt_i32_f64_e32 v8, v[8:9]
	v_fma_f64 v[12:13], v[10:11], s[14:15], s[12:13]
	s_delay_alu instid0(VALU_DEP_1) | instskip(NEXT) | instid1(VALU_DEP_1)
	v_fma_f64 v[12:13], v[10:11], v[12:13], s[16:17]
	v_fma_f64 v[12:13], v[10:11], v[12:13], s[18:19]
	s_delay_alu instid0(VALU_DEP_1) | instskip(NEXT) | instid1(VALU_DEP_1)
	v_fma_f64 v[12:13], v[10:11], v[12:13], s[20:21]
	;; [unrolled: 3-line block ×4, first 2 shown]
	v_fma_f64 v[12:13], v[10:11], v[12:13], s[30:31]
	s_delay_alu instid0(VALU_DEP_1) | instskip(NEXT) | instid1(VALU_DEP_1)
	v_fma_f64 v[12:13], v[10:11], v[12:13], 1.0
	v_fma_f64 v[10:11], v[10:11], v[12:13], 1.0
	s_delay_alu instid0(VALU_DEP_1) | instskip(SKIP_1) | instid1(VALU_DEP_1)
	v_ldexp_f64 v[8:9], v[10:11], v8
	s_wait_alu 0xfffd
	v_cndmask_b32_e32 v9, 0x7ff00000, v9, vcc_lo
	s_and_b32 vcc_lo, s0, vcc_lo
	s_wait_alu 0xfffe
	s_delay_alu instid0(VALU_DEP_2) | instskip(NEXT) | instid1(VALU_DEP_2)
	v_cndmask_b32_e32 v6, 0, v8, vcc_lo
	v_cndmask_b32_e64 v7, 0, v9, s0
	v_lshlrev_b64_e32 v[8:9], 3, v[0:1]
	v_add_nc_u32_e32 v0, s1, v0
	s_delay_alu instid0(VALU_DEP_2) | instskip(SKIP_1) | instid1(VALU_DEP_3)
	v_add_co_u32 v8, vcc_lo, s6, v8
	s_wait_alu 0xfffd
	v_add_co_ci_u32_e64 v9, null, s7, v9, vcc_lo
	global_store_b64 v[8:9], v[6:7], off
	v_fma_f64 v[6:7], v[2:3], s[38:39], s[40:41]
	s_mov_b32 s38, 0xce703afb
	s_mov_b32 s39, 0xc0d197a0
	s_wait_alu 0xfffe
	s_delay_alu instid0(VALU_DEP_1) | instskip(SKIP_2) | instid1(VALU_DEP_1)
	v_fma_f64 v[6:7], v[4:5], s[38:39], v[6:7]
	s_mov_b32 s38, 0x60e6caa5
	s_mov_b32 s39, 0x4057ef6c
	v_mul_f64_e32 v[8:9], s[8:9], v[6:7]
	v_cmp_nlt_f64_e32 vcc_lo, 0x40900000, v[6:7]
	v_cmp_ngt_f64_e64 s0, 0xc090cc00, v[6:7]
	s_delay_alu instid0(VALU_DEP_3) | instskip(NEXT) | instid1(VALU_DEP_1)
	v_rndne_f64_e32 v[8:9], v[8:9]
	v_fma_f64 v[10:11], v[8:9], s[2:3], v[6:7]
	s_delay_alu instid0(VALU_DEP_1) | instskip(SKIP_1) | instid1(VALU_DEP_2)
	v_fma_f64 v[10:11], v[8:9], s[4:5], v[10:11]
	v_cvt_i32_f64_e32 v8, v[8:9]
	v_fma_f64 v[12:13], v[10:11], s[14:15], s[12:13]
	s_delay_alu instid0(VALU_DEP_1) | instskip(NEXT) | instid1(VALU_DEP_1)
	v_fma_f64 v[12:13], v[10:11], v[12:13], s[16:17]
	v_fma_f64 v[12:13], v[10:11], v[12:13], s[18:19]
	s_delay_alu instid0(VALU_DEP_1) | instskip(NEXT) | instid1(VALU_DEP_1)
	v_fma_f64 v[12:13], v[10:11], v[12:13], s[20:21]
	;; [unrolled: 3-line block ×4, first 2 shown]
	v_fma_f64 v[12:13], v[10:11], v[12:13], s[30:31]
	s_delay_alu instid0(VALU_DEP_1) | instskip(NEXT) | instid1(VALU_DEP_1)
	v_fma_f64 v[12:13], v[10:11], v[12:13], 1.0
	v_fma_f64 v[10:11], v[10:11], v[12:13], 1.0
	s_delay_alu instid0(VALU_DEP_1) | instskip(SKIP_1) | instid1(VALU_DEP_1)
	v_ldexp_f64 v[8:9], v[10:11], v8
	s_wait_alu 0xfffd
	v_cndmask_b32_e32 v9, 0x7ff00000, v9, vcc_lo
	s_and_b32 vcc_lo, s0, vcc_lo
	s_wait_alu 0xfffe
	s_delay_alu instid0(VALU_DEP_2) | instskip(NEXT) | instid1(VALU_DEP_2)
	v_cndmask_b32_e32 v6, 0, v8, vcc_lo
	v_cndmask_b32_e64 v7, 0, v9, s0
	v_lshlrev_b64_e32 v[8:9], 3, v[0:1]
	v_add_nc_u32_e32 v0, s1, v0
	s_delay_alu instid0(VALU_DEP_2) | instskip(SKIP_1) | instid1(VALU_DEP_3)
	v_add_co_u32 v8, vcc_lo, s6, v8
	s_wait_alu 0xfffd
	v_add_co_ci_u32_e64 v9, null, s7, v9, vcc_lo
	global_store_b64 v[8:9], v[6:7], off
	v_fma_f64 v[6:7], v[2:3], s[34:35], s[38:39]
	s_mov_b32 s34, 0x414a4d2b
	s_mov_b32 s35, 0xc0b76447
	s_mov_b32 s39, 0xc00ee147
	s_mov_b32 s38, 0xae147ae1
	s_wait_alu 0xfffe
	s_delay_alu instid0(VALU_DEP_1) | instskip(SKIP_2) | instid1(VALU_DEP_1)
	v_fma_f64 v[6:7], v[4:5], s[34:35], v[6:7]
	s_mov_b32 s34, 0x62b6ae7d
	s_mov_b32 s35, 0x40515a7f
	v_mul_f64_e32 v[8:9], s[8:9], v[6:7]
	v_cmp_nlt_f64_e32 vcc_lo, 0x40900000, v[6:7]
	v_cmp_ngt_f64_e64 s0, 0xc090cc00, v[6:7]
	s_delay_alu instid0(VALU_DEP_3) | instskip(NEXT) | instid1(VALU_DEP_1)
	v_rndne_f64_e32 v[8:9], v[8:9]
	v_fma_f64 v[10:11], v[8:9], s[2:3], v[6:7]
	s_delay_alu instid0(VALU_DEP_1) | instskip(SKIP_1) | instid1(VALU_DEP_2)
	v_fma_f64 v[10:11], v[8:9], s[4:5], v[10:11]
	v_cvt_i32_f64_e32 v8, v[8:9]
	v_fma_f64 v[12:13], v[10:11], s[14:15], s[12:13]
	s_delay_alu instid0(VALU_DEP_1) | instskip(NEXT) | instid1(VALU_DEP_1)
	v_fma_f64 v[12:13], v[10:11], v[12:13], s[16:17]
	v_fma_f64 v[12:13], v[10:11], v[12:13], s[18:19]
	s_delay_alu instid0(VALU_DEP_1) | instskip(NEXT) | instid1(VALU_DEP_1)
	v_fma_f64 v[12:13], v[10:11], v[12:13], s[20:21]
	;; [unrolled: 3-line block ×4, first 2 shown]
	v_fma_f64 v[12:13], v[10:11], v[12:13], s[30:31]
	s_delay_alu instid0(VALU_DEP_1) | instskip(NEXT) | instid1(VALU_DEP_1)
	v_fma_f64 v[12:13], v[10:11], v[12:13], 1.0
	v_fma_f64 v[10:11], v[10:11], v[12:13], 1.0
	s_delay_alu instid0(VALU_DEP_1) | instskip(SKIP_1) | instid1(VALU_DEP_1)
	v_ldexp_f64 v[8:9], v[10:11], v8
	s_wait_alu 0xfffd
	v_cndmask_b32_e32 v9, 0x7ff00000, v9, vcc_lo
	s_and_b32 vcc_lo, s0, vcc_lo
	s_wait_alu 0xfffe
	s_delay_alu instid0(VALU_DEP_2) | instskip(NEXT) | instid1(VALU_DEP_2)
	v_cndmask_b32_e32 v6, 0, v8, vcc_lo
	v_cndmask_b32_e64 v7, 0, v9, s0
	v_lshlrev_b64_e32 v[8:9], 3, v[0:1]
	v_add_nc_u32_e32 v0, s1, v0
	s_delay_alu instid0(VALU_DEP_2) | instskip(SKIP_1) | instid1(VALU_DEP_3)
	v_add_co_u32 v8, vcc_lo, s6, v8
	s_wait_alu 0xfffd
	v_add_co_ci_u32_e64 v9, null, s7, v9, vcc_lo
	global_store_b64 v[8:9], v[6:7], off
	v_fma_f64 v[6:7], v[2:3], s[38:39], s[34:35]
	s_mov_b32 s34, 0xa4e7ab75
	s_mov_b32 s35, 0xc09a1ab7
	;; [unrolled: 1-line block ×3, first 2 shown]
	s_wait_alu 0xfffe
	s_delay_alu instid0(VALU_DEP_1) | instskip(SKIP_2) | instid1(VALU_DEP_1)
	v_fma_f64 v[6:7], v[4:5], s[34:35], v[6:7]
	s_mov_b32 s34, 0xb07d0aee
	s_mov_b32 s35, 0x4060e00c
	v_mul_f64_e32 v[8:9], s[8:9], v[6:7]
	v_cmp_nlt_f64_e32 vcc_lo, 0x40900000, v[6:7]
	v_cmp_ngt_f64_e64 s0, 0xc090cc00, v[6:7]
	s_delay_alu instid0(VALU_DEP_3) | instskip(NEXT) | instid1(VALU_DEP_1)
	v_rndne_f64_e32 v[8:9], v[8:9]
	v_fma_f64 v[10:11], v[8:9], s[2:3], v[6:7]
	s_delay_alu instid0(VALU_DEP_1) | instskip(SKIP_1) | instid1(VALU_DEP_2)
	v_fma_f64 v[10:11], v[8:9], s[4:5], v[10:11]
	v_cvt_i32_f64_e32 v8, v[8:9]
	v_fma_f64 v[12:13], v[10:11], s[14:15], s[12:13]
	s_delay_alu instid0(VALU_DEP_1) | instskip(NEXT) | instid1(VALU_DEP_1)
	v_fma_f64 v[12:13], v[10:11], v[12:13], s[16:17]
	v_fma_f64 v[12:13], v[10:11], v[12:13], s[18:19]
	s_delay_alu instid0(VALU_DEP_1) | instskip(NEXT) | instid1(VALU_DEP_1)
	v_fma_f64 v[12:13], v[10:11], v[12:13], s[20:21]
	;; [unrolled: 3-line block ×4, first 2 shown]
	v_fma_f64 v[12:13], v[10:11], v[12:13], s[30:31]
	s_delay_alu instid0(VALU_DEP_1) | instskip(NEXT) | instid1(VALU_DEP_1)
	v_fma_f64 v[12:13], v[10:11], v[12:13], 1.0
	v_fma_f64 v[10:11], v[10:11], v[12:13], 1.0
	s_delay_alu instid0(VALU_DEP_1) | instskip(SKIP_1) | instid1(VALU_DEP_1)
	v_ldexp_f64 v[8:9], v[10:11], v8
	s_wait_alu 0xfffd
	v_cndmask_b32_e32 v9, 0x7ff00000, v9, vcc_lo
	s_and_b32 vcc_lo, s0, vcc_lo
	s_wait_alu 0xfffe
	s_delay_alu instid0(VALU_DEP_2) | instskip(NEXT) | instid1(VALU_DEP_2)
	v_cndmask_b32_e32 v6, 0, v8, vcc_lo
	v_cndmask_b32_e64 v7, 0, v9, s0
	v_lshlrev_b64_e32 v[8:9], 3, v[0:1]
	v_add_nc_u32_e32 v0, s1, v0
	s_delay_alu instid0(VALU_DEP_2) | instskip(SKIP_1) | instid1(VALU_DEP_3)
	v_add_co_u32 v8, vcc_lo, s6, v8
	s_wait_alu 0xfffd
	v_add_co_ci_u32_e64 v9, null, s7, v9, vcc_lo
	global_store_b64 v[8:9], v[6:7], off
	v_fma_f64 v[6:7], v[2:3], s[38:39], s[34:35]
	s_mov_b32 s34, 0x81d7dbf5
	s_mov_b32 s35, 0xc0b33453
	;; [unrolled: 1-line block ×4, first 2 shown]
	s_wait_alu 0xfffe
	s_delay_alu instid0(VALU_DEP_1) | instskip(SKIP_2) | instid1(VALU_DEP_1)
	v_fma_f64 v[6:7], v[4:5], s[34:35], v[6:7]
	s_mov_b32 s34, 0x3c6ff2d7
	s_mov_b32 s35, 0x4056dcc4
	v_mul_f64_e32 v[8:9], s[8:9], v[6:7]
	v_cmp_nlt_f64_e32 vcc_lo, 0x40900000, v[6:7]
	v_cmp_ngt_f64_e64 s0, 0xc090cc00, v[6:7]
	s_delay_alu instid0(VALU_DEP_3) | instskip(NEXT) | instid1(VALU_DEP_1)
	v_rndne_f64_e32 v[8:9], v[8:9]
	v_fma_f64 v[10:11], v[8:9], s[2:3], v[6:7]
	s_delay_alu instid0(VALU_DEP_1) | instskip(SKIP_1) | instid1(VALU_DEP_2)
	v_fma_f64 v[10:11], v[8:9], s[4:5], v[10:11]
	v_cvt_i32_f64_e32 v8, v[8:9]
	v_fma_f64 v[12:13], v[10:11], s[14:15], s[12:13]
	s_delay_alu instid0(VALU_DEP_1) | instskip(NEXT) | instid1(VALU_DEP_1)
	v_fma_f64 v[12:13], v[10:11], v[12:13], s[16:17]
	v_fma_f64 v[12:13], v[10:11], v[12:13], s[18:19]
	s_delay_alu instid0(VALU_DEP_1) | instskip(NEXT) | instid1(VALU_DEP_1)
	v_fma_f64 v[12:13], v[10:11], v[12:13], s[20:21]
	;; [unrolled: 3-line block ×4, first 2 shown]
	v_fma_f64 v[12:13], v[10:11], v[12:13], s[30:31]
	s_delay_alu instid0(VALU_DEP_1) | instskip(NEXT) | instid1(VALU_DEP_1)
	v_fma_f64 v[12:13], v[10:11], v[12:13], 1.0
	v_fma_f64 v[10:11], v[10:11], v[12:13], 1.0
	s_delay_alu instid0(VALU_DEP_1) | instskip(SKIP_1) | instid1(VALU_DEP_1)
	v_ldexp_f64 v[8:9], v[10:11], v8
	s_wait_alu 0xfffd
	v_cndmask_b32_e32 v9, 0x7ff00000, v9, vcc_lo
	s_and_b32 vcc_lo, s0, vcc_lo
	s_wait_alu 0xfffe
	s_delay_alu instid0(VALU_DEP_2) | instskip(NEXT) | instid1(VALU_DEP_2)
	v_cndmask_b32_e32 v6, 0, v8, vcc_lo
	v_cndmask_b32_e64 v7, 0, v9, s0
	v_lshlrev_b64_e32 v[8:9], 3, v[0:1]
	v_add_nc_u32_e32 v0, s1, v0
	s_delay_alu instid0(VALU_DEP_2) | instskip(SKIP_1) | instid1(VALU_DEP_3)
	v_add_co_u32 v8, vcc_lo, s6, v8
	s_wait_alu 0xfffd
	v_add_co_ci_u32_e64 v9, null, s7, v9, vcc_lo
	global_store_b64 v[8:9], v[6:7], off
	v_fma_f64 v[6:7], v[2:3], s[38:39], s[34:35]
	s_mov_b32 s34, 0x970f7b9e
	s_mov_b32 s35, 0xc0a27a3c
	s_wait_alu 0xfffe
	s_delay_alu instid0(VALU_DEP_1) | instskip(SKIP_2) | instid1(VALU_DEP_1)
	v_fma_f64 v[6:7], v[4:5], s[34:35], v[6:7]
	s_mov_b32 s34, 0x80dc3372
	s_mov_b32 s35, 0x405d44cf
	v_mul_f64_e32 v[8:9], s[8:9], v[6:7]
	v_cmp_nlt_f64_e32 vcc_lo, 0x40900000, v[6:7]
	v_cmp_ngt_f64_e64 s0, 0xc090cc00, v[6:7]
	s_delay_alu instid0(VALU_DEP_3) | instskip(NEXT) | instid1(VALU_DEP_1)
	v_rndne_f64_e32 v[8:9], v[8:9]
	v_fma_f64 v[10:11], v[8:9], s[2:3], v[6:7]
	s_delay_alu instid0(VALU_DEP_1) | instskip(SKIP_1) | instid1(VALU_DEP_2)
	v_fma_f64 v[10:11], v[8:9], s[4:5], v[10:11]
	v_cvt_i32_f64_e32 v8, v[8:9]
	v_fma_f64 v[12:13], v[10:11], s[14:15], s[12:13]
	s_delay_alu instid0(VALU_DEP_1) | instskip(NEXT) | instid1(VALU_DEP_1)
	v_fma_f64 v[12:13], v[10:11], v[12:13], s[16:17]
	v_fma_f64 v[12:13], v[10:11], v[12:13], s[18:19]
	s_delay_alu instid0(VALU_DEP_1) | instskip(NEXT) | instid1(VALU_DEP_1)
	v_fma_f64 v[12:13], v[10:11], v[12:13], s[20:21]
	;; [unrolled: 3-line block ×4, first 2 shown]
	v_fma_f64 v[12:13], v[10:11], v[12:13], s[30:31]
	s_delay_alu instid0(VALU_DEP_1) | instskip(NEXT) | instid1(VALU_DEP_1)
	v_fma_f64 v[12:13], v[10:11], v[12:13], 1.0
	v_fma_f64 v[10:11], v[10:11], v[12:13], 1.0
	s_delay_alu instid0(VALU_DEP_1) | instskip(SKIP_1) | instid1(VALU_DEP_1)
	v_ldexp_f64 v[8:9], v[10:11], v8
	s_wait_alu 0xfffd
	v_cndmask_b32_e32 v9, 0x7ff00000, v9, vcc_lo
	s_and_b32 vcc_lo, s0, vcc_lo
	s_wait_alu 0xfffe
	s_delay_alu instid0(VALU_DEP_2) | instskip(NEXT) | instid1(VALU_DEP_2)
	v_cndmask_b32_e32 v6, 0, v8, vcc_lo
	v_cndmask_b32_e64 v7, 0, v9, s0
	v_lshlrev_b64_e32 v[8:9], 3, v[0:1]
	v_add_nc_u32_e32 v0, s1, v0
	s_delay_alu instid0(VALU_DEP_2) | instskip(SKIP_1) | instid1(VALU_DEP_3)
	v_add_co_u32 v8, vcc_lo, s6, v8
	s_wait_alu 0xfffd
	v_add_co_ci_u32_e64 v9, null, s7, v9, vcc_lo
	global_store_b64 v[8:9], v[6:7], off
	v_fma_f64 v[6:7], v[2:3], s[10:11], s[34:35]
	s_mov_b32 s10, 0xecbfb15b
	s_mov_b32 s11, 0xc0e88966
	;; [unrolled: 1-line block ×4, first 2 shown]
	s_wait_alu 0xfffe
	s_delay_alu instid0(VALU_DEP_1) | instskip(SKIP_2) | instid1(VALU_DEP_1)
	v_fma_f64 v[6:7], v[4:5], s[10:11], v[6:7]
	s_mov_b32 s10, 0x6e8f29d4
	s_mov_b32 s11, 0x40583904
	v_mul_f64_e32 v[8:9], s[8:9], v[6:7]
	v_cmp_nlt_f64_e32 vcc_lo, 0x40900000, v[6:7]
	v_cmp_ngt_f64_e64 s0, 0xc090cc00, v[6:7]
	s_delay_alu instid0(VALU_DEP_3) | instskip(NEXT) | instid1(VALU_DEP_1)
	v_rndne_f64_e32 v[8:9], v[8:9]
	v_fma_f64 v[10:11], v[8:9], s[2:3], v[6:7]
	s_delay_alu instid0(VALU_DEP_1) | instskip(SKIP_1) | instid1(VALU_DEP_2)
	v_fma_f64 v[10:11], v[8:9], s[4:5], v[10:11]
	v_cvt_i32_f64_e32 v8, v[8:9]
	v_fma_f64 v[12:13], v[10:11], s[14:15], s[12:13]
	s_delay_alu instid0(VALU_DEP_1) | instskip(NEXT) | instid1(VALU_DEP_1)
	v_fma_f64 v[12:13], v[10:11], v[12:13], s[16:17]
	v_fma_f64 v[12:13], v[10:11], v[12:13], s[18:19]
	s_delay_alu instid0(VALU_DEP_1) | instskip(NEXT) | instid1(VALU_DEP_1)
	v_fma_f64 v[12:13], v[10:11], v[12:13], s[20:21]
	;; [unrolled: 3-line block ×4, first 2 shown]
	v_fma_f64 v[12:13], v[10:11], v[12:13], s[30:31]
	s_delay_alu instid0(VALU_DEP_1) | instskip(NEXT) | instid1(VALU_DEP_1)
	v_fma_f64 v[12:13], v[10:11], v[12:13], 1.0
	v_fma_f64 v[10:11], v[10:11], v[12:13], 1.0
	s_delay_alu instid0(VALU_DEP_1) | instskip(SKIP_1) | instid1(VALU_DEP_1)
	v_ldexp_f64 v[8:9], v[10:11], v8
	s_wait_alu 0xfffd
	v_cndmask_b32_e32 v9, 0x7ff00000, v9, vcc_lo
	s_and_b32 vcc_lo, s0, vcc_lo
	s_wait_alu 0xfffe
	s_delay_alu instid0(VALU_DEP_2) | instskip(NEXT) | instid1(VALU_DEP_2)
	v_cndmask_b32_e32 v6, 0, v8, vcc_lo
	v_cndmask_b32_e64 v7, 0, v9, s0
	v_lshlrev_b64_e32 v[8:9], 3, v[0:1]
	v_add_nc_u32_e32 v0, s1, v0
	s_delay_alu instid0(VALU_DEP_2) | instskip(SKIP_1) | instid1(VALU_DEP_3)
	v_add_co_u32 v8, vcc_lo, s6, v8
	s_wait_alu 0xfffd
	v_add_co_ci_u32_e64 v9, null, s7, v9, vcc_lo
	global_store_b64 v[8:9], v[6:7], off
	v_fma_f64 v[6:7], v[2:3], s[36:37], s[10:11]
	s_mov_b32 s10, 0x2085b185
	s_mov_b32 s11, 0xc0ab66d7
	s_wait_alu 0xfffe
	s_delay_alu instid0(VALU_DEP_1) | instskip(SKIP_2) | instid1(VALU_DEP_1)
	v_fma_f64 v[6:7], v[4:5], s[10:11], v[6:7]
	s_mov_b32 s10, 0x1e92923e
	s_mov_b32 s11, 0x4057c606
	v_mul_f64_e32 v[8:9], s[8:9], v[6:7]
	v_cmp_nlt_f64_e32 vcc_lo, 0x40900000, v[6:7]
	v_cmp_ngt_f64_e64 s0, 0xc090cc00, v[6:7]
	s_delay_alu instid0(VALU_DEP_3) | instskip(NEXT) | instid1(VALU_DEP_1)
	v_rndne_f64_e32 v[8:9], v[8:9]
	v_fma_f64 v[10:11], v[8:9], s[2:3], v[6:7]
	s_delay_alu instid0(VALU_DEP_1) | instskip(SKIP_1) | instid1(VALU_DEP_2)
	v_fma_f64 v[10:11], v[8:9], s[4:5], v[10:11]
	v_cvt_i32_f64_e32 v8, v[8:9]
	v_fma_f64 v[12:13], v[10:11], s[14:15], s[12:13]
	s_delay_alu instid0(VALU_DEP_1) | instskip(NEXT) | instid1(VALU_DEP_1)
	v_fma_f64 v[12:13], v[10:11], v[12:13], s[16:17]
	v_fma_f64 v[12:13], v[10:11], v[12:13], s[18:19]
	s_delay_alu instid0(VALU_DEP_1) | instskip(NEXT) | instid1(VALU_DEP_1)
	v_fma_f64 v[12:13], v[10:11], v[12:13], s[20:21]
	;; [unrolled: 3-line block ×4, first 2 shown]
	v_fma_f64 v[12:13], v[10:11], v[12:13], s[30:31]
	s_delay_alu instid0(VALU_DEP_1) | instskip(NEXT) | instid1(VALU_DEP_1)
	v_fma_f64 v[12:13], v[10:11], v[12:13], 1.0
	v_fma_f64 v[10:11], v[10:11], v[12:13], 1.0
	s_delay_alu instid0(VALU_DEP_1) | instskip(SKIP_1) | instid1(VALU_DEP_1)
	v_ldexp_f64 v[8:9], v[10:11], v8
	s_wait_alu 0xfffd
	v_cndmask_b32_e32 v9, 0x7ff00000, v9, vcc_lo
	s_and_b32 vcc_lo, s0, vcc_lo
	s_wait_alu 0xfffe
	s_delay_alu instid0(VALU_DEP_2) | instskip(NEXT) | instid1(VALU_DEP_2)
	v_cndmask_b32_e32 v6, 0, v8, vcc_lo
	v_cndmask_b32_e64 v7, 0, v9, s0
	v_lshlrev_b64_e32 v[8:9], 3, v[0:1]
	v_add_nc_u32_e32 v0, s1, v0
	s_delay_alu instid0(VALU_DEP_2) | instskip(SKIP_1) | instid1(VALU_DEP_3)
	v_add_co_u32 v8, vcc_lo, s6, v8
	s_wait_alu 0xfffd
	v_add_co_ci_u32_e64 v9, null, s7, v9, vcc_lo
	global_store_b64 v[8:9], v[6:7], off
	v_fma_f64 v[6:7], v[2:3], s[34:35], s[10:11]
	s_mov_b32 s10, 0xc044284e
	s_mov_b32 s11, 0xc0aa4801
	;; [unrolled: 1-line block ×4, first 2 shown]
	s_wait_alu 0xfffe
	s_delay_alu instid0(VALU_DEP_1) | instskip(SKIP_2) | instid1(VALU_DEP_1)
	v_fma_f64 v[6:7], v[4:5], s[10:11], v[6:7]
	s_mov_b32 s10, 0xd0917d6b
	s_mov_b32 s11, 0x40614e16
	v_mul_f64_e32 v[8:9], s[8:9], v[6:7]
	v_cmp_nlt_f64_e32 vcc_lo, 0x40900000, v[6:7]
	v_cmp_ngt_f64_e64 s0, 0xc090cc00, v[6:7]
	s_delay_alu instid0(VALU_DEP_3) | instskip(NEXT) | instid1(VALU_DEP_1)
	v_rndne_f64_e32 v[8:9], v[8:9]
	v_fma_f64 v[10:11], v[8:9], s[2:3], v[6:7]
	s_delay_alu instid0(VALU_DEP_1) | instskip(SKIP_1) | instid1(VALU_DEP_2)
	v_fma_f64 v[10:11], v[8:9], s[4:5], v[10:11]
	v_cvt_i32_f64_e32 v8, v[8:9]
	v_fma_f64 v[12:13], v[10:11], s[14:15], s[12:13]
	s_delay_alu instid0(VALU_DEP_1) | instskip(NEXT) | instid1(VALU_DEP_1)
	v_fma_f64 v[12:13], v[10:11], v[12:13], s[16:17]
	v_fma_f64 v[12:13], v[10:11], v[12:13], s[18:19]
	s_delay_alu instid0(VALU_DEP_1) | instskip(NEXT) | instid1(VALU_DEP_1)
	v_fma_f64 v[12:13], v[10:11], v[12:13], s[20:21]
	;; [unrolled: 3-line block ×4, first 2 shown]
	v_fma_f64 v[12:13], v[10:11], v[12:13], s[30:31]
	s_delay_alu instid0(VALU_DEP_1) | instskip(NEXT) | instid1(VALU_DEP_1)
	v_fma_f64 v[12:13], v[10:11], v[12:13], 1.0
	v_fma_f64 v[10:11], v[10:11], v[12:13], 1.0
	s_delay_alu instid0(VALU_DEP_1) | instskip(SKIP_1) | instid1(VALU_DEP_1)
	v_ldexp_f64 v[8:9], v[10:11], v8
	s_wait_alu 0xfffd
	v_cndmask_b32_e32 v9, 0x7ff00000, v9, vcc_lo
	s_and_b32 vcc_lo, s0, vcc_lo
	s_wait_alu 0xfffe
	s_delay_alu instid0(VALU_DEP_2) | instskip(NEXT) | instid1(VALU_DEP_2)
	v_cndmask_b32_e32 v6, 0, v8, vcc_lo
	v_cndmask_b32_e64 v7, 0, v9, s0
	v_lshlrev_b64_e32 v[8:9], 3, v[0:1]
	v_add_nc_u32_e32 v0, s1, v0
	s_delay_alu instid0(VALU_DEP_2) | instskip(SKIP_1) | instid1(VALU_DEP_3)
	v_add_co_u32 v8, vcc_lo, s6, v8
	s_wait_alu 0xfffd
	v_add_co_ci_u32_e64 v9, null, s7, v9, vcc_lo
	global_store_b64 v[8:9], v[6:7], off
	v_fma_f64 v[6:7], 0xc0280000, v[2:3], s[10:11]
	s_mov_b32 s10, 0x5f45e0b5
	s_mov_b32 s11, 0xc0a77631
	s_wait_alu 0xfffe
	s_delay_alu instid0(VALU_DEP_1)
	v_fma_f64 v[6:7], v[4:5], s[10:11], v[6:7]
	s_mov_b32 s10, 0x441c8f83
	s_mov_b32 s11, 0x40565546
	s_wait_alu 0xfffe
	v_fma_f64 v[2:3], v[2:3], s[34:35], s[10:11]
	s_mov_b32 s10, 0x88f861a6
	s_mov_b32 s11, 0xc0ab8508
	s_delay_alu instid0(VALU_DEP_2) | instskip(SKIP_3) | instid1(VALU_DEP_4)
	v_mul_f64_e32 v[8:9], s[8:9], v[6:7]
	v_cmp_nlt_f64_e32 vcc_lo, 0x40900000, v[6:7]
	v_cmp_ngt_f64_e64 s0, 0xc090cc00, v[6:7]
	s_wait_alu 0xfffe
	v_fma_f64 v[2:3], v[4:5], s[10:11], v[2:3]
	s_delay_alu instid0(VALU_DEP_4) | instskip(NEXT) | instid1(VALU_DEP_2)
	v_rndne_f64_e32 v[8:9], v[8:9]
	v_mul_f64_e32 v[4:5], s[8:9], v[2:3]
	s_delay_alu instid0(VALU_DEP_2) | instskip(NEXT) | instid1(VALU_DEP_2)
	v_fma_f64 v[10:11], v[8:9], s[2:3], v[6:7]
	v_rndne_f64_e32 v[4:5], v[4:5]
	s_delay_alu instid0(VALU_DEP_2) | instskip(SKIP_1) | instid1(VALU_DEP_2)
	v_fma_f64 v[10:11], v[8:9], s[4:5], v[10:11]
	v_cvt_i32_f64_e32 v8, v[8:9]
	v_fma_f64 v[12:13], v[10:11], s[14:15], s[12:13]
	s_delay_alu instid0(VALU_DEP_1) | instskip(NEXT) | instid1(VALU_DEP_1)
	v_fma_f64 v[12:13], v[10:11], v[12:13], s[16:17]
	v_fma_f64 v[12:13], v[10:11], v[12:13], s[18:19]
	s_delay_alu instid0(VALU_DEP_1) | instskip(NEXT) | instid1(VALU_DEP_1)
	v_fma_f64 v[12:13], v[10:11], v[12:13], s[20:21]
	;; [unrolled: 3-line block ×4, first 2 shown]
	v_fma_f64 v[12:13], v[10:11], v[12:13], s[30:31]
	s_delay_alu instid0(VALU_DEP_1) | instskip(NEXT) | instid1(VALU_DEP_1)
	v_fma_f64 v[12:13], v[10:11], v[12:13], 1.0
	v_fma_f64 v[10:11], v[10:11], v[12:13], 1.0
	s_delay_alu instid0(VALU_DEP_1) | instskip(SKIP_1) | instid1(VALU_DEP_1)
	v_ldexp_f64 v[8:9], v[10:11], v8
	s_wait_alu 0xfffd
	v_cndmask_b32_e32 v9, 0x7ff00000, v9, vcc_lo
	s_and_b32 vcc_lo, s0, vcc_lo
	s_wait_alu 0xfffe
	s_delay_alu instid0(VALU_DEP_2) | instskip(NEXT) | instid1(VALU_DEP_2)
	v_cndmask_b32_e32 v6, 0, v8, vcc_lo
	v_cndmask_b32_e64 v7, 0, v9, s0
	v_lshlrev_b64_e32 v[8:9], 3, v[0:1]
	v_cmp_ngt_f64_e64 s0, 0xc090cc00, v[2:3]
	v_add_nc_u32_e32 v0, s1, v0
	s_delay_alu instid0(VALU_DEP_3) | instskip(SKIP_1) | instid1(VALU_DEP_4)
	v_add_co_u32 v8, vcc_lo, s6, v8
	s_wait_alu 0xfffd
	v_add_co_ci_u32_e64 v9, null, s7, v9, vcc_lo
	v_cmp_nlt_f64_e32 vcc_lo, 0x40900000, v[2:3]
	v_lshlrev_b64_e32 v[0:1], 3, v[0:1]
	global_store_b64 v[8:9], v[6:7], off
	v_fma_f64 v[6:7], v[4:5], s[2:3], v[2:3]
	s_delay_alu instid0(VALU_DEP_1) | instskip(SKIP_1) | instid1(VALU_DEP_2)
	v_fma_f64 v[6:7], v[4:5], s[4:5], v[6:7]
	v_cvt_i32_f64_e32 v4, v[4:5]
	v_fma_f64 v[8:9], v[6:7], s[14:15], s[12:13]
	s_delay_alu instid0(VALU_DEP_1) | instskip(NEXT) | instid1(VALU_DEP_1)
	v_fma_f64 v[8:9], v[6:7], v[8:9], s[16:17]
	v_fma_f64 v[8:9], v[6:7], v[8:9], s[18:19]
	s_delay_alu instid0(VALU_DEP_1) | instskip(NEXT) | instid1(VALU_DEP_1)
	v_fma_f64 v[8:9], v[6:7], v[8:9], s[20:21]
	;; [unrolled: 3-line block ×4, first 2 shown]
	v_fma_f64 v[8:9], v[6:7], v[8:9], s[30:31]
	s_delay_alu instid0(VALU_DEP_1) | instskip(NEXT) | instid1(VALU_DEP_1)
	v_fma_f64 v[8:9], v[6:7], v[8:9], 1.0
	v_fma_f64 v[6:7], v[6:7], v[8:9], 1.0
	s_delay_alu instid0(VALU_DEP_1) | instskip(SKIP_1) | instid1(VALU_DEP_1)
	v_ldexp_f64 v[4:5], v[6:7], v4
	s_wait_alu 0xfffd
	v_cndmask_b32_e32 v5, 0x7ff00000, v5, vcc_lo
	s_and_b32 vcc_lo, s0, vcc_lo
	s_wait_alu 0xfffe
	s_delay_alu instid0(VALU_DEP_2)
	v_cndmask_b32_e32 v2, 0, v4, vcc_lo
	v_add_co_u32 v0, vcc_lo, s6, v0
	v_cndmask_b32_e64 v3, 0, v5, s0
	s_wait_alu 0xfffd
	v_add_co_ci_u32_e64 v1, null, s7, v1, vcc_lo
	global_store_b64 v[0:1], v[2:3], off
	s_endpgm
	.section	.rodata,"a",@progbits
	.p2align	6, 0x0
	.amdhsa_kernel _Z13ratt10_kernelIdEvPKT_PS0_S0_
		.amdhsa_group_segment_fixed_size 0
		.amdhsa_private_segment_fixed_size 0
		.amdhsa_kernarg_size 280
		.amdhsa_user_sgpr_count 2
		.amdhsa_user_sgpr_dispatch_ptr 0
		.amdhsa_user_sgpr_queue_ptr 0
		.amdhsa_user_sgpr_kernarg_segment_ptr 1
		.amdhsa_user_sgpr_dispatch_id 0
		.amdhsa_user_sgpr_private_segment_size 0
		.amdhsa_wavefront_size32 1
		.amdhsa_uses_dynamic_stack 0
		.amdhsa_enable_private_segment 0
		.amdhsa_system_sgpr_workgroup_id_x 1
		.amdhsa_system_sgpr_workgroup_id_y 0
		.amdhsa_system_sgpr_workgroup_id_z 0
		.amdhsa_system_sgpr_workgroup_info 0
		.amdhsa_system_vgpr_workitem_id 0
		.amdhsa_next_free_vgpr 21
		.amdhsa_next_free_sgpr 42
		.amdhsa_reserve_vcc 1
		.amdhsa_float_round_mode_32 0
		.amdhsa_float_round_mode_16_64 0
		.amdhsa_float_denorm_mode_32 3
		.amdhsa_float_denorm_mode_16_64 3
		.amdhsa_fp16_overflow 0
		.amdhsa_workgroup_processor_mode 1
		.amdhsa_memory_ordered 1
		.amdhsa_forward_progress 1
		.amdhsa_inst_pref_size 64
		.amdhsa_round_robin_scheduling 0
		.amdhsa_exception_fp_ieee_invalid_op 0
		.amdhsa_exception_fp_denorm_src 0
		.amdhsa_exception_fp_ieee_div_zero 0
		.amdhsa_exception_fp_ieee_overflow 0
		.amdhsa_exception_fp_ieee_underflow 0
		.amdhsa_exception_fp_ieee_inexact 0
		.amdhsa_exception_int_div_zero 0
	.end_amdhsa_kernel
	.section	.text._Z13ratt10_kernelIdEvPKT_PS0_S0_,"axG",@progbits,_Z13ratt10_kernelIdEvPKT_PS0_S0_,comdat
.Lfunc_end38:
	.size	_Z13ratt10_kernelIdEvPKT_PS0_S0_, .Lfunc_end38-_Z13ratt10_kernelIdEvPKT_PS0_S0_
                                        ; -- End function
	.set _Z13ratt10_kernelIdEvPKT_PS0_S0_.num_vgpr, 21
	.set _Z13ratt10_kernelIdEvPKT_PS0_S0_.num_agpr, 0
	.set _Z13ratt10_kernelIdEvPKT_PS0_S0_.numbered_sgpr, 42
	.set _Z13ratt10_kernelIdEvPKT_PS0_S0_.num_named_barrier, 0
	.set _Z13ratt10_kernelIdEvPKT_PS0_S0_.private_seg_size, 0
	.set _Z13ratt10_kernelIdEvPKT_PS0_S0_.uses_vcc, 1
	.set _Z13ratt10_kernelIdEvPKT_PS0_S0_.uses_flat_scratch, 0
	.set _Z13ratt10_kernelIdEvPKT_PS0_S0_.has_dyn_sized_stack, 0
	.set _Z13ratt10_kernelIdEvPKT_PS0_S0_.has_recursion, 0
	.set _Z13ratt10_kernelIdEvPKT_PS0_S0_.has_indirect_call, 0
	.section	.AMDGPU.csdata,"",@progbits
; Kernel info:
; codeLenInByte = 8072
; TotalNumSgprs: 44
; NumVgprs: 21
; ScratchSize: 0
; MemoryBound: 0
; FloatMode: 240
; IeeeMode: 1
; LDSByteSize: 0 bytes/workgroup (compile time only)
; SGPRBlocks: 0
; VGPRBlocks: 2
; NumSGPRsForWavesPerEU: 44
; NumVGPRsForWavesPerEU: 21
; Occupancy: 16
; WaveLimiterHint : 0
; COMPUTE_PGM_RSRC2:SCRATCH_EN: 0
; COMPUTE_PGM_RSRC2:USER_SGPR: 2
; COMPUTE_PGM_RSRC2:TRAP_HANDLER: 0
; COMPUTE_PGM_RSRC2:TGID_X_EN: 1
; COMPUTE_PGM_RSRC2:TGID_Y_EN: 0
; COMPUTE_PGM_RSRC2:TGID_Z_EN: 0
; COMPUTE_PGM_RSRC2:TIDIG_COMP_CNT: 0
	.section	.text._Z11ratx_kernelIdEvPKT_S2_PS0_S3_S2_S0_,"axG",@progbits,_Z11ratx_kernelIdEvPKT_S2_PS0_S3_S2_S0_,comdat
	.protected	_Z11ratx_kernelIdEvPKT_S2_PS0_S3_S2_S0_ ; -- Begin function _Z11ratx_kernelIdEvPKT_S2_PS0_S3_S2_S0_
	.globl	_Z11ratx_kernelIdEvPKT_S2_PS0_S3_S2_S0_
	.p2align	8
	.type	_Z11ratx_kernelIdEvPKT_S2_PS0_S3_S2_S0_,@function
_Z11ratx_kernelIdEvPKT_S2_PS0_S3_S2_S0_: ; @_Z11ratx_kernelIdEvPKT_S2_PS0_S3_S2_S0_
; %bb.0:
	s_clause 0x3
	s_load_b32 s2, s[0:1], 0x3c
	s_load_b256 s[4:11], s[0:1], 0x0
	s_load_b32 s33, s[0:1], 0x30
	s_load_b128 s[12:15], s[0:1], 0x20
	s_mov_b32 s34, 0x652b82fe
	s_mov_b32 s35, 0x3ff71547
	;; [unrolled: 1-line block ×16, first 2 shown]
	s_wait_kmcnt 0x0
	s_and_b32 s2, s2, 0xffff
	s_mov_b32 s20, 0x55555511
	v_mad_co_u64_u32 v[0:1], null, ttmp9, s2, v[0:1]
	s_mul_i32 s33, s33, s2
	v_mov_b32_e32 v1, 0
	s_mov_b32 s2, 0x92f3c105
	s_mov_b32 s3, 0xbf42a91c
	;; [unrolled: 1-line block ×4, first 2 shown]
	v_lshlrev_b64_e32 v[6:7], 3, v[0:1]
	v_add_nc_u32_e32 v0, s33, v0
	s_mov_b32 s25, 0x3fe00000
	s_mov_b32 s46, 0x55555555
	;; [unrolled: 1-line block ×4, first 2 shown]
	v_add_co_u32 v2, vcc_lo, s6, v6
	s_delay_alu instid0(VALU_DEP_1)
	v_add_co_ci_u32_e64 v3, null, s7, v7, vcc_lo
	v_lshlrev_b64_e32 v[26:27], 3, v[0:1]
	v_add_nc_u32_e32 v0, s33, v0
	s_mov_b32 s42, 0xbf559e2b
	global_load_b64 v[8:9], v[2:3], off
	s_mov_b32 s41, 0x3fc38538
	s_mov_b32 s43, 0x3fc3ab76
	v_add_co_u32 v2, vcc_lo, s6, v26
	s_wait_alu 0xfffd
	v_add_co_ci_u32_e64 v3, null, s7, v27, vcc_lo
	v_lshlrev_b64_e32 v[4:5], 3, v[0:1]
	v_add_nc_u32_e32 v0, s33, v0
	s_mov_b32 s44, 0xd7f4df2e
	global_load_b64 v[2:3], v[2:3], off
	s_mov_b32 s45, 0x3fc7474d
	s_mov_b32 s50, 0x16291751
	v_add_co_u32 v4, vcc_lo, s6, v4
	s_wait_alu 0xfffd
	v_add_co_ci_u32_e64 v5, null, s7, v5, vcc_lo
	v_lshlrev_b64_e32 v[38:39], 3, v[0:1]
	v_add_nc_u32_e32 v0, s33, v0
	s_mov_b32 s51, 0x3fcc71c0
	global_load_b64 v[4:5], v[4:5], off
	s_mov_b32 s54, 0x9b27acf1
	s_mov_b32 s55, 0x3fd24924
	v_add_co_u32 v10, vcc_lo, s6, v38
	s_wait_alu 0xfffd
	v_add_co_ci_u32_e64 v11, null, s7, v39, vcc_lo
	s_mov_b32 s52, 0x998ef7b6
	s_mov_b32 s53, 0x3fd99999
	;; [unrolled: 1-line block ×3, first 2 shown]
	global_load_b64 v[12:13], v[10:11], off
	v_lshlrev_b64_e32 v[10:11], 3, v[0:1]
	v_add_nc_u32_e32 v0, s33, v0
	s_mov_b32 s57, s47
	s_mov_b32 s30, 0x1526e50e
	;; [unrolled: 1-line block ×4, first 2 shown]
	v_add_co_u32 v10, vcc_lo, s6, v10
	s_wait_alu 0xfffd
	v_add_co_ci_u32_e64 v11, null, s7, v11, vcc_lo
	v_lshlrev_b64_e32 v[42:43], 3, v[0:1]
	v_add_nc_u32_e32 v0, s33, v0
	s_mov_b32 s49, 0x3fd34413
	global_load_b64 v[14:15], v[10:11], off
	s_mov_b32 s58, 0xa994fd21
	s_mov_b32 s60, 0xbaaafad3
	v_add_co_u32 v10, vcc_lo, s6, v42
	s_wait_alu 0xfffd
	v_add_co_ci_u32_e64 v11, null, s7, v43, vcc_lo
	v_lshlrev_b64_e32 v[36:37], 3, v[0:1]
	v_add_nc_u32_e32 v0, s33, v0
	s_mov_b32 s59, 0xbc49dc1d
	global_load_b64 v[16:17], v[10:11], off
	s_mov_b32 s61, 0x3c695355
	s_mov_b32 s72, 0xd70a3d71
	;; [unrolled: 9-line block ×3, first 2 shown]
	v_add_co_u32 v10, vcc_lo, s6, v30
	s_wait_alu 0xfffd
	v_add_co_ci_u32_e64 v11, null, s7, v31, vcc_lo
	s_mov_b32 s76, 0x851eb852
	s_mov_b32 s77, 0xbff451eb
	;; [unrolled: 1-line block ×3, first 2 shown]
	global_load_b64 v[22:23], v[10:11], off
	v_lshlrev_b64_e32 v[10:11], 3, v[0:1]
	v_add_nc_u32_e32 v0, s33, v0
	s_mov_b32 s79, 0xbfc1eb85
	s_mov_b32 s62, 0x979a371
	;; [unrolled: 1-line block ×4, first 2 shown]
	v_add_co_u32 v10, vcc_lo, s6, v10
	s_wait_alu 0xfffd
	v_add_co_ci_u32_e64 v11, null, s7, v11, vcc_lo
	v_lshlrev_b64_e32 v[20:21], 3, v[0:1]
	v_add_nc_u32_e32 v0, s33, v0
	s_mov_b32 s68, s48
	global_load_b64 v[24:25], v[10:11], off
	s_mov_b32 s67, 0x3c49dc1d
	s_mov_b32 s66, s58
	v_add_co_u32 v28, vcc_lo, s6, v20
	s_wait_alu 0xfffd
	v_add_co_ci_u32_e64 v29, null, s7, v21, vcc_lo
	s_mov_b32 s70, 0x494ea3e9
	s_mov_b32 s71, 0xbcaf48ad
	;; [unrolled: 1-line block ×3, first 2 shown]
	global_load_b64 v[32:33], v[28:29], off
	s_mov_b32 s75, 0x40026bb1
	s_wait_loadcnt 0x9
	v_add_f64_e32 v[10:11], 0, v[8:9]
	s_wait_loadcnt 0x8
	s_delay_alu instid0(VALU_DEP_1) | instskip(SKIP_2) | instid1(VALU_DEP_2)
	v_add_f64_e32 v[2:3], v[10:11], v[2:3]
	v_lshlrev_b64_e32 v[10:11], 3, v[0:1]
	v_add_nc_u32_e32 v0, s33, v0
	v_add_co_u32 v28, vcc_lo, s6, v10
	s_wait_alu 0xfffd
	s_delay_alu instid0(VALU_DEP_3)
	v_add_co_ci_u32_e64 v29, null, s7, v11, vcc_lo
	global_load_b64 v[40:41], v[28:29], off
	s_wait_loadcnt 0x8
	v_add_f64_e32 v[4:5], v[2:3], v[4:5]
	v_lshlrev_b64_e32 v[2:3], 3, v[0:1]
	v_add_nc_u32_e32 v0, s33, v0
	s_delay_alu instid0(VALU_DEP_2) | instskip(SKIP_1) | instid1(VALU_DEP_3)
	v_add_co_u32 v28, vcc_lo, s6, v2
	s_wait_alu 0xfffd
	v_add_co_ci_u32_e64 v29, null, s7, v3, vcc_lo
	global_load_b64 v[44:45], v[28:29], off
	s_wait_loadcnt 0x8
	v_add_f64_e32 v[4:5], v[4:5], v[12:13]
	v_lshlrev_b64_e32 v[12:13], 3, v[0:1]
	v_add_nc_u32_e32 v0, s33, v0
	s_delay_alu instid0(VALU_DEP_2) | instskip(SKIP_1) | instid1(VALU_DEP_3)
	v_add_co_u32 v12, vcc_lo, s6, v12
	s_wait_alu 0xfffd
	v_add_co_ci_u32_e64 v13, null, s7, v13, vcc_lo
	global_load_b64 v[34:35], v[12:13], off
	v_lshlrev_b64_e32 v[12:13], 3, v[0:1]
	v_add_nc_u32_e32 v0, s33, v0
	s_delay_alu instid0(VALU_DEP_2) | instskip(SKIP_1) | instid1(VALU_DEP_3)
	v_add_co_u32 v12, vcc_lo, s6, v12
	s_wait_alu 0xfffd
	v_add_co_ci_u32_e64 v13, null, s7, v13, vcc_lo
	global_load_b64 v[12:13], v[12:13], off
	s_wait_loadcnt 0x9
	v_add_f64_e32 v[4:5], v[4:5], v[14:15]
	v_lshlrev_b64_e32 v[14:15], 3, v[0:1]
	v_add_nc_u32_e32 v0, s33, v0
	s_delay_alu instid0(VALU_DEP_2) | instskip(SKIP_1) | instid1(VALU_DEP_3)
	v_add_co_u32 v14, vcc_lo, s6, v14
	s_wait_alu 0xfffd
	v_add_co_ci_u32_e64 v15, null, s7, v15, vcc_lo
	global_load_b64 v[14:15], v[14:15], off
	s_wait_loadcnt 0x9
	v_add_f64_e32 v[4:5], v[4:5], v[16:17]
	s_wait_loadcnt 0x8
	s_delay_alu instid0(VALU_DEP_1) | instskip(SKIP_2) | instid1(VALU_DEP_2)
	v_add_f64_e32 v[18:19], v[4:5], v[18:19]
	v_lshlrev_b64_e32 v[4:5], 3, v[0:1]
	v_add_nc_u32_e32 v0, s33, v0
	v_add_co_u32 v28, vcc_lo, s6, v4
	s_wait_alu 0xfffd
	s_delay_alu instid0(VALU_DEP_3)
	v_add_co_ci_u32_e64 v29, null, s7, v5, vcc_lo
	global_load_b64 v[46:47], v[28:29], off
	s_wait_loadcnt 0x8
	v_add_f64_e32 v[18:19], v[18:19], v[22:23]
	v_lshlrev_b64_e32 v[22:23], 3, v[0:1]
	v_add_nc_u32_e32 v0, s33, v0
	s_delay_alu instid0(VALU_DEP_2) | instskip(SKIP_1) | instid1(VALU_DEP_3)
	v_add_co_u32 v22, vcc_lo, s6, v22
	s_wait_alu 0xfffd
	v_add_co_ci_u32_e64 v23, null, s7, v23, vcc_lo
	global_load_b64 v[22:23], v[22:23], off
	s_wait_loadcnt 0x8
	v_add_f64_e32 v[18:19], v[18:19], v[24:25]
	v_lshlrev_b64_e32 v[24:25], 3, v[0:1]
	v_add_nc_u32_e32 v0, s33, v0
	s_delay_alu instid0(VALU_DEP_2) | instskip(SKIP_1) | instid1(VALU_DEP_3)
	v_add_co_u32 v24, vcc_lo, s6, v24
	s_wait_alu 0xfffd
	v_add_co_ci_u32_e64 v25, null, s7, v25, vcc_lo
	global_load_b64 v[48:49], v[24:25], off
	v_lshlrev_b64_e32 v[24:25], 3, v[0:1]
	v_add_nc_u32_e32 v0, s33, v0
	s_delay_alu instid0(VALU_DEP_2) | instskip(SKIP_1) | instid1(VALU_DEP_3)
	v_add_co_u32 v24, vcc_lo, s6, v24
	s_wait_alu 0xfffd
	v_add_co_ci_u32_e64 v25, null, s7, v25, vcc_lo
	global_load_b64 v[50:51], v[24:25], off
	v_lshlrev_b64_e32 v[24:25], 3, v[0:1]
	v_add_nc_u32_e32 v0, s33, v0
	s_delay_alu instid0(VALU_DEP_2) | instskip(SKIP_1) | instid1(VALU_DEP_3)
	v_add_co_u32 v24, vcc_lo, s6, v24
	s_wait_alu 0xfffd
	v_add_co_ci_u32_e64 v25, null, s7, v25, vcc_lo
	s_wait_loadcnt 0x9
	v_add_f64_e32 v[18:19], v[18:19], v[32:33]
	v_add_co_u32 v28, vcc_lo, s8, v4
	global_load_b64 v[52:53], v[24:25], off
	v_lshlrev_b64_e32 v[24:25], 3, v[0:1]
	s_wait_alu 0xfffd
	v_add_co_ci_u32_e64 v29, null, s9, v5, vcc_lo
	v_add_nc_u32_e32 v0, s33, v0
	s_delay_alu instid0(VALU_DEP_3)
	v_add_co_u32 v54, vcc_lo, s6, v24
	s_wait_alu 0xfffd
	v_add_co_ci_u32_e64 v55, null, s7, v25, vcc_lo
	global_load_b64 v[24:25], v[28:29], off
	global_load_b64 v[54:55], v[54:55], off
	s_wait_loadcnt 0xb
	v_add_f64_e32 v[18:19], v[18:19], v[40:41]
	s_wait_loadcnt 0xa
	s_delay_alu instid0(VALU_DEP_1) | instskip(SKIP_1) | instid1(VALU_DEP_1)
	v_add_f64_e32 v[18:19], v[18:19], v[44:45]
	s_wait_loadcnt 0x9
	v_add_f64_e32 v[18:19], v[18:19], v[34:35]
	v_lshlrev_b64_e32 v[34:35], 3, v[0:1]
	s_delay_alu instid0(VALU_DEP_1) | instskip(SKIP_1) | instid1(VALU_DEP_2)
	v_add_co_u32 v34, vcc_lo, s6, v34
	s_wait_alu 0xfffd
	v_add_co_ci_u32_e64 v35, null, s7, v35, vcc_lo
	s_mov_b32 s6, 0x6a5dcb37
	s_mov_b32 s7, 0x3e5ade15
	global_load_b64 v[34:35], v[34:35], off
	s_wait_loadcnt 0x9
	v_add_f64_e32 v[18:19], v[18:19], v[12:13]
	s_wait_loadcnt 0x8
	s_delay_alu instid0(VALU_DEP_1) | instskip(SKIP_1) | instid1(VALU_DEP_1)
	v_add_f64_e32 v[18:19], v[18:19], v[14:15]
	s_wait_loadcnt 0x7
	v_add_f64_e32 v[18:19], v[18:19], v[46:47]
	s_wait_loadcnt 0x6
	s_delay_alu instid0(VALU_DEP_1) | instskip(SKIP_1) | instid1(VALU_DEP_1)
	v_add_f64_e32 v[18:19], v[18:19], v[22:23]
	s_wait_loadcnt 0x5
	v_add_f64_e32 v[18:19], v[18:19], v[48:49]
	s_wait_loadcnt 0x2
	v_div_scale_f64 v[22:23], null, v[24:25], v[24:25], 1.0
	s_delay_alu instid0(VALU_DEP_2) | instskip(NEXT) | instid1(VALU_DEP_2)
	v_add_f64_e32 v[18:19], v[18:19], v[50:51]
	v_rcp_f64_e32 v[48:49], v[22:23]
	s_delay_alu instid0(VALU_DEP_1) | instskip(NEXT) | instid1(TRANS32_DEP_1)
	v_add_f64_e32 v[18:19], v[18:19], v[52:53]
	v_fma_f64 v[50:51], -v[22:23], v[48:49], 1.0
	s_wait_loadcnt 0x1
	s_delay_alu instid0(VALU_DEP_2) | instskip(SKIP_1) | instid1(VALU_DEP_1)
	v_add_f64_e32 v[18:19], v[18:19], v[54:55]
	s_wait_loadcnt 0x0
	v_add_f64_e32 v[18:19], v[18:19], v[34:35]
	s_delay_alu instid0(VALU_DEP_1)
	v_add_f64_e32 v[8:9], v[18:19], v[8:9]
	v_add_co_u32 v18, vcc_lo, s12, v6
	s_wait_alu 0xfffd
	v_add_co_ci_u32_e64 v19, null, s13, v7, vcc_lo
	v_add_co_u32 v6, vcc_lo, s4, v6
	s_wait_alu 0xfffd
	v_add_co_ci_u32_e64 v7, null, s5, v7, vcc_lo
	global_load_b64 v[34:35], v[18:19], off
	global_load_b64 v[18:19], v[6:7], off
	v_fma_f64 v[6:7], v[48:49], v[50:51], v[48:49]
	s_mov_b32 s4, 0xfca7ab0c
	s_mov_b32 s5, 0x3e928af3
	v_fma_f64 v[8:9], 0x40140000, v[16:17], v[8:9]
	s_delay_alu instid0(VALU_DEP_2) | instskip(NEXT) | instid1(VALU_DEP_2)
	v_fma_f64 v[16:17], -v[22:23], v[6:7], 1.0
	v_add_f64_e32 v[8:9], v[32:33], v[8:9]
	v_div_scale_f64 v[32:33], vcc_lo, 1.0, v[24:25], 1.0
	s_delay_alu instid0(VALU_DEP_3) | instskip(NEXT) | instid1(VALU_DEP_3)
	v_fma_f64 v[6:7], v[6:7], v[16:17], v[6:7]
	v_fma_f64 v[8:9], v[40:41], 0.5, v[8:9]
	s_delay_alu instid0(VALU_DEP_2) | instskip(NEXT) | instid1(VALU_DEP_2)
	v_mul_f64_e32 v[40:41], v[32:33], v[6:7]
	v_add_f64_e32 v[8:9], v[44:45], v[8:9]
	s_delay_alu instid0(VALU_DEP_2) | instskip(NEXT) | instid1(VALU_DEP_2)
	v_fma_f64 v[22:23], -v[22:23], v[40:41], v[32:33]
	v_fma_f64 v[16:17], v[46:47], 2.0, v[8:9]
	s_wait_alu 0xfffd
	s_delay_alu instid0(VALU_DEP_2) | instskip(NEXT) | instid1(VALU_DEP_2)
	v_div_fmas_f64 v[6:7], v[22:23], v[6:7], v[40:41]
	v_fma_f64 v[8:9], v[12:13], 2.0, v[16:17]
	v_fma_f64 v[12:13], 0x3ff80000, v[12:13], v[16:17]
	s_delay_alu instid0(VALU_DEP_3) | instskip(NEXT) | instid1(VALU_DEP_3)
	v_div_fixup_f64 v[22:23], v[6:7], v[24:25], 1.0
	v_fma_f64 v[6:7], v[14:15], 2.0, v[8:9]
	s_delay_alu instid0(VALU_DEP_3) | instskip(NEXT) | instid1(VALU_DEP_2)
	v_fma_f64 v[12:13], 0x3ff80000, v[14:15], v[12:13]
	v_mul_f64_e32 v[40:41], v[6:7], v[22:23]
	s_wait_loadcnt 0x0
	v_mul_f64_e32 v[8:9], s[14:15], v[18:19]
	s_mov_b32 s14, 0x623fde64
	s_mov_b32 s15, 0x3ec71dee
	s_delay_alu instid0(VALU_DEP_2) | instskip(SKIP_1) | instid1(VALU_DEP_3)
	v_fma_f64 v[22:23], v[34:35], v[40:41], 1.0
	v_mul_f64_e32 v[34:35], v[34:35], v[40:41]
	v_div_scale_f64 v[32:33], null, v[8:9], v[8:9], 1.0
	s_delay_alu instid0(VALU_DEP_3) | instskip(SKIP_1) | instid1(VALU_DEP_3)
	v_div_scale_f64 v[18:19], null, v[22:23], v[22:23], 1.0
	v_div_scale_f64 v[52:53], vcc_lo, 1.0, v[22:23], 1.0
	v_rcp_f64_e32 v[46:47], v[32:33]
	s_delay_alu instid0(VALU_DEP_2) | instskip(NEXT) | instid1(TRANS32_DEP_2)
	v_rcp_f64_e32 v[44:45], v[18:19]
	v_fma_f64 v[50:51], -v[32:33], v[46:47], 1.0
	s_delay_alu instid0(TRANS32_DEP_1) | instskip(NEXT) | instid1(VALU_DEP_2)
	v_fma_f64 v[48:49], -v[18:19], v[44:45], 1.0
	v_fma_f64 v[46:47], v[46:47], v[50:51], v[46:47]
	s_delay_alu instid0(VALU_DEP_2) | instskip(NEXT) | instid1(VALU_DEP_2)
	v_fma_f64 v[44:45], v[44:45], v[48:49], v[44:45]
	v_fma_f64 v[50:51], -v[32:33], v[46:47], 1.0
	s_delay_alu instid0(VALU_DEP_2) | instskip(NEXT) | instid1(VALU_DEP_2)
	v_fma_f64 v[48:49], -v[18:19], v[44:45], 1.0
	v_fma_f64 v[46:47], v[46:47], v[50:51], v[46:47]
	s_delay_alu instid0(VALU_DEP_2) | instskip(SKIP_1) | instid1(VALU_DEP_2)
	v_fma_f64 v[44:45], v[44:45], v[48:49], v[44:45]
	v_div_scale_f64 v[48:49], s0, 1.0, v[8:9], 1.0
	v_mul_f64_e32 v[50:51], v[52:53], v[44:45]
	s_delay_alu instid0(VALU_DEP_2) | instskip(NEXT) | instid1(VALU_DEP_2)
	v_mul_f64_e32 v[54:55], v[48:49], v[46:47]
	v_fma_f64 v[18:19], -v[18:19], v[50:51], v[52:53]
	s_delay_alu instid0(VALU_DEP_2) | instskip(SKIP_1) | instid1(VALU_DEP_2)
	v_fma_f64 v[48:49], -v[32:33], v[54:55], v[48:49]
	s_wait_alu 0xfffd
	v_div_fmas_f64 v[32:33], v[18:19], v[44:45], v[50:51]
	s_mov_b32 vcc_lo, s0
	s_wait_alu 0xfffe
	v_mul_f64_e32 v[44:45], s[2:3], v[8:9]
	s_delay_alu instid0(VALU_DEP_3)
	v_div_fmas_f64 v[18:19], v[48:49], v[46:47], v[54:55]
	s_mov_b32 s0, 0x2b931057
	s_mov_b32 s1, 0xbf85c988
	s_wait_alu 0xfffe
	v_mul_f64_e32 v[46:47], s[0:1], v[8:9]
	s_mov_b32 s0, 0xdbf487fd
	s_mov_b32 s1, 0x3fe781d7
	s_delay_alu instid0(VALU_DEP_4) | instskip(NEXT) | instid1(VALU_DEP_4)
	v_div_fixup_f64 v[22:23], v[32:33], v[22:23], 1.0
	v_mul_f64_e32 v[48:49], s[34:35], v[44:45]
	s_delay_alu instid0(VALU_DEP_4)
	v_div_fixup_f64 v[18:19], v[18:19], v[8:9], 1.0
	v_cmp_ngt_f64_e64 s2, 0xc090cc00, v[44:45]
	v_mul_f64_e32 v[50:51], s[34:35], v[46:47]
	v_cmp_nlt_f64_e32 vcc_lo, 0x40900000, v[46:47]
	v_mul_f64_e32 v[22:23], v[34:35], v[22:23]
	v_rndne_f64_e32 v[48:49], v[48:49]
	v_mul_f64_e32 v[52:53], 0xc0b43e00, v[18:19]
	v_rndne_f64_e32 v[50:51], v[50:51]
	s_delay_alu instid0(VALU_DEP_3) | instskip(NEXT) | instid1(VALU_DEP_3)
	v_fma_f64 v[56:57], v[48:49], s[36:37], v[44:45]
	v_mul_f64_e32 v[54:55], s[34:35], v[52:53]
	v_cvt_i32_f64_e32 v68, v[48:49]
	s_delay_alu instid0(VALU_DEP_4) | instskip(NEXT) | instid1(VALU_DEP_4)
	v_fma_f64 v[58:59], v[50:51], s[36:37], v[46:47]
	v_fma_f64 v[56:57], v[48:49], s[38:39], v[56:57]
	s_delay_alu instid0(VALU_DEP_4) | instskip(NEXT) | instid1(VALU_DEP_3)
	v_rndne_f64_e32 v[54:55], v[54:55]
	v_fma_f64 v[58:59], v[50:51], s[38:39], v[58:59]
	s_delay_alu instid0(VALU_DEP_3) | instskip(NEXT) | instid1(VALU_DEP_3)
	v_fma_f64 v[62:63], v[56:57], s[6:7], s[4:5]
	v_fma_f64 v[60:61], v[54:55], s[36:37], v[52:53]
	s_delay_alu instid0(VALU_DEP_3) | instskip(NEXT) | instid1(VALU_DEP_3)
	v_fma_f64 v[64:65], v[58:59], s[6:7], s[4:5]
	v_fma_f64 v[62:63], v[56:57], v[62:63], s[14:15]
	s_delay_alu instid0(VALU_DEP_3) | instskip(NEXT) | instid1(VALU_DEP_3)
	v_fma_f64 v[60:61], v[54:55], s[38:39], v[60:61]
	v_fma_f64 v[64:65], v[58:59], v[64:65], s[14:15]
	s_delay_alu instid0(VALU_DEP_3) | instskip(NEXT) | instid1(VALU_DEP_3)
	v_fma_f64 v[62:63], v[56:57], v[62:63], s[18:19]
	v_fma_f64 v[66:67], v[60:61], s[6:7], s[4:5]
	s_delay_alu instid0(VALU_DEP_3) | instskip(NEXT) | instid1(VALU_DEP_3)
	v_fma_f64 v[64:65], v[58:59], v[64:65], s[18:19]
	v_fma_f64 v[62:63], v[56:57], v[62:63], s[22:23]
	s_delay_alu instid0(VALU_DEP_3) | instskip(NEXT) | instid1(VALU_DEP_3)
	v_fma_f64 v[66:67], v[60:61], v[66:67], s[14:15]
	v_fma_f64 v[64:65], v[58:59], v[64:65], s[22:23]
	s_delay_alu instid0(VALU_DEP_3) | instskip(NEXT) | instid1(VALU_DEP_3)
	v_fma_f64 v[62:63], v[56:57], v[62:63], s[26:27]
	v_fma_f64 v[66:67], v[60:61], v[66:67], s[18:19]
	s_delay_alu instid0(VALU_DEP_3) | instskip(NEXT) | instid1(VALU_DEP_3)
	v_fma_f64 v[64:65], v[58:59], v[64:65], s[26:27]
	v_fma_f64 v[62:63], v[56:57], v[62:63], s[28:29]
	s_delay_alu instid0(VALU_DEP_3) | instskip(NEXT) | instid1(VALU_DEP_3)
	v_fma_f64 v[66:67], v[60:61], v[66:67], s[22:23]
	v_fma_f64 v[64:65], v[58:59], v[64:65], s[28:29]
	s_delay_alu instid0(VALU_DEP_3) | instskip(NEXT) | instid1(VALU_DEP_3)
	v_fma_f64 v[62:63], v[56:57], v[62:63], s[16:17]
	v_fma_f64 v[66:67], v[60:61], v[66:67], s[26:27]
	s_delay_alu instid0(VALU_DEP_3) | instskip(NEXT) | instid1(VALU_DEP_3)
	v_fma_f64 v[64:65], v[58:59], v[64:65], s[16:17]
	v_fma_f64 v[62:63], v[56:57], v[62:63], s[20:21]
	s_delay_alu instid0(VALU_DEP_3) | instskip(NEXT) | instid1(VALU_DEP_3)
	v_fma_f64 v[66:67], v[60:61], v[66:67], s[28:29]
	v_fma_f64 v[64:65], v[58:59], v[64:65], s[20:21]
	s_delay_alu instid0(VALU_DEP_3) | instskip(NEXT) | instid1(VALU_DEP_3)
	v_fma_f64 v[62:63], v[56:57], v[62:63], s[24:25]
	v_fma_f64 v[66:67], v[60:61], v[66:67], s[16:17]
	s_delay_alu instid0(VALU_DEP_3) | instskip(NEXT) | instid1(VALU_DEP_3)
	v_fma_f64 v[64:65], v[58:59], v[64:65], s[24:25]
	v_fma_f64 v[62:63], v[56:57], v[62:63], 1.0
	s_delay_alu instid0(VALU_DEP_3) | instskip(NEXT) | instid1(VALU_DEP_3)
	v_fma_f64 v[66:67], v[60:61], v[66:67], s[20:21]
	v_fma_f64 v[64:65], v[58:59], v[64:65], 1.0
	s_delay_alu instid0(VALU_DEP_3) | instskip(NEXT) | instid1(VALU_DEP_3)
	v_fma_f64 v[48:49], v[56:57], v[62:63], 1.0
	v_fma_f64 v[66:67], v[60:61], v[66:67], s[24:25]
	v_cvt_i32_f64_e32 v62, v[50:51]
	s_delay_alu instid0(VALU_DEP_4) | instskip(SKIP_3) | instid1(VALU_DEP_4)
	v_fma_f64 v[50:51], v[58:59], v[64:65], 1.0
	v_cvt_i32_f64_e32 v58, v[54:55]
	v_ldexp_f64 v[48:49], v[48:49], v68
	v_fma_f64 v[56:57], v[60:61], v[66:67], 1.0
	v_ldexp_f64 v[50:51], v[50:51], v62
	s_wait_alu 0xfffe
	s_delay_alu instid0(VALU_DEP_3) | instskip(SKIP_1) | instid1(VALU_DEP_4)
	v_mul_f64_e32 v[48:49], s[0:1], v[48:49]
	v_cmp_ngt_f64_e64 s0, 0xc090cc00, v[46:47]
	v_fma_f64 v[54:55], v[60:61], v[56:57], 1.0
	v_cmp_nlt_f64_e64 s1, 0x40900000, v[44:45]
	s_wait_alu 0xfffd
	v_cndmask_b32_e32 v51, 0x7ff00000, v51, vcc_lo
	s_and_b32 vcc_lo, s0, vcc_lo
	v_ldexp_f64 v[46:47], v[54:55], v58
	s_wait_alu 0xfffe
	v_cndmask_b32_e32 v44, 0, v50, vcc_lo
	v_cmp_nlt_f64_e32 vcc_lo, 0x40900000, v[52:53]
	v_cndmask_b32_e64 v49, 0x7ff00000, v49, s1
	v_cndmask_b32_e64 v45, 0, v51, s0
	v_cmp_ngt_f64_e64 s0, 0xc090cc00, v[52:53]
	s_and_b32 s1, s2, s1
	v_cndmask_b32_e64 v49, 0, v49, s2
	s_wait_alu 0xfffe
	v_cndmask_b32_e64 v48, 0, v48, s1
	s_mov_b32 s2, 0x4816f007
	s_mov_b32 s3, 0x3fd0fc50
	s_wait_alu 0xfffd
	v_cndmask_b32_e32 v50, 0x7ff00000, v47, vcc_lo
	s_wait_alu 0xfffe
	v_fma_f64 v[47:48], v[44:45], s[2:3], v[48:49]
	s_mov_b32 s2, 0xa9fbe76d
	s_and_b32 vcc_lo, s0, vcc_lo
	s_mov_b32 s3, 0x3fedd2f1
	v_cndmask_b32_e64 v50, 0, v50, s0
	s_wait_alu 0xfffe
	v_cndmask_b32_e32 v49, 0, v46, vcc_lo
	s_delay_alu instid0(VALU_DEP_1) | instskip(NEXT) | instid1(VALU_DEP_1)
	v_add_f64_e32 v[46:47], v[49:50], v[47:48]
	v_max_num_f64_e32 v[40:41], 0x38100000, v[46:47]
	v_max_num_f64_e32 v[46:47], 0x38100000, v[34:35]
	v_mad_co_u64_u32 v[34:35], null, s33, 9, v[0:1]
	v_mov_b32_e32 v35, v1
	s_delay_alu instid0(VALU_DEP_4) | instskip(NEXT) | instid1(VALU_DEP_4)
	v_frexp_mant_f64_e32 v[48:49], v[40:41]
	v_frexp_mant_f64_e32 v[50:51], v[46:47]
	s_delay_alu instid0(VALU_DEP_2) | instskip(NEXT) | instid1(VALU_DEP_2)
	v_cmp_gt_f64_e32 vcc_lo, s[46:47], v[48:49]
	v_cmp_gt_f64_e64 s0, s[46:47], v[50:51]
	s_wait_alu 0xfffd
	v_cndmask_b32_e64 v52, 0, 1, vcc_lo
	s_delay_alu instid0(VALU_DEP_1) | instskip(SKIP_1) | instid1(VALU_DEP_3)
	v_ldexp_f64 v[48:49], v[48:49], v52
	s_wait_alu 0xf1ff
	v_cndmask_b32_e64 v52, 0, 1, s0
	s_delay_alu instid0(VALU_DEP_1) | instskip(NEXT) | instid1(VALU_DEP_3)
	v_ldexp_f64 v[50:51], v[50:51], v52
	v_add_f64_e32 v[52:53], 1.0, v[48:49]
	v_add_f64_e32 v[64:65], -1.0, v[48:49]
	s_delay_alu instid0(VALU_DEP_3) | instskip(NEXT) | instid1(VALU_DEP_3)
	v_add_f64_e32 v[54:55], 1.0, v[50:51]
	v_rcp_f64_e32 v[56:57], v[52:53]
	v_add_f64_e32 v[68:69], -1.0, v[52:53]
	s_delay_alu instid0(VALU_DEP_2) | instskip(SKIP_1) | instid1(VALU_DEP_2)
	v_rcp_f64_e32 v[58:59], v[54:55]
	v_add_f64_e32 v[72:73], -1.0, v[54:55]
	v_add_f64_e64 v[48:49], v[48:49], -v[68:69]
	s_delay_alu instid0(TRANS32_DEP_2) | instskip(NEXT) | instid1(TRANS32_DEP_1)
	v_fma_f64 v[60:61], -v[52:53], v[56:57], 1.0
	v_fma_f64 v[62:63], -v[54:55], v[58:59], 1.0
	s_delay_alu instid0(VALU_DEP_2) | instskip(NEXT) | instid1(VALU_DEP_2)
	v_fma_f64 v[56:57], v[60:61], v[56:57], v[56:57]
	v_fma_f64 v[58:59], v[62:63], v[58:59], v[58:59]
	s_delay_alu instid0(VALU_DEP_2) | instskip(NEXT) | instid1(VALU_DEP_2)
	v_fma_f64 v[60:61], -v[52:53], v[56:57], 1.0
	v_fma_f64 v[62:63], -v[54:55], v[58:59], 1.0
	s_delay_alu instid0(VALU_DEP_2) | instskip(SKIP_2) | instid1(VALU_DEP_4)
	v_fma_f64 v[56:57], v[60:61], v[56:57], v[56:57]
	v_add_f64_e32 v[60:61], -1.0, v[50:51]
	v_add_f64_e64 v[50:51], v[50:51], -v[72:73]
	v_fma_f64 v[58:59], v[62:63], v[58:59], v[58:59]
	s_delay_alu instid0(VALU_DEP_4) | instskip(NEXT) | instid1(VALU_DEP_2)
	v_mul_f64_e32 v[62:63], v[64:65], v[56:57]
	v_mul_f64_e32 v[66:67], v[60:61], v[58:59]
	s_delay_alu instid0(VALU_DEP_2) | instskip(NEXT) | instid1(VALU_DEP_2)
	v_mul_f64_e32 v[70:71], v[52:53], v[62:63]
	v_mul_f64_e32 v[74:75], v[54:55], v[66:67]
	s_delay_alu instid0(VALU_DEP_2) | instskip(NEXT) | instid1(VALU_DEP_2)
	v_fma_f64 v[52:53], v[62:63], v[52:53], -v[70:71]
	v_fma_f64 v[54:55], v[66:67], v[54:55], -v[74:75]
	s_delay_alu instid0(VALU_DEP_2) | instskip(NEXT) | instid1(VALU_DEP_2)
	v_fma_f64 v[48:49], v[62:63], v[48:49], v[52:53]
	v_fma_f64 v[50:51], v[66:67], v[50:51], v[54:55]
	s_delay_alu instid0(VALU_DEP_2) | instskip(NEXT) | instid1(VALU_DEP_2)
	v_add_f64_e32 v[52:53], v[70:71], v[48:49]
	v_add_f64_e32 v[54:55], v[74:75], v[50:51]
	s_delay_alu instid0(VALU_DEP_2) | instskip(SKIP_1) | instid1(VALU_DEP_3)
	v_add_f64_e64 v[68:69], v[64:65], -v[52:53]
	v_add_f64_e64 v[70:71], v[52:53], -v[70:71]
	;; [unrolled: 1-line block ×4, first 2 shown]
	s_delay_alu instid0(VALU_DEP_4) | instskip(NEXT) | instid1(VALU_DEP_4)
	v_add_f64_e64 v[64:65], v[64:65], -v[68:69]
	v_add_f64_e64 v[48:49], v[70:71], -v[48:49]
	s_delay_alu instid0(VALU_DEP_4) | instskip(NEXT) | instid1(VALU_DEP_4)
	v_add_f64_e64 v[60:61], v[60:61], -v[72:73]
	v_add_f64_e64 v[50:51], v[74:75], -v[50:51]
	s_delay_alu instid0(VALU_DEP_4) | instskip(NEXT) | instid1(VALU_DEP_3)
	v_add_f64_e64 v[52:53], v[64:65], -v[52:53]
	v_add_f64_e64 v[54:55], v[60:61], -v[54:55]
	s_delay_alu instid0(VALU_DEP_2) | instskip(NEXT) | instid1(VALU_DEP_2)
	v_add_f64_e32 v[48:49], v[48:49], v[52:53]
	v_add_f64_e32 v[50:51], v[50:51], v[54:55]
	s_delay_alu instid0(VALU_DEP_2) | instskip(NEXT) | instid1(VALU_DEP_2)
	v_add_f64_e32 v[48:49], v[68:69], v[48:49]
	v_add_f64_e32 v[50:51], v[72:73], v[50:51]
	s_delay_alu instid0(VALU_DEP_2) | instskip(NEXT) | instid1(VALU_DEP_2)
	v_mul_f64_e32 v[48:49], v[56:57], v[48:49]
	v_mul_f64_e32 v[50:51], v[58:59], v[50:51]
	s_delay_alu instid0(VALU_DEP_2) | instskip(NEXT) | instid1(VALU_DEP_2)
	v_add_f64_e32 v[52:53], v[62:63], v[48:49]
	v_add_f64_e32 v[54:55], v[66:67], v[50:51]
	s_delay_alu instid0(VALU_DEP_2) | instskip(NEXT) | instid1(VALU_DEP_2)
	v_mul_f64_e32 v[56:57], v[52:53], v[52:53]
	v_mul_f64_e32 v[58:59], v[54:55], v[54:55]
	s_delay_alu instid0(VALU_DEP_2) | instskip(SKIP_1) | instid1(VALU_DEP_3)
	v_fma_f64 v[60:61], v[56:57], s[42:43], s[40:41]
	v_mul_f64_e32 v[68:69], v[52:53], v[56:57]
	v_fma_f64 v[64:65], v[58:59], s[42:43], s[40:41]
	s_delay_alu instid0(VALU_DEP_3) | instskip(NEXT) | instid1(VALU_DEP_2)
	v_fma_f64 v[60:61], v[56:57], v[60:61], s[44:45]
	v_fma_f64 v[64:65], v[58:59], v[64:65], s[44:45]
	s_delay_alu instid0(VALU_DEP_2) | instskip(NEXT) | instid1(VALU_DEP_2)
	v_fma_f64 v[60:61], v[56:57], v[60:61], s[50:51]
	v_fma_f64 v[64:65], v[58:59], v[64:65], s[50:51]
	s_delay_alu instid0(VALU_DEP_2) | instskip(NEXT) | instid1(VALU_DEP_2)
	v_fma_f64 v[60:61], v[56:57], v[60:61], s[54:55]
	v_fma_f64 v[64:65], v[58:59], v[64:65], s[54:55]
	s_delay_alu instid0(VALU_DEP_2) | instskip(NEXT) | instid1(VALU_DEP_2)
	v_fma_f64 v[60:61], v[56:57], v[60:61], s[52:53]
	v_fma_f64 v[64:65], v[58:59], v[64:65], s[52:53]
	s_delay_alu instid0(VALU_DEP_2) | instskip(SKIP_1) | instid1(VALU_DEP_3)
	v_fma_f64 v[56:57], v[56:57], v[60:61], s[56:57]
	v_mul_f64_e32 v[60:61], v[54:55], v[58:59]
	v_fma_f64 v[58:59], v[58:59], v[64:65], s[56:57]
	v_ldexp_f64 v[64:65], v[52:53], 1
	v_add_f64_e64 v[52:53], v[52:53], -v[62:63]
	v_mul_f64_e32 v[56:57], v[68:69], v[56:57]
	v_ldexp_f64 v[68:69], v[54:55], 1
	v_add_f64_e64 v[54:55], v[54:55], -v[66:67]
	v_mul_f64_e32 v[58:59], v[60:61], v[58:59]
	v_add_f64_e64 v[48:49], v[48:49], -v[52:53]
	v_add_f64_e32 v[60:61], v[64:65], v[56:57]
	s_delay_alu instid0(VALU_DEP_4) | instskip(NEXT) | instid1(VALU_DEP_4)
	v_add_f64_e64 v[50:51], v[50:51], -v[54:55]
	v_add_f64_e32 v[62:63], v[68:69], v[58:59]
	s_delay_alu instid0(VALU_DEP_4) | instskip(NEXT) | instid1(VALU_DEP_4)
	v_ldexp_f64 v[48:49], v[48:49], 1
	v_add_f64_e64 v[52:53], v[60:61], -v[64:65]
	v_frexp_exp_i32_f64_e32 v64, v[46:47]
	v_ldexp_f64 v[50:51], v[50:51], 1
	v_add_f64_e64 v[54:55], v[62:63], -v[68:69]
	s_delay_alu instid0(VALU_DEP_4) | instskip(SKIP_4) | instid1(VALU_DEP_3)
	v_add_f64_e64 v[52:53], v[56:57], -v[52:53]
	v_frexp_exp_i32_f64_e32 v56, v[40:41]
	v_subrev_co_ci_u32_e64 v64, null, 0, v64, s0
	v_cmp_neq_f64_e64 s0, 0x7ff00000, v[46:47]
	v_add_f64_e64 v[54:55], v[58:59], -v[54:55]
	v_cvt_f64_i32_e32 v[64:65], v64
	v_add_f64_e32 v[48:49], v[48:49], v[52:53]
	v_subrev_co_ci_u32_e64 v56, null, 0, v56, vcc_lo
	v_cmp_neq_f64_e32 vcc_lo, 0x7ff00000, v[40:41]
	v_add_f64_e32 v[50:51], v[50:51], v[54:55]
	s_delay_alu instid0(VALU_DEP_3) | instskip(SKIP_2) | instid1(VALU_DEP_4)
	v_cvt_f64_i32_e32 v[56:57], v56
	v_mul_f64_e32 v[70:71], s[48:49], v[64:65]
	v_add_f64_e32 v[52:53], v[60:61], v[48:49]
	v_add_f64_e32 v[54:55], v[62:63], v[50:51]
	s_delay_alu instid0(VALU_DEP_4) | instskip(NEXT) | instid1(VALU_DEP_3)
	v_mul_f64_e32 v[68:69], s[48:49], v[56:57]
	v_add_f64_e64 v[58:59], v[52:53], -v[60:61]
	v_mul_f64_e32 v[60:61], s[30:31], v[52:53]
	s_delay_alu instid0(VALU_DEP_4)
	v_add_f64_e64 v[62:63], v[54:55], -v[62:63]
	v_mul_f64_e32 v[66:67], s[30:31], v[54:55]
	v_fma_f64 v[72:73], v[56:57], s[48:49], -v[68:69]
	v_add_f64_e64 v[48:49], v[48:49], -v[58:59]
	v_fma_f64 v[58:59], v[52:53], s[30:31], -v[60:61]
	v_add_f64_e64 v[50:51], v[50:51], -v[62:63]
	v_fma_f64 v[62:63], v[54:55], s[30:31], -v[66:67]
	v_fma_f64 v[56:57], v[56:57], s[58:59], v[72:73]
	s_delay_alu instid0(VALU_DEP_4) | instskip(SKIP_1) | instid1(VALU_DEP_4)
	v_fma_f64 v[48:49], v[48:49], s[30:31], v[58:59]
	v_fma_f64 v[58:59], v[64:65], s[48:49], -v[70:71]
	v_fma_f64 v[50:51], v[50:51], s[30:31], v[62:63]
	s_delay_alu instid0(VALU_DEP_3) | instskip(NEXT) | instid1(VALU_DEP_3)
	v_fma_f64 v[48:49], v[52:53], s[60:61], v[48:49]
	v_fma_f64 v[52:53], v[64:65], s[58:59], v[58:59]
	s_delay_alu instid0(VALU_DEP_3) | instskip(SKIP_1) | instid1(VALU_DEP_4)
	v_fma_f64 v[50:51], v[54:55], s[60:61], v[50:51]
	v_add_f64_e32 v[54:55], v[68:69], v[56:57]
	v_add_f64_e32 v[58:59], v[60:61], v[48:49]
	s_delay_alu instid0(VALU_DEP_4) | instskip(NEXT) | instid1(VALU_DEP_4)
	v_add_f64_e32 v[62:63], v[70:71], v[52:53]
	v_add_f64_e32 v[64:65], v[66:67], v[50:51]
	s_delay_alu instid0(VALU_DEP_4) | instskip(NEXT) | instid1(VALU_DEP_4)
	v_add_f64_e64 v[68:69], v[54:55], -v[68:69]
	v_add_f64_e32 v[72:73], v[54:55], v[58:59]
	v_add_f64_e64 v[60:61], v[58:59], -v[60:61]
	v_add_f64_e64 v[70:71], v[62:63], -v[70:71]
	v_add_f64_e32 v[74:75], v[62:63], v[64:65]
	v_add_f64_e64 v[66:67], v[64:65], -v[66:67]
	v_add_f64_e64 v[56:57], v[56:57], -v[68:69]
	;; [unrolled: 1-line block ×9, first 2 shown]
	s_delay_alu instid0(VALU_DEP_4) | instskip(SKIP_3) | instid1(VALU_DEP_4)
	v_add_f64_e64 v[68:69], v[74:75], -v[78:79]
	v_add_f64_e64 v[60:61], v[64:65], -v[78:79]
	v_add_f64_e32 v[64:65], v[56:57], v[48:49]
	v_add_f64_e64 v[54:55], v[54:55], -v[80:81]
	v_add_f64_e64 v[62:63], v[62:63], -v[68:69]
	s_delay_alu instid0(VALU_DEP_2) | instskip(SKIP_1) | instid1(VALU_DEP_3)
	v_add_f64_e32 v[54:55], v[58:59], v[54:55]
	v_add_f64_e32 v[58:59], v[52:53], v[50:51]
	;; [unrolled: 1-line block ×3, first 2 shown]
	v_add_f64_e64 v[62:63], v[64:65], -v[56:57]
	s_delay_alu instid0(VALU_DEP_4) | instskip(NEXT) | instid1(VALU_DEP_4)
	v_add_f64_e32 v[54:55], v[64:65], v[54:55]
	v_add_f64_e64 v[66:67], v[58:59], -v[52:53]
	s_delay_alu instid0(VALU_DEP_4) | instskip(NEXT) | instid1(VALU_DEP_4)
	v_add_f64_e32 v[60:61], v[58:59], v[60:61]
	v_add_f64_e64 v[64:65], v[64:65], -v[62:63]
	v_add_f64_e64 v[48:49], v[48:49], -v[62:63]
	v_add_f64_e32 v[68:69], v[72:73], v[54:55]
	v_add_f64_e64 v[58:59], v[58:59], -v[66:67]
	v_add_f64_e64 v[50:51], v[50:51], -v[66:67]
	;; [unrolled: 3-line block ×3, first 2 shown]
	v_add_f64_e64 v[52:53], v[52:53], -v[58:59]
	s_delay_alu instid0(VALU_DEP_4) | instskip(NEXT) | instid1(VALU_DEP_4)
	v_add_f64_e64 v[58:59], v[70:71], -v[74:75]
	v_add_f64_e32 v[48:49], v[48:49], v[56:57]
	s_delay_alu instid0(VALU_DEP_4) | instskip(NEXT) | instid1(VALU_DEP_4)
	v_add_f64_e64 v[54:55], v[54:55], -v[62:63]
	v_add_f64_e32 v[50:51], v[50:51], v[52:53]
	s_delay_alu instid0(VALU_DEP_4) | instskip(NEXT) | instid1(VALU_DEP_3)
	v_add_f64_e64 v[52:53], v[60:61], -v[58:59]
	v_add_f64_e32 v[48:49], v[48:49], v[54:55]
	s_delay_alu instid0(VALU_DEP_2) | instskip(NEXT) | instid1(VALU_DEP_2)
	v_add_f64_e32 v[50:51], v[50:51], v[52:53]
	v_add_f64_e32 v[48:49], v[68:69], v[48:49]
	s_delay_alu instid0(VALU_DEP_2) | instskip(SKIP_1) | instid1(VALU_DEP_2)
	v_add_f64_e32 v[40:41], v[70:71], v[50:51]
	s_wait_alu 0xfffd
	v_cndmask_b32_e32 v47, 0x7ff00000, v49, vcc_lo
	s_delay_alu instid0(VALU_DEP_3) | instskip(NEXT) | instid1(VALU_DEP_1)
	v_cndmask_b32_e32 v46, 0, v48, vcc_lo
	v_fma_f64 v[48:49], v[46:47], s[72:73], s[64:65]
	s_wait_alu 0xf1ff
	s_delay_alu instid0(VALU_DEP_4) | instskip(SKIP_2) | instid1(VALU_DEP_2)
	v_cndmask_b32_e64 v41, 0x7ff00000, v41, s0
	v_cndmask_b32_e64 v40, 0, v40, s0
	v_fma_f64 v[50:51], v[46:47], s[76:77], 0x3fe80000
	v_add_f64_e64 v[40:41], v[40:41], -v[48:49]
	s_delay_alu instid0(VALU_DEP_1) | instskip(NEXT) | instid1(VALU_DEP_1)
	v_fma_f64 v[48:49], v[40:41], s[78:79], v[50:51]
	v_div_scale_f64 v[50:51], null, v[48:49], v[48:49], 1.0
	v_div_scale_f64 v[56:57], vcc_lo, 1.0, v[48:49], 1.0
	s_delay_alu instid0(VALU_DEP_2) | instskip(NEXT) | instid1(TRANS32_DEP_1)
	v_rcp_f64_e32 v[52:53], v[50:51]
	v_fma_f64 v[54:55], -v[50:51], v[52:53], 1.0
	s_delay_alu instid0(VALU_DEP_1) | instskip(NEXT) | instid1(VALU_DEP_1)
	v_fma_f64 v[52:53], v[52:53], v[54:55], v[52:53]
	v_fma_f64 v[54:55], -v[50:51], v[52:53], 1.0
	s_delay_alu instid0(VALU_DEP_1) | instskip(NEXT) | instid1(VALU_DEP_1)
	v_fma_f64 v[52:53], v[52:53], v[54:55], v[52:53]
	v_mul_f64_e32 v[54:55], v[56:57], v[52:53]
	s_delay_alu instid0(VALU_DEP_1) | instskip(SKIP_1) | instid1(VALU_DEP_1)
	v_fma_f64 v[50:51], -v[50:51], v[54:55], v[56:57]
	s_wait_alu 0xfffd
	v_div_fmas_f64 v[50:51], v[50:51], v[52:53], v[54:55]
	s_delay_alu instid0(VALU_DEP_1) | instskip(NEXT) | instid1(VALU_DEP_1)
	v_div_fixup_f64 v[48:49], v[50:51], v[48:49], 1.0
	v_mul_f64_e32 v[40:41], v[40:41], v[48:49]
	s_delay_alu instid0(VALU_DEP_1) | instskip(NEXT) | instid1(VALU_DEP_1)
	v_fma_f64 v[40:41], v[40:41], v[40:41], 1.0
	v_div_scale_f64 v[48:49], null, v[40:41], v[40:41], 1.0
	v_div_scale_f64 v[54:55], vcc_lo, 1.0, v[40:41], 1.0
	s_delay_alu instid0(VALU_DEP_2) | instskip(NEXT) | instid1(TRANS32_DEP_1)
	v_rcp_f64_e32 v[50:51], v[48:49]
	v_fma_f64 v[52:53], -v[48:49], v[50:51], 1.0
	s_delay_alu instid0(VALU_DEP_1) | instskip(NEXT) | instid1(VALU_DEP_1)
	v_fma_f64 v[50:51], v[50:51], v[52:53], v[50:51]
	v_fma_f64 v[52:53], -v[48:49], v[50:51], 1.0
	s_delay_alu instid0(VALU_DEP_1) | instskip(NEXT) | instid1(VALU_DEP_1)
	v_fma_f64 v[50:51], v[50:51], v[52:53], v[50:51]
	v_mul_f64_e32 v[52:53], v[54:55], v[50:51]
	s_delay_alu instid0(VALU_DEP_1) | instskip(SKIP_1) | instid1(VALU_DEP_1)
	v_fma_f64 v[48:49], -v[48:49], v[52:53], v[54:55]
	s_wait_alu 0xfffd
	v_div_fmas_f64 v[48:49], v[48:49], v[50:51], v[52:53]
	s_delay_alu instid0(VALU_DEP_1) | instskip(NEXT) | instid1(VALU_DEP_1)
	v_div_fixup_f64 v[40:41], v[48:49], v[40:41], 1.0
	v_mul_f64_e32 v[40:41], v[46:47], v[40:41]
	s_delay_alu instid0(VALU_DEP_1) | instskip(SKIP_2) | instid1(VALU_DEP_3)
	v_mul_f64_e32 v[46:47], s[62:63], v[40:41]
	v_cmp_nlt_f64_e32 vcc_lo, 0x40900000, v[40:41]
	v_cmp_ngt_f64_e64 s0, 0xc090cc00, v[40:41]
	v_rndne_f64_e32 v[46:47], v[46:47]
	s_delay_alu instid0(VALU_DEP_1) | instskip(SKIP_1) | instid1(VALU_DEP_2)
	v_fma_f64 v[48:49], v[46:47], s[68:69], v[40:41]
	v_cvt_i32_f64_e32 v52, v[46:47]
	v_fma_f64 v[48:49], v[46:47], s[66:67], v[48:49]
	s_delay_alu instid0(VALU_DEP_1) | instskip(NEXT) | instid1(VALU_DEP_1)
	v_mul_f64_e32 v[50:51], s[70:71], v[48:49]
	v_fma_f64 v[48:49], v[48:49], s[74:75], v[50:51]
	s_delay_alu instid0(VALU_DEP_1) | instskip(NEXT) | instid1(VALU_DEP_1)
	v_fma_f64 v[50:51], v[48:49], s[6:7], s[4:5]
	v_fma_f64 v[50:51], v[48:49], v[50:51], s[14:15]
	s_delay_alu instid0(VALU_DEP_1) | instskip(NEXT) | instid1(VALU_DEP_1)
	v_fma_f64 v[50:51], v[48:49], v[50:51], s[18:19]
	;; [unrolled: 3-line block ×5, first 2 shown]
	v_fma_f64 v[50:51], v[48:49], v[50:51], 1.0
	s_delay_alu instid0(VALU_DEP_1) | instskip(NEXT) | instid1(VALU_DEP_1)
	v_fma_f64 v[46:47], v[48:49], v[50:51], 1.0
	v_ldexp_f64 v[46:47], v[46:47], v52
	s_wait_alu 0xfffd
	s_delay_alu instid0(VALU_DEP_1) | instskip(SKIP_1) | instid1(VALU_DEP_1)
	v_cndmask_b32_e32 v32, 0x7ff00000, v47, vcc_lo
	s_and_b32 vcc_lo, s0, vcc_lo
	v_cndmask_b32_e64 v33, 0, v32, s0
	s_wait_alu 0xfffe
	s_delay_alu instid0(VALU_DEP_3)
	v_cndmask_b32_e32 v32, 0, v46, vcc_lo
	s_mov_b32 s0, 0x8725af6e
	s_mov_b32 s1, 0xbf74cab8
	s_wait_alu 0xfffe
	v_mul_f64_e32 v[40:41], s[0:1], v[8:9]
	v_mul_f64_e32 v[22:23], v[22:23], v[32:33]
	s_mov_b32 s0, 0xe6bb82fe
	s_mov_b32 s1, 0xbf454725
	s_wait_alu 0xfffe
	v_mul_f64_e32 v[46:47], s[0:1], v[8:9]
	s_mov_b32 s0, 0xb020c49c
	s_mov_b32 s1, 0x3fb16872
	s_delay_alu instid0(VALU_DEP_3) | instskip(NEXT) | instid1(VALU_DEP_3)
	v_mul_f64_e32 v[50:51], s[34:35], v[40:41]
	v_mul_f64_e32 v[48:49], v[24:25], v[22:23]
	v_lshlrev_b64_e32 v[24:25], 3, v[34:35]
	s_delay_alu instid0(VALU_DEP_4) | instskip(NEXT) | instid1(VALU_DEP_2)
	v_mul_f64_e32 v[52:53], s[34:35], v[46:47]
	v_add_co_u32 v32, vcc_lo, s8, v24
	s_wait_alu 0xfffd
	s_delay_alu instid0(VALU_DEP_3)
	v_add_co_ci_u32_e64 v33, null, s9, v25, vcc_lo
	v_add_co_u32 v26, vcc_lo, s12, v26
	s_wait_alu 0xfffd
	v_add_co_ci_u32_e64 v27, null, s13, v27, vcc_lo
	global_load_b64 v[26:27], v[26:27], off
	global_store_b64 v[28:29], v[48:49], off
	global_load_b64 v[28:29], v[32:33], off
	v_rndne_f64_e32 v[48:49], v[50:51]
	v_mul_f64_e32 v[50:51], 0xc0c41e00, v[18:19]
	v_rndne_f64_e32 v[52:53], v[52:53]
	s_delay_alu instid0(VALU_DEP_3) | instskip(NEXT) | instid1(VALU_DEP_3)
	v_fma_f64 v[54:55], v[48:49], s[36:37], v[40:41]
	v_mul_f64_e32 v[56:57], s[34:35], v[50:51]
	s_delay_alu instid0(VALU_DEP_3)
	v_fma_f64 v[58:59], v[52:53], s[36:37], v[46:47]
	v_cvt_i32_f64_e32 v0, v[48:49]
	v_cvt_i32_f64_e32 v35, v[52:53]
	v_fma_f64 v[54:55], v[48:49], s[38:39], v[54:55]
	v_rndne_f64_e32 v[56:57], v[56:57]
	v_fma_f64 v[58:59], v[52:53], s[38:39], v[58:59]
	s_delay_alu instid0(VALU_DEP_3) | instskip(NEXT) | instid1(VALU_DEP_3)
	v_fma_f64 v[60:61], v[54:55], s[6:7], s[4:5]
	v_fma_f64 v[62:63], v[56:57], s[36:37], v[50:51]
	s_delay_alu instid0(VALU_DEP_3) | instskip(NEXT) | instid1(VALU_DEP_3)
	v_fma_f64 v[64:65], v[58:59], s[6:7], s[4:5]
	;; [unrolled: 3-line block ×9, first 2 shown]
	v_fma_f64 v[64:65], v[58:59], v[64:65], s[28:29]
	s_wait_loadcnt 0x0
	v_div_scale_f64 v[68:69], null, v[28:29], v[28:29], 1.0
	s_delay_alu instid0(VALU_DEP_4) | instskip(NEXT) | instid1(VALU_DEP_4)
	v_fma_f64 v[60:61], v[54:55], v[60:61], s[16:17]
	v_fma_f64 v[66:67], v[62:63], v[66:67], s[26:27]
	s_delay_alu instid0(VALU_DEP_4) | instskip(NEXT) | instid1(VALU_DEP_4)
	v_fma_f64 v[64:65], v[58:59], v[64:65], s[16:17]
	v_rcp_f64_e32 v[70:71], v[68:69]
	s_delay_alu instid0(VALU_DEP_3) | instskip(NEXT) | instid1(VALU_DEP_3)
	v_fma_f64 v[60:61], v[54:55], v[60:61], s[20:21]
	v_fma_f64 v[66:67], v[62:63], v[66:67], s[28:29]
	s_delay_alu instid0(VALU_DEP_3) | instskip(NEXT) | instid1(TRANS32_DEP_1)
	v_fma_f64 v[64:65], v[58:59], v[64:65], s[20:21]
	v_fma_f64 v[72:73], -v[68:69], v[70:71], 1.0
	s_delay_alu instid0(VALU_DEP_4) | instskip(NEXT) | instid1(VALU_DEP_4)
	v_fma_f64 v[60:61], v[54:55], v[60:61], s[24:25]
	v_fma_f64 v[66:67], v[62:63], v[66:67], s[16:17]
	s_delay_alu instid0(VALU_DEP_4) | instskip(NEXT) | instid1(VALU_DEP_4)
	v_fma_f64 v[64:65], v[58:59], v[64:65], s[24:25]
	v_fma_f64 v[70:71], v[70:71], v[72:73], v[70:71]
	s_delay_alu instid0(VALU_DEP_4) | instskip(NEXT) | instid1(VALU_DEP_4)
	v_fma_f64 v[60:61], v[54:55], v[60:61], 1.0
	v_fma_f64 v[66:67], v[62:63], v[66:67], s[20:21]
	s_delay_alu instid0(VALU_DEP_4) | instskip(NEXT) | instid1(VALU_DEP_4)
	v_fma_f64 v[64:65], v[58:59], v[64:65], 1.0
	v_fma_f64 v[72:73], -v[68:69], v[70:71], 1.0
	s_delay_alu instid0(VALU_DEP_4) | instskip(NEXT) | instid1(VALU_DEP_4)
	v_fma_f64 v[48:49], v[54:55], v[60:61], 1.0
	v_fma_f64 v[54:55], v[62:63], v[66:67], s[24:25]
	s_delay_alu instid0(VALU_DEP_4)
	v_fma_f64 v[52:53], v[58:59], v[64:65], 1.0
	v_div_scale_f64 v[58:59], vcc_lo, 1.0, v[28:29], 1.0
	v_fma_f64 v[60:61], v[70:71], v[72:73], v[70:71]
	v_ldexp_f64 v[48:49], v[48:49], v0
	v_fma_f64 v[54:55], v[62:63], v[54:55], 1.0
	v_ldexp_f64 v[52:53], v[52:53], v35
	v_cvt_i32_f64_e32 v0, v[56:57]
	v_mul_f64_e32 v[64:65], v[58:59], v[60:61]
	s_wait_alu 0xfffe
	v_mul_f64_e32 v[48:49], s[0:1], v[48:49]
	v_cmp_nlt_f64_e64 s0, 0x40900000, v[40:41]
	v_cmp_ngt_f64_e64 s1, 0xc090cc00, v[40:41]
	v_fma_f64 v[54:55], v[62:63], v[54:55], 1.0
	v_mul_f64_e32 v[52:53], s[2:3], v[52:53]
	v_cmp_nlt_f64_e64 s2, 0x40900000, v[46:47]
	v_cmp_ngt_f64_e64 s3, 0xc090cc00, v[46:47]
	v_fma_f64 v[56:57], -v[68:69], v[64:65], v[58:59]
	s_wait_alu 0xf1ff
	v_cndmask_b32_e64 v35, 0x7ff00000, v49, s0
	v_ldexp_f64 v[40:41], v[54:55], v0
	v_cndmask_b32_e64 v0, 0x7ff00000, v53, s2
	s_delay_alu instid0(VALU_DEP_3) | instskip(NEXT) | instid1(VALU_DEP_2)
	v_cndmask_b32_e64 v49, 0, v35, s1
	v_cndmask_b32_e64 v53, 0, v0, s3
	s_wait_alu 0xfffd
	v_div_fmas_f64 v[46:47], v[56:57], v[60:61], v[64:65]
	s_and_b32 vcc_lo, s1, s0
	v_cmp_ngt_f64_e64 s0, 0xc090cc00, v[50:51]
	s_wait_alu 0xfffe
	v_cndmask_b32_e32 v48, 0, v48, vcc_lo
	v_cmp_nlt_f64_e32 vcc_lo, 0x40900000, v[50:51]
	s_and_b32 s1, s3, s2
	s_mov_b32 s2, 0x6809d495
	s_wait_alu 0xfffe
	v_cndmask_b32_e64 v52, 0, v52, s1
	s_mov_b32 s3, 0x3fe26c22
	s_delay_alu instid0(VALU_DEP_1)
	v_add_f64_e32 v[48:49], v[48:49], v[52:53]
	v_div_fixup_f64 v[46:47], v[46:47], v[28:29], 1.0
	s_wait_alu 0xfffd
	v_cndmask_b32_e32 v0, 0x7ff00000, v41, vcc_lo
	s_and_b32 vcc_lo, s0, vcc_lo
	s_wait_alu 0xfffe
	v_cndmask_b32_e32 v40, 0, v40, vcc_lo
	s_delay_alu instid0(VALU_DEP_2) | instskip(NEXT) | instid1(VALU_DEP_1)
	v_cndmask_b32_e64 v41, 0, v0, s0
	v_add_f64_e32 v[40:41], v[40:41], v[48:49]
	v_mul_f64_e32 v[46:47], v[6:7], v[46:47]
	s_delay_alu instid0(VALU_DEP_2) | instskip(NEXT) | instid1(VALU_DEP_2)
	v_max_num_f64_e32 v[40:41], 0x38100000, v[40:41]
	v_mul_f64_e32 v[48:49], v[26:27], v[46:47]
	v_fma_f64 v[26:27], v[26:27], v[46:47], 1.0
	s_delay_alu instid0(VALU_DEP_3) | instskip(NEXT) | instid1(VALU_DEP_3)
	v_frexp_mant_f64_e32 v[50:51], v[40:41]
	v_max_num_f64_e32 v[52:53], 0x38100000, v[48:49]
	s_delay_alu instid0(VALU_DEP_2) | instskip(NEXT) | instid1(VALU_DEP_2)
	v_cmp_gt_f64_e32 vcc_lo, s[46:47], v[50:51]
	v_frexp_mant_f64_e32 v[54:55], v[52:53]
	v_frexp_exp_i32_f64_e32 v35, v[52:53]
	s_wait_alu 0xfffd
	v_cndmask_b32_e64 v0, 0, 1, vcc_lo
	s_delay_alu instid0(VALU_DEP_1) | instskip(NEXT) | instid1(VALU_DEP_4)
	v_ldexp_f64 v[50:51], v[50:51], v0
	v_cmp_gt_f64_e64 s0, s[46:47], v[54:55]
	s_delay_alu instid0(VALU_DEP_2) | instskip(SKIP_1) | instid1(VALU_DEP_2)
	v_add_f64_e32 v[56:57], 1.0, v[50:51]
	s_wait_alu 0xf1ff
	v_cndmask_b32_e64 v0, 0, 1, s0
	s_delay_alu instid0(VALU_DEP_1) | instskip(SKIP_1) | instid1(VALU_DEP_4)
	v_ldexp_f64 v[54:55], v[54:55], v0
	v_frexp_exp_i32_f64_e32 v0, v[40:41]
	v_rcp_f64_e32 v[58:59], v[56:57]
	s_delay_alu instid0(VALU_DEP_2) | instskip(SKIP_1) | instid1(VALU_DEP_3)
	v_add_f64_e32 v[60:61], 1.0, v[54:55]
	v_add_f64_e32 v[70:71], -1.0, v[54:55]
	v_subrev_co_ci_u32_e64 v0, null, 0, v0, vcc_lo
	v_cmp_neq_f64_e32 vcc_lo, 0x7ff00000, v[40:41]
	s_delay_alu instid0(TRANS32_DEP_1) | instskip(SKIP_1) | instid1(VALU_DEP_1)
	v_fma_f64 v[62:63], -v[56:57], v[58:59], 1.0
	v_rcp_f64_e32 v[64:65], v[60:61]
	v_fma_f64 v[58:59], v[62:63], v[58:59], v[58:59]
	s_delay_alu instid0(TRANS32_DEP_1) | instskip(NEXT) | instid1(VALU_DEP_2)
	v_fma_f64 v[62:63], -v[60:61], v[64:65], 1.0
	v_fma_f64 v[66:67], -v[56:57], v[58:59], 1.0
	s_delay_alu instid0(VALU_DEP_2) | instskip(SKIP_1) | instid1(VALU_DEP_3)
	v_fma_f64 v[62:63], v[62:63], v[64:65], v[64:65]
	v_add_f64_e32 v[64:65], -1.0, v[50:51]
	v_fma_f64 v[58:59], v[66:67], v[58:59], v[58:59]
	s_delay_alu instid0(VALU_DEP_3) | instskip(NEXT) | instid1(VALU_DEP_2)
	v_fma_f64 v[66:67], -v[60:61], v[62:63], 1.0
	v_mul_f64_e32 v[68:69], v[64:65], v[58:59]
	s_delay_alu instid0(VALU_DEP_2) | instskip(SKIP_1) | instid1(VALU_DEP_3)
	v_fma_f64 v[62:63], v[66:67], v[62:63], v[62:63]
	v_add_f64_e32 v[66:67], -1.0, v[56:57]
	v_mul_f64_e32 v[72:73], v[56:57], v[68:69]
	s_delay_alu instid0(VALU_DEP_3) | instskip(NEXT) | instid1(VALU_DEP_3)
	v_mul_f64_e32 v[74:75], v[70:71], v[62:63]
	v_add_f64_e64 v[50:51], v[50:51], -v[66:67]
	v_add_f64_e32 v[66:67], -1.0, v[60:61]
	s_delay_alu instid0(VALU_DEP_4) | instskip(NEXT) | instid1(VALU_DEP_4)
	v_fma_f64 v[56:57], v[68:69], v[56:57], -v[72:73]
	v_mul_f64_e32 v[76:77], v[60:61], v[74:75]
	s_delay_alu instid0(VALU_DEP_3) | instskip(NEXT) | instid1(VALU_DEP_3)
	v_add_f64_e64 v[54:55], v[54:55], -v[66:67]
	v_fma_f64 v[50:51], v[68:69], v[50:51], v[56:57]
	s_delay_alu instid0(VALU_DEP_3) | instskip(NEXT) | instid1(VALU_DEP_2)
	v_fma_f64 v[56:57], v[74:75], v[60:61], -v[76:77]
	v_add_f64_e32 v[60:61], v[72:73], v[50:51]
	s_delay_alu instid0(VALU_DEP_2) | instskip(NEXT) | instid1(VALU_DEP_2)
	v_fma_f64 v[54:55], v[74:75], v[54:55], v[56:57]
	v_add_f64_e64 v[56:57], v[64:65], -v[60:61]
	v_add_f64_e64 v[72:73], v[60:61], -v[72:73]
	s_delay_alu instid0(VALU_DEP_3) | instskip(NEXT) | instid1(VALU_DEP_3)
	v_add_f64_e32 v[66:67], v[76:77], v[54:55]
	v_add_f64_e64 v[64:65], v[64:65], -v[56:57]
	s_delay_alu instid0(VALU_DEP_3) | instskip(NEXT) | instid1(VALU_DEP_3)
	v_add_f64_e64 v[50:51], v[72:73], -v[50:51]
	v_add_f64_e64 v[78:79], v[70:71], -v[66:67]
	s_delay_alu instid0(VALU_DEP_3) | instskip(SKIP_1) | instid1(VALU_DEP_3)
	v_add_f64_e64 v[60:61], v[64:65], -v[60:61]
	v_add_f64_e64 v[64:65], v[66:67], -v[76:77]
	;; [unrolled: 1-line block ×3, first 2 shown]
	s_delay_alu instid0(VALU_DEP_3) | instskip(NEXT) | instid1(VALU_DEP_3)
	v_add_f64_e32 v[50:51], v[50:51], v[60:61]
	v_add_f64_e64 v[54:55], v[64:65], -v[54:55]
	s_delay_alu instid0(VALU_DEP_3) | instskip(NEXT) | instid1(VALU_DEP_3)
	v_add_f64_e64 v[60:61], v[70:71], -v[66:67]
	v_add_f64_e32 v[50:51], v[56:57], v[50:51]
	s_delay_alu instid0(VALU_DEP_2) | instskip(NEXT) | instid1(VALU_DEP_2)
	v_add_f64_e32 v[54:55], v[54:55], v[60:61]
	v_mul_f64_e32 v[50:51], v[58:59], v[50:51]
	s_delay_alu instid0(VALU_DEP_2) | instskip(NEXT) | instid1(VALU_DEP_2)
	v_add_f64_e32 v[54:55], v[78:79], v[54:55]
	v_add_f64_e32 v[56:57], v[68:69], v[50:51]
	s_delay_alu instid0(VALU_DEP_2) | instskip(NEXT) | instid1(VALU_DEP_2)
	v_mul_f64_e32 v[54:55], v[62:63], v[54:55]
	v_mul_f64_e32 v[58:59], v[56:57], v[56:57]
	s_delay_alu instid0(VALU_DEP_2) | instskip(NEXT) | instid1(VALU_DEP_2)
	v_add_f64_e32 v[60:61], v[74:75], v[54:55]
	v_fma_f64 v[62:63], v[58:59], s[42:43], s[40:41]
	v_mul_f64_e32 v[70:71], v[56:57], v[58:59]
	s_delay_alu instid0(VALU_DEP_3) | instskip(NEXT) | instid1(VALU_DEP_3)
	v_mul_f64_e32 v[64:65], v[60:61], v[60:61]
	v_fma_f64 v[62:63], v[58:59], v[62:63], s[44:45]
	s_delay_alu instid0(VALU_DEP_2) | instskip(NEXT) | instid1(VALU_DEP_2)
	v_fma_f64 v[66:67], v[64:65], s[42:43], s[40:41]
	v_fma_f64 v[62:63], v[58:59], v[62:63], s[50:51]
	s_delay_alu instid0(VALU_DEP_2) | instskip(NEXT) | instid1(VALU_DEP_2)
	v_fma_f64 v[66:67], v[64:65], v[66:67], s[44:45]
	;; [unrolled: 3-line block ×4, first 2 shown]
	v_fma_f64 v[58:59], v[58:59], v[62:63], s[56:57]
	s_delay_alu instid0(VALU_DEP_2)
	v_fma_f64 v[62:63], v[64:65], v[66:67], s[52:53]
	v_ldexp_f64 v[66:67], v[56:57], 1
	v_add_f64_e64 v[56:57], v[56:57], -v[68:69]
	v_ldexp_f64 v[68:69], v[60:61], 1
	v_mul_f64_e32 v[58:59], v[70:71], v[58:59]
	v_mul_f64_e32 v[70:71], v[60:61], v[64:65]
	v_add_f64_e64 v[60:61], v[60:61], -v[74:75]
	v_fma_f64 v[62:63], v[64:65], v[62:63], s[56:57]
	v_add_f64_e64 v[50:51], v[50:51], -v[56:57]
	v_add_f64_e32 v[64:65], v[66:67], v[58:59]
	s_delay_alu instid0(VALU_DEP_4) | instskip(NEXT) | instid1(VALU_DEP_4)
	v_add_f64_e64 v[54:55], v[54:55], -v[60:61]
	v_mul_f64_e32 v[62:63], v[70:71], v[62:63]
	s_delay_alu instid0(VALU_DEP_4) | instskip(NEXT) | instid1(VALU_DEP_4)
	v_ldexp_f64 v[50:51], v[50:51], 1
	v_add_f64_e64 v[56:57], v[64:65], -v[66:67]
	s_delay_alu instid0(VALU_DEP_4) | instskip(NEXT) | instid1(VALU_DEP_4)
	v_ldexp_f64 v[54:55], v[54:55], 1
	v_add_f64_e32 v[66:67], v[68:69], v[62:63]
	s_delay_alu instid0(VALU_DEP_3) | instskip(NEXT) | instid1(VALU_DEP_2)
	v_add_f64_e64 v[56:57], v[58:59], -v[56:57]
	v_add_f64_e64 v[58:59], v[66:67], -v[68:69]
	s_delay_alu instid0(VALU_DEP_2) | instskip(NEXT) | instid1(VALU_DEP_2)
	v_add_f64_e32 v[50:51], v[50:51], v[56:57]
	v_add_f64_e64 v[56:57], v[62:63], -v[58:59]
	s_delay_alu instid0(VALU_DEP_2) | instskip(NEXT) | instid1(VALU_DEP_2)
	v_add_f64_e32 v[58:59], v[64:65], v[50:51]
	v_add_f64_e32 v[54:55], v[54:55], v[56:57]
	v_cvt_f64_i32_e32 v[56:57], v0
	v_subrev_co_ci_u32_e64 v0, null, 0, v35, s0
	s_delay_alu instid0(VALU_DEP_1) | instskip(SKIP_4) | instid1(VALU_DEP_4)
	v_cvt_f64_i32_e32 v[70:71], v0
	v_add_f64_e64 v[60:61], v[58:59], -v[64:65]
	v_mul_f64_e32 v[62:63], s[30:31], v[58:59]
	v_add_f64_e32 v[64:65], v[66:67], v[54:55]
	v_mul_f64_e32 v[68:69], s[48:49], v[56:57]
	v_add_f64_e64 v[50:51], v[50:51], -v[60:61]
	s_delay_alu instid0(VALU_DEP_4) | instskip(NEXT) | instid1(VALU_DEP_4)
	v_fma_f64 v[60:61], v[58:59], s[30:31], -v[62:63]
	v_add_f64_e64 v[66:67], v[64:65], -v[66:67]
	v_mul_f64_e32 v[72:73], s[30:31], v[64:65]
	v_fma_f64 v[74:75], v[56:57], s[48:49], -v[68:69]
	s_delay_alu instid0(VALU_DEP_4)
	v_fma_f64 v[50:51], v[50:51], s[30:31], v[60:61]
	v_mul_f64_e32 v[60:61], s[48:49], v[70:71]
	v_add_f64_e64 v[54:55], v[54:55], -v[66:67]
	v_fma_f64 v[66:67], v[64:65], s[30:31], -v[72:73]
	v_fma_f64 v[56:57], v[56:57], s[58:59], v[74:75]
	v_fma_f64 v[50:51], v[58:59], s[60:61], v[50:51]
	v_fma_f64 v[58:59], v[70:71], s[48:49], -v[60:61]
	s_delay_alu instid0(VALU_DEP_4) | instskip(NEXT) | instid1(VALU_DEP_4)
	v_fma_f64 v[54:55], v[54:55], s[30:31], v[66:67]
	v_add_f64_e32 v[66:67], v[68:69], v[56:57]
	s_delay_alu instid0(VALU_DEP_4) | instskip(NEXT) | instid1(VALU_DEP_4)
	v_add_f64_e32 v[74:75], v[62:63], v[50:51]
	v_fma_f64 v[58:59], v[70:71], s[58:59], v[58:59]
	s_delay_alu instid0(VALU_DEP_4) | instskip(NEXT) | instid1(VALU_DEP_4)
	v_fma_f64 v[54:55], v[64:65], s[60:61], v[54:55]
	v_add_f64_e64 v[68:69], v[66:67], -v[68:69]
	s_delay_alu instid0(VALU_DEP_4) | instskip(NEXT) | instid1(VALU_DEP_4)
	v_add_f64_e32 v[64:65], v[66:67], v[74:75]
	v_add_f64_e32 v[70:71], v[60:61], v[58:59]
	v_add_f64_e64 v[62:63], v[74:75], -v[62:63]
	v_add_f64_e32 v[76:77], v[72:73], v[54:55]
	v_add_f64_e64 v[56:57], v[56:57], -v[68:69]
	v_add_f64_e64 v[78:79], v[64:65], -v[66:67]
	v_add_f64_e64 v[60:61], v[70:71], -v[60:61]
	v_add_f64_e64 v[50:51], v[50:51], -v[62:63]
	v_add_f64_e32 v[80:81], v[70:71], v[76:77]
	v_add_f64_e64 v[68:69], v[76:77], -v[72:73]
	v_add_f64_e64 v[82:83], v[64:65], -v[78:79]
	;; [unrolled: 1-line block ×3, first 2 shown]
	v_add_f64_e32 v[74:75], v[56:57], v[50:51]
	v_add_f64_e64 v[58:59], v[58:59], -v[60:61]
	v_add_f64_e64 v[84:85], v[80:81], -v[70:71]
	;; [unrolled: 1-line block ×5, first 2 shown]
	s_delay_alu instid0(VALU_DEP_4) | instskip(SKIP_1) | instid1(VALU_DEP_4)
	v_add_f64_e64 v[72:73], v[80:81], -v[84:85]
	v_add_f64_e64 v[60:61], v[76:77], -v[84:85]
	v_add_f64_e32 v[62:63], v[62:63], v[66:67]
	s_delay_alu instid0(VALU_DEP_4) | instskip(NEXT) | instid1(VALU_DEP_4)
	v_add_f64_e64 v[50:51], v[50:51], -v[68:69]
	v_add_f64_e64 v[66:67], v[70:71], -v[72:73]
	v_add_f64_e32 v[70:71], v[58:59], v[54:55]
	s_delay_alu instid0(VALU_DEP_4) | instskip(NEXT) | instid1(VALU_DEP_3)
	v_add_f64_e32 v[62:63], v[74:75], v[62:63]
	v_add_f64_e32 v[60:61], v[60:61], v[66:67]
	v_add_f64_e64 v[66:67], v[74:75], -v[68:69]
	s_delay_alu instid0(VALU_DEP_4) | instskip(NEXT) | instid1(VALU_DEP_4)
	v_add_f64_e64 v[74:75], v[70:71], -v[58:59]
	v_add_f64_e32 v[72:73], v[64:65], v[62:63]
	s_delay_alu instid0(VALU_DEP_4) | instskip(NEXT) | instid1(VALU_DEP_4)
	v_add_f64_e32 v[60:61], v[70:71], v[60:61]
	v_add_f64_e64 v[56:57], v[56:57], -v[66:67]
	s_delay_alu instid0(VALU_DEP_4)
	v_add_f64_e64 v[66:67], v[70:71], -v[74:75]
	v_add_f64_e64 v[54:55], v[54:55], -v[74:75]
	;; [unrolled: 1-line block ×3, first 2 shown]
	v_add_f64_e32 v[68:69], v[80:81], v[60:61]
	v_add_f64_e32 v[50:51], v[50:51], v[56:57]
	v_add_f64_e64 v[58:59], v[58:59], -v[66:67]
	s_delay_alu instid0(VALU_DEP_4) | instskip(NEXT) | instid1(VALU_DEP_4)
	v_add_f64_e64 v[56:57], v[62:63], -v[64:65]
	v_add_f64_e64 v[62:63], v[68:69], -v[80:81]
	s_delay_alu instid0(VALU_DEP_3) | instskip(NEXT) | instid1(VALU_DEP_3)
	v_add_f64_e32 v[54:55], v[54:55], v[58:59]
	v_add_f64_e32 v[50:51], v[50:51], v[56:57]
	s_delay_alu instid0(VALU_DEP_3) | instskip(NEXT) | instid1(VALU_DEP_2)
	v_add_f64_e64 v[56:57], v[60:61], -v[62:63]
	v_add_f64_e32 v[50:51], v[72:73], v[50:51]
	s_delay_alu instid0(VALU_DEP_2) | instskip(SKIP_1) | instid1(VALU_DEP_2)
	v_add_f64_e32 v[40:41], v[54:55], v[56:57]
	s_wait_alu 0xfffd
	v_cndmask_b32_e32 v51, 0x7ff00000, v51, vcc_lo
	s_delay_alu instid0(VALU_DEP_3) | instskip(SKIP_1) | instid1(VALU_DEP_2)
	v_cndmask_b32_e32 v50, 0, v50, vcc_lo
	v_cmp_neq_f64_e32 vcc_lo, 0x7ff00000, v[52:53]
	v_fma_f64 v[52:53], v[50:51], s[72:73], s[64:65]
	v_fma_f64 v[54:55], v[50:51], s[76:77], 0x3fe80000
	v_add_f64_e32 v[40:41], v[68:69], v[40:41]
	s_wait_alu 0xfffd
	s_delay_alu instid0(VALU_DEP_1) | instskip(NEXT) | instid1(VALU_DEP_2)
	v_cndmask_b32_e32 v41, 0x7ff00000, v41, vcc_lo
	v_cndmask_b32_e32 v40, 0, v40, vcc_lo
	v_div_scale_f64 v[64:65], vcc_lo, 1.0, v[26:27], 1.0
	s_delay_alu instid0(VALU_DEP_2) | instskip(SKIP_1) | instid1(VALU_DEP_2)
	v_add_f64_e64 v[40:41], v[40:41], -v[52:53]
	v_div_scale_f64 v[52:53], null, v[26:27], v[26:27], 1.0
	v_fma_f64 v[46:47], v[40:41], s[78:79], v[54:55]
	s_delay_alu instid0(VALU_DEP_2) | instskip(NEXT) | instid1(VALU_DEP_1)
	v_rcp_f64_e32 v[56:57], v[52:53]
	v_div_scale_f64 v[54:55], null, v[46:47], v[46:47], 1.0
	s_delay_alu instid0(TRANS32_DEP_1) | instskip(NEXT) | instid1(VALU_DEP_2)
	v_fma_f64 v[60:61], -v[52:53], v[56:57], 1.0
	v_rcp_f64_e32 v[58:59], v[54:55]
	s_delay_alu instid0(VALU_DEP_1) | instskip(NEXT) | instid1(TRANS32_DEP_1)
	v_fma_f64 v[56:57], v[56:57], v[60:61], v[56:57]
	v_fma_f64 v[62:63], -v[54:55], v[58:59], 1.0
	s_delay_alu instid0(VALU_DEP_2) | instskip(NEXT) | instid1(VALU_DEP_2)
	v_fma_f64 v[60:61], -v[52:53], v[56:57], 1.0
	v_fma_f64 v[58:59], v[58:59], v[62:63], v[58:59]
	s_delay_alu instid0(VALU_DEP_2) | instskip(SKIP_1) | instid1(VALU_DEP_3)
	v_fma_f64 v[56:57], v[56:57], v[60:61], v[56:57]
	v_div_scale_f64 v[60:61], s0, 1.0, v[46:47], 1.0
	v_fma_f64 v[62:63], -v[54:55], v[58:59], 1.0
	s_delay_alu instid0(VALU_DEP_1) | instskip(NEXT) | instid1(VALU_DEP_4)
	v_fma_f64 v[58:59], v[58:59], v[62:63], v[58:59]
	v_mul_f64_e32 v[62:63], v[64:65], v[56:57]
	s_delay_alu instid0(VALU_DEP_2) | instskip(NEXT) | instid1(VALU_DEP_2)
	v_mul_f64_e32 v[66:67], v[60:61], v[58:59]
	v_fma_f64 v[52:53], -v[52:53], v[62:63], v[64:65]
	s_delay_alu instid0(VALU_DEP_2) | instskip(SKIP_1) | instid1(VALU_DEP_2)
	v_fma_f64 v[54:55], -v[54:55], v[66:67], v[60:61]
	s_wait_alu 0xfffd
	v_div_fmas_f64 v[52:53], v[52:53], v[56:57], v[62:63]
	s_mov_b32 vcc_lo, s0
	s_wait_alu 0xfffe
	s_delay_alu instid0(VALU_DEP_2) | instskip(NEXT) | instid1(VALU_DEP_2)
	v_div_fmas_f64 v[54:55], v[54:55], v[58:59], v[66:67]
	v_div_fixup_f64 v[26:27], v[52:53], v[26:27], 1.0
	s_delay_alu instid0(VALU_DEP_2) | instskip(NEXT) | instid1(VALU_DEP_2)
	v_div_fixup_f64 v[46:47], v[54:55], v[46:47], 1.0
	v_mul_f64_e32 v[26:27], v[48:49], v[26:27]
	s_delay_alu instid0(VALU_DEP_2) | instskip(NEXT) | instid1(VALU_DEP_1)
	v_mul_f64_e32 v[40:41], v[40:41], v[46:47]
	v_fma_f64 v[40:41], v[40:41], v[40:41], 1.0
	s_delay_alu instid0(VALU_DEP_1) | instskip(SKIP_1) | instid1(VALU_DEP_2)
	v_div_scale_f64 v[46:47], null, v[40:41], v[40:41], 1.0
	v_div_scale_f64 v[58:59], vcc_lo, 1.0, v[40:41], 1.0
	v_rcp_f64_e32 v[54:55], v[46:47]
	s_delay_alu instid0(TRANS32_DEP_1) | instskip(NEXT) | instid1(VALU_DEP_1)
	v_fma_f64 v[56:57], -v[46:47], v[54:55], 1.0
	v_fma_f64 v[54:55], v[54:55], v[56:57], v[54:55]
	s_delay_alu instid0(VALU_DEP_1) | instskip(NEXT) | instid1(VALU_DEP_1)
	v_fma_f64 v[56:57], -v[46:47], v[54:55], 1.0
	v_fma_f64 v[54:55], v[54:55], v[56:57], v[54:55]
	s_delay_alu instid0(VALU_DEP_1) | instskip(NEXT) | instid1(VALU_DEP_1)
	v_mul_f64_e32 v[56:57], v[58:59], v[54:55]
	v_fma_f64 v[46:47], -v[46:47], v[56:57], v[58:59]
	s_wait_alu 0xfffd
	s_delay_alu instid0(VALU_DEP_1) | instskip(SKIP_2) | instid1(VALU_DEP_1)
	v_div_fmas_f64 v[46:47], v[46:47], v[54:55], v[56:57]
	v_mad_co_u64_u32 v[56:57], null, 0xffffffe4, s33, v[34:35]
	v_mov_b32_e32 v57, v1
	v_mad_co_u64_u32 v[34:35], null, s33, 36, v[56:57]
	v_mov_b32_e32 v35, v1
	v_lshlrev_b64_e32 v[56:57], 3, v[56:57]
	v_div_fixup_f64 v[40:41], v[46:47], v[40:41], 1.0
	s_delay_alu instid0(VALU_DEP_1) | instskip(NEXT) | instid1(VALU_DEP_1)
	v_mul_f64_e32 v[40:41], v[50:51], v[40:41]
	v_mul_f64_e32 v[46:47], s[62:63], v[40:41]
	v_cmp_nlt_f64_e32 vcc_lo, 0x40900000, v[40:41]
	v_cmp_ngt_f64_e64 s0, 0xc090cc00, v[40:41]
	s_delay_alu instid0(VALU_DEP_3) | instskip(NEXT) | instid1(VALU_DEP_1)
	v_rndne_f64_e32 v[46:47], v[46:47]
	v_fma_f64 v[50:51], v[46:47], s[68:69], v[40:41]
	v_cvt_i32_f64_e32 v0, v[46:47]
	s_delay_alu instid0(VALU_DEP_2) | instskip(NEXT) | instid1(VALU_DEP_1)
	v_fma_f64 v[50:51], v[46:47], s[66:67], v[50:51]
	v_mul_f64_e32 v[54:55], s[70:71], v[50:51]
	s_delay_alu instid0(VALU_DEP_1) | instskip(NEXT) | instid1(VALU_DEP_1)
	v_fma_f64 v[50:51], v[50:51], s[74:75], v[54:55]
	v_fma_f64 v[54:55], v[50:51], s[6:7], s[4:5]
	s_delay_alu instid0(VALU_DEP_1) | instskip(NEXT) | instid1(VALU_DEP_1)
	v_fma_f64 v[54:55], v[50:51], v[54:55], s[14:15]
	v_fma_f64 v[54:55], v[50:51], v[54:55], s[18:19]
	;; [unrolled: 3-line block ×5, first 2 shown]
	s_delay_alu instid0(VALU_DEP_1) | instskip(NEXT) | instid1(VALU_DEP_1)
	v_fma_f64 v[54:55], v[50:51], v[54:55], 1.0
	v_fma_f64 v[46:47], v[50:51], v[54:55], 1.0
	s_delay_alu instid0(VALU_DEP_1) | instskip(SKIP_1) | instid1(VALU_DEP_1)
	v_ldexp_f64 v[46:47], v[46:47], v0
	s_wait_alu 0xfffd
	v_cndmask_b32_e32 v0, 0x7ff00000, v47, vcc_lo
	s_and_b32 vcc_lo, s0, vcc_lo
	s_wait_alu 0xfffe
	s_delay_alu instid0(VALU_DEP_2) | instskip(NEXT) | instid1(VALU_DEP_2)
	v_cndmask_b32_e32 v40, 0, v46, vcc_lo
	v_cndmask_b32_e64 v41, 0, v0, s0
	s_mov_b32 s0, 0xe0acd3b
	s_mov_b32 s1, 0xbf71485f
	s_wait_alu 0xfffe
	v_mul_f64_e32 v[48:49], s[0:1], v[8:9]
	v_mul_f64_e32 v[26:27], v[26:27], v[40:41]
	s_mov_b32 s0, 0x91aa75c6
	s_mov_b32 s1, 0xbf43d5d9
	s_wait_alu 0xfffe
	v_mul_f64_e32 v[50:51], s[0:1], v[8:9]
	s_mov_b32 s0, 0x2fec56d6
	s_mov_b32 s1, 0x3fdb27bb
	s_delay_alu instid0(VALU_DEP_3) | instskip(NEXT) | instid1(VALU_DEP_3)
	v_mul_f64_e32 v[52:53], s[34:35], v[48:49]
	v_mul_f64_e32 v[46:47], v[28:29], v[26:27]
	v_lshlrev_b64_e32 v[28:29], 3, v[34:35]
	s_delay_alu instid0(VALU_DEP_4) | instskip(NEXT) | instid1(VALU_DEP_2)
	v_mul_f64_e32 v[54:55], s[34:35], v[50:51]
	v_add_co_u32 v40, vcc_lo, s8, v28
	s_wait_alu 0xfffd
	s_delay_alu instid0(VALU_DEP_3)
	v_add_co_ci_u32_e64 v41, null, s9, v29, vcc_lo
	v_add_co_u32 v56, vcc_lo, s12, v56
	s_wait_alu 0xfffd
	v_add_co_ci_u32_e64 v57, null, s13, v57, vcc_lo
	global_load_b64 v[56:57], v[56:57], off
	global_store_b64 v[32:33], v[46:47], off
	global_load_b64 v[46:47], v[40:41], off
	v_rndne_f64_e32 v[32:33], v[52:53]
	v_mul_f64_e32 v[52:53], 0xc0b3cd00, v[18:19]
	v_rndne_f64_e32 v[54:55], v[54:55]
	s_delay_alu instid0(VALU_DEP_3) | instskip(NEXT) | instid1(VALU_DEP_3)
	v_fma_f64 v[58:59], v[32:33], s[36:37], v[48:49]
	v_mul_f64_e32 v[60:61], s[34:35], v[52:53]
	s_delay_alu instid0(VALU_DEP_3)
	v_fma_f64 v[62:63], v[54:55], s[36:37], v[50:51]
	v_cvt_i32_f64_e32 v0, v[32:33]
	v_cvt_i32_f64_e32 v35, v[54:55]
	v_fma_f64 v[58:59], v[32:33], s[38:39], v[58:59]
	v_rndne_f64_e32 v[60:61], v[60:61]
	v_fma_f64 v[62:63], v[54:55], s[38:39], v[62:63]
	s_delay_alu instid0(VALU_DEP_3) | instskip(NEXT) | instid1(VALU_DEP_3)
	v_fma_f64 v[64:65], v[58:59], s[6:7], s[4:5]
	v_fma_f64 v[66:67], v[60:61], s[36:37], v[52:53]
	s_delay_alu instid0(VALU_DEP_3) | instskip(NEXT) | instid1(VALU_DEP_3)
	v_fma_f64 v[68:69], v[62:63], s[6:7], s[4:5]
	;; [unrolled: 3-line block ×9, first 2 shown]
	v_fma_f64 v[68:69], v[62:63], v[68:69], s[28:29]
	s_wait_loadcnt 0x0
	v_div_scale_f64 v[72:73], null, v[46:47], v[46:47], 1.0
	s_delay_alu instid0(VALU_DEP_4) | instskip(NEXT) | instid1(VALU_DEP_4)
	v_fma_f64 v[64:65], v[58:59], v[64:65], s[16:17]
	v_fma_f64 v[70:71], v[66:67], v[70:71], s[26:27]
	s_delay_alu instid0(VALU_DEP_4) | instskip(NEXT) | instid1(VALU_DEP_4)
	v_fma_f64 v[68:69], v[62:63], v[68:69], s[16:17]
	v_rcp_f64_e32 v[74:75], v[72:73]
	s_delay_alu instid0(VALU_DEP_3) | instskip(NEXT) | instid1(VALU_DEP_3)
	v_fma_f64 v[64:65], v[58:59], v[64:65], s[20:21]
	v_fma_f64 v[70:71], v[66:67], v[70:71], s[28:29]
	s_delay_alu instid0(VALU_DEP_3) | instskip(NEXT) | instid1(TRANS32_DEP_1)
	v_fma_f64 v[68:69], v[62:63], v[68:69], s[20:21]
	v_fma_f64 v[76:77], -v[72:73], v[74:75], 1.0
	s_delay_alu instid0(VALU_DEP_4) | instskip(NEXT) | instid1(VALU_DEP_4)
	v_fma_f64 v[64:65], v[58:59], v[64:65], s[24:25]
	v_fma_f64 v[70:71], v[66:67], v[70:71], s[16:17]
	s_delay_alu instid0(VALU_DEP_4) | instskip(NEXT) | instid1(VALU_DEP_4)
	v_fma_f64 v[68:69], v[62:63], v[68:69], s[24:25]
	v_fma_f64 v[74:75], v[74:75], v[76:77], v[74:75]
	s_delay_alu instid0(VALU_DEP_4) | instskip(NEXT) | instid1(VALU_DEP_4)
	v_fma_f64 v[64:65], v[58:59], v[64:65], 1.0
	v_fma_f64 v[70:71], v[66:67], v[70:71], s[20:21]
	s_delay_alu instid0(VALU_DEP_4) | instskip(NEXT) | instid1(VALU_DEP_4)
	v_fma_f64 v[68:69], v[62:63], v[68:69], 1.0
	v_fma_f64 v[76:77], -v[72:73], v[74:75], 1.0
	s_delay_alu instid0(VALU_DEP_4) | instskip(NEXT) | instid1(VALU_DEP_4)
	v_fma_f64 v[32:33], v[58:59], v[64:65], 1.0
	v_fma_f64 v[58:59], v[66:67], v[70:71], s[24:25]
	s_delay_alu instid0(VALU_DEP_4)
	v_fma_f64 v[54:55], v[62:63], v[68:69], 1.0
	v_div_scale_f64 v[62:63], vcc_lo, 1.0, v[46:47], 1.0
	v_fma_f64 v[64:65], v[74:75], v[76:77], v[74:75]
	v_ldexp_f64 v[32:33], v[32:33], v0
	v_fma_f64 v[58:59], v[66:67], v[58:59], 1.0
	v_ldexp_f64 v[54:55], v[54:55], v35
	v_cvt_i32_f64_e32 v0, v[60:61]
	v_mul_f64_e32 v[68:69], v[62:63], v[64:65]
	s_wait_alu 0xfffe
	v_mul_f64_e32 v[32:33], s[0:1], v[32:33]
	v_cmp_nlt_f64_e64 s0, 0x40900000, v[48:49]
	v_cmp_ngt_f64_e64 s1, 0xc090cc00, v[48:49]
	v_fma_f64 v[58:59], v[66:67], v[58:59], 1.0
	v_mul_f64_e32 v[54:55], s[2:3], v[54:55]
	v_cmp_nlt_f64_e64 s2, 0x40900000, v[50:51]
	v_cmp_ngt_f64_e64 s3, 0xc090cc00, v[50:51]
	v_fma_f64 v[60:61], -v[72:73], v[68:69], v[62:63]
	s_wait_alu 0xf1ff
	v_cndmask_b32_e64 v33, 0x7ff00000, v33, s0
	v_ldexp_f64 v[48:49], v[58:59], v0
	v_cndmask_b32_e64 v0, 0x7ff00000, v55, s2
	s_delay_alu instid0(VALU_DEP_3) | instskip(NEXT) | instid1(VALU_DEP_2)
	v_cndmask_b32_e64 v33, 0, v33, s1
	v_cndmask_b32_e64 v55, 0, v0, s3
	s_wait_alu 0xfffd
	v_div_fmas_f64 v[50:51], v[60:61], v[64:65], v[68:69]
	s_and_b32 vcc_lo, s1, s0
	v_cmp_ngt_f64_e64 s0, 0xc090cc00, v[52:53]
	s_wait_alu 0xfffe
	v_cndmask_b32_e32 v32, 0, v32, vcc_lo
	v_cmp_nlt_f64_e32 vcc_lo, 0x40900000, v[52:53]
	s_and_b32 s1, s3, s2
	s_mov_b32 s2, 0xb98c7e28
	s_wait_alu 0xfffe
	v_cndmask_b32_e64 v54, 0, v54, s1
	s_mov_b32 s3, 0x3fe9096b
	s_delay_alu instid0(VALU_DEP_1)
	v_add_f64_e32 v[32:33], v[32:33], v[54:55]
	s_wait_alu 0xfffd
	v_cndmask_b32_e32 v0, 0x7ff00000, v49, vcc_lo
	v_div_fixup_f64 v[49:50], v[50:51], v[46:47], 1.0
	s_and_b32 vcc_lo, s0, vcc_lo
	s_wait_alu 0xfffe
	v_cndmask_b32_e32 v51, 0, v48, vcc_lo
	v_cndmask_b32_e64 v52, 0, v0, s0
	s_delay_alu instid0(VALU_DEP_1) | instskip(NEXT) | instid1(VALU_DEP_4)
	v_add_f64_e32 v[32:33], v[51:52], v[32:33]
	v_mul_f64_e32 v[48:49], v[6:7], v[49:50]
	s_delay_alu instid0(VALU_DEP_2) | instskip(NEXT) | instid1(VALU_DEP_2)
	v_max_num_f64_e32 v[32:33], 0x38100000, v[32:33]
	v_mul_f64_e32 v[50:51], v[56:57], v[48:49]
	v_fma_f64 v[48:49], v[56:57], v[48:49], 1.0
	s_delay_alu instid0(VALU_DEP_3) | instskip(NEXT) | instid1(VALU_DEP_3)
	v_frexp_mant_f64_e32 v[52:53], v[32:33]
	v_max_num_f64_e32 v[54:55], 0x38100000, v[50:51]
	s_delay_alu instid0(VALU_DEP_3) | instskip(NEXT) | instid1(VALU_DEP_3)
	v_div_scale_f64 v[56:57], null, v[48:49], v[48:49], 1.0
	v_cmp_gt_f64_e32 vcc_lo, s[46:47], v[52:53]
	s_delay_alu instid0(VALU_DEP_3) | instskip(SKIP_3) | instid1(VALU_DEP_1)
	v_frexp_mant_f64_e32 v[58:59], v[54:55]
	v_frexp_exp_i32_f64_e32 v35, v[54:55]
	s_wait_alu 0xfffd
	v_cndmask_b32_e64 v0, 0, 1, vcc_lo
	v_ldexp_f64 v[52:53], v[52:53], v0
	s_delay_alu instid0(VALU_DEP_4) | instskip(NEXT) | instid1(VALU_DEP_2)
	v_cmp_gt_f64_e64 s0, s[46:47], v[58:59]
	v_add_f64_e32 v[60:61], 1.0, v[52:53]
	s_wait_alu 0xf1ff
	s_delay_alu instid0(VALU_DEP_2) | instskip(NEXT) | instid1(VALU_DEP_1)
	v_cndmask_b32_e64 v0, 0, 1, s0
	v_ldexp_f64 v[58:59], v[58:59], v0
	v_frexp_exp_i32_f64_e32 v0, v[32:33]
	s_delay_alu instid0(VALU_DEP_4) | instskip(NEXT) | instid1(VALU_DEP_2)
	v_rcp_f64_e32 v[62:63], v[60:61]
	v_add_f64_e32 v[64:65], 1.0, v[58:59]
	v_add_f64_e32 v[74:75], -1.0, v[58:59]
	s_delay_alu instid0(VALU_DEP_3) | instskip(SKIP_1) | instid1(TRANS32_DEP_1)
	v_subrev_co_ci_u32_e64 v0, null, 0, v0, vcc_lo
	v_cmp_neq_f64_e32 vcc_lo, 0x7ff00000, v[32:33]
	v_fma_f64 v[66:67], -v[60:61], v[62:63], 1.0
	v_rcp_f64_e32 v[68:69], v[64:65]
	s_delay_alu instid0(VALU_DEP_1) | instskip(NEXT) | instid1(TRANS32_DEP_1)
	v_fma_f64 v[62:63], v[66:67], v[62:63], v[62:63]
	v_fma_f64 v[66:67], -v[64:65], v[68:69], 1.0
	s_delay_alu instid0(VALU_DEP_2) | instskip(NEXT) | instid1(VALU_DEP_2)
	v_fma_f64 v[70:71], -v[60:61], v[62:63], 1.0
	v_fma_f64 v[66:67], v[66:67], v[68:69], v[68:69]
	v_add_f64_e32 v[68:69], -1.0, v[52:53]
	s_delay_alu instid0(VALU_DEP_3) | instskip(NEXT) | instid1(VALU_DEP_3)
	v_fma_f64 v[62:63], v[70:71], v[62:63], v[62:63]
	v_fma_f64 v[70:71], -v[64:65], v[66:67], 1.0
	s_delay_alu instid0(VALU_DEP_2) | instskip(NEXT) | instid1(VALU_DEP_2)
	v_mul_f64_e32 v[72:73], v[68:69], v[62:63]
	v_fma_f64 v[66:67], v[70:71], v[66:67], v[66:67]
	v_add_f64_e32 v[70:71], -1.0, v[60:61]
	s_delay_alu instid0(VALU_DEP_3) | instskip(NEXT) | instid1(VALU_DEP_3)
	v_mul_f64_e32 v[76:77], v[60:61], v[72:73]
	v_mul_f64_e32 v[78:79], v[74:75], v[66:67]
	s_delay_alu instid0(VALU_DEP_3) | instskip(SKIP_1) | instid1(VALU_DEP_4)
	v_add_f64_e64 v[52:53], v[52:53], -v[70:71]
	v_add_f64_e32 v[70:71], -1.0, v[64:65]
	v_fma_f64 v[60:61], v[72:73], v[60:61], -v[76:77]
	s_delay_alu instid0(VALU_DEP_4) | instskip(NEXT) | instid1(VALU_DEP_3)
	v_mul_f64_e32 v[80:81], v[64:65], v[78:79]
	v_add_f64_e64 v[58:59], v[58:59], -v[70:71]
	s_delay_alu instid0(VALU_DEP_3) | instskip(NEXT) | instid1(VALU_DEP_3)
	v_fma_f64 v[52:53], v[72:73], v[52:53], v[60:61]
	v_fma_f64 v[60:61], v[78:79], v[64:65], -v[80:81]
	s_delay_alu instid0(VALU_DEP_2) | instskip(NEXT) | instid1(VALU_DEP_2)
	v_add_f64_e32 v[64:65], v[76:77], v[52:53]
	v_fma_f64 v[58:59], v[78:79], v[58:59], v[60:61]
	s_delay_alu instid0(VALU_DEP_2) | instskip(SKIP_1) | instid1(VALU_DEP_3)
	v_add_f64_e64 v[60:61], v[68:69], -v[64:65]
	v_add_f64_e64 v[76:77], v[64:65], -v[76:77]
	v_add_f64_e32 v[70:71], v[80:81], v[58:59]
	s_delay_alu instid0(VALU_DEP_3) | instskip(NEXT) | instid1(VALU_DEP_3)
	v_add_f64_e64 v[68:69], v[68:69], -v[60:61]
	v_add_f64_e64 v[52:53], v[76:77], -v[52:53]
	s_delay_alu instid0(VALU_DEP_3) | instskip(NEXT) | instid1(VALU_DEP_3)
	v_add_f64_e64 v[82:83], v[74:75], -v[70:71]
	v_add_f64_e64 v[64:65], v[68:69], -v[64:65]
	;; [unrolled: 1-line block ×3, first 2 shown]
	s_delay_alu instid0(VALU_DEP_3) | instskip(NEXT) | instid1(VALU_DEP_3)
	v_add_f64_e64 v[74:75], v[74:75], -v[82:83]
	v_add_f64_e32 v[52:53], v[52:53], v[64:65]
	s_delay_alu instid0(VALU_DEP_3) | instskip(NEXT) | instid1(VALU_DEP_3)
	v_add_f64_e64 v[58:59], v[68:69], -v[58:59]
	v_add_f64_e64 v[64:65], v[74:75], -v[70:71]
	s_delay_alu instid0(VALU_DEP_3) | instskip(NEXT) | instid1(VALU_DEP_2)
	v_add_f64_e32 v[52:53], v[60:61], v[52:53]
	v_add_f64_e32 v[58:59], v[58:59], v[64:65]
	s_delay_alu instid0(VALU_DEP_2) | instskip(NEXT) | instid1(VALU_DEP_2)
	v_mul_f64_e32 v[52:53], v[62:63], v[52:53]
	v_add_f64_e32 v[58:59], v[82:83], v[58:59]
	s_delay_alu instid0(VALU_DEP_2) | instskip(NEXT) | instid1(VALU_DEP_2)
	v_add_f64_e32 v[60:61], v[72:73], v[52:53]
	v_mul_f64_e32 v[58:59], v[66:67], v[58:59]
	s_delay_alu instid0(VALU_DEP_2) | instskip(NEXT) | instid1(VALU_DEP_2)
	v_mul_f64_e32 v[62:63], v[60:61], v[60:61]
	v_add_f64_e32 v[64:65], v[78:79], v[58:59]
	s_delay_alu instid0(VALU_DEP_2) | instskip(SKIP_1) | instid1(VALU_DEP_3)
	v_fma_f64 v[66:67], v[62:63], s[42:43], s[40:41]
	v_mul_f64_e32 v[74:75], v[60:61], v[62:63]
	v_mul_f64_e32 v[68:69], v[64:65], v[64:65]
	s_delay_alu instid0(VALU_DEP_3) | instskip(NEXT) | instid1(VALU_DEP_2)
	v_fma_f64 v[66:67], v[62:63], v[66:67], s[44:45]
	v_fma_f64 v[70:71], v[68:69], s[42:43], s[40:41]
	s_delay_alu instid0(VALU_DEP_2) | instskip(NEXT) | instid1(VALU_DEP_2)
	v_fma_f64 v[66:67], v[62:63], v[66:67], s[50:51]
	v_fma_f64 v[70:71], v[68:69], v[70:71], s[44:45]
	s_delay_alu instid0(VALU_DEP_2) | instskip(NEXT) | instid1(VALU_DEP_2)
	v_fma_f64 v[66:67], v[62:63], v[66:67], s[54:55]
	v_fma_f64 v[70:71], v[68:69], v[70:71], s[50:51]
	s_delay_alu instid0(VALU_DEP_2) | instskip(NEXT) | instid1(VALU_DEP_2)
	v_fma_f64 v[66:67], v[62:63], v[66:67], s[52:53]
	v_fma_f64 v[70:71], v[68:69], v[70:71], s[54:55]
	s_delay_alu instid0(VALU_DEP_2) | instskip(NEXT) | instid1(VALU_DEP_2)
	v_fma_f64 v[62:63], v[62:63], v[66:67], s[56:57]
	v_fma_f64 v[66:67], v[68:69], v[70:71], s[52:53]
	v_ldexp_f64 v[70:71], v[60:61], 1
	v_add_f64_e64 v[60:61], v[60:61], -v[72:73]
	v_ldexp_f64 v[72:73], v[64:65], 1
	v_mul_f64_e32 v[62:63], v[74:75], v[62:63]
	v_mul_f64_e32 v[74:75], v[64:65], v[68:69]
	v_add_f64_e64 v[64:65], v[64:65], -v[78:79]
	v_fma_f64 v[66:67], v[68:69], v[66:67], s[56:57]
	v_add_f64_e64 v[52:53], v[52:53], -v[60:61]
	v_add_f64_e32 v[68:69], v[70:71], v[62:63]
	s_delay_alu instid0(VALU_DEP_4) | instskip(NEXT) | instid1(VALU_DEP_4)
	v_add_f64_e64 v[58:59], v[58:59], -v[64:65]
	v_mul_f64_e32 v[66:67], v[74:75], v[66:67]
	s_delay_alu instid0(VALU_DEP_4) | instskip(NEXT) | instid1(VALU_DEP_4)
	v_ldexp_f64 v[52:53], v[52:53], 1
	v_add_f64_e64 v[60:61], v[68:69], -v[70:71]
	s_delay_alu instid0(VALU_DEP_4) | instskip(NEXT) | instid1(VALU_DEP_4)
	v_ldexp_f64 v[58:59], v[58:59], 1
	v_add_f64_e32 v[70:71], v[72:73], v[66:67]
	s_delay_alu instid0(VALU_DEP_3) | instskip(NEXT) | instid1(VALU_DEP_2)
	v_add_f64_e64 v[60:61], v[62:63], -v[60:61]
	v_add_f64_e64 v[62:63], v[70:71], -v[72:73]
	s_delay_alu instid0(VALU_DEP_2) | instskip(NEXT) | instid1(VALU_DEP_2)
	v_add_f64_e32 v[52:53], v[52:53], v[60:61]
	v_add_f64_e64 v[60:61], v[66:67], -v[62:63]
	s_delay_alu instid0(VALU_DEP_2) | instskip(NEXT) | instid1(VALU_DEP_2)
	v_add_f64_e32 v[62:63], v[68:69], v[52:53]
	v_add_f64_e32 v[58:59], v[58:59], v[60:61]
	v_cvt_f64_i32_e32 v[60:61], v0
	v_subrev_co_ci_u32_e64 v0, null, 0, v35, s0
	s_delay_alu instid0(VALU_DEP_1) | instskip(SKIP_4) | instid1(VALU_DEP_4)
	v_cvt_f64_i32_e32 v[74:75], v0
	v_add_f64_e64 v[64:65], v[62:63], -v[68:69]
	v_mul_f64_e32 v[66:67], s[30:31], v[62:63]
	v_add_f64_e32 v[68:69], v[70:71], v[58:59]
	v_mul_f64_e32 v[72:73], s[48:49], v[60:61]
	v_add_f64_e64 v[52:53], v[52:53], -v[64:65]
	s_delay_alu instid0(VALU_DEP_4) | instskip(NEXT) | instid1(VALU_DEP_4)
	v_fma_f64 v[64:65], v[62:63], s[30:31], -v[66:67]
	v_add_f64_e64 v[70:71], v[68:69], -v[70:71]
	v_mul_f64_e32 v[76:77], s[30:31], v[68:69]
	v_fma_f64 v[78:79], v[60:61], s[48:49], -v[72:73]
	s_delay_alu instid0(VALU_DEP_4)
	v_fma_f64 v[52:53], v[52:53], s[30:31], v[64:65]
	v_mul_f64_e32 v[64:65], s[48:49], v[74:75]
	v_add_f64_e64 v[58:59], v[58:59], -v[70:71]
	v_fma_f64 v[70:71], v[68:69], s[30:31], -v[76:77]
	v_fma_f64 v[60:61], v[60:61], s[58:59], v[78:79]
	v_fma_f64 v[52:53], v[62:63], s[60:61], v[52:53]
	v_fma_f64 v[62:63], v[74:75], s[48:49], -v[64:65]
	s_delay_alu instid0(VALU_DEP_4) | instskip(NEXT) | instid1(VALU_DEP_4)
	v_fma_f64 v[58:59], v[58:59], s[30:31], v[70:71]
	v_add_f64_e32 v[70:71], v[72:73], v[60:61]
	s_delay_alu instid0(VALU_DEP_4) | instskip(NEXT) | instid1(VALU_DEP_4)
	v_add_f64_e32 v[78:79], v[66:67], v[52:53]
	v_fma_f64 v[62:63], v[74:75], s[58:59], v[62:63]
	s_delay_alu instid0(VALU_DEP_4) | instskip(NEXT) | instid1(VALU_DEP_4)
	v_fma_f64 v[58:59], v[68:69], s[60:61], v[58:59]
	v_add_f64_e64 v[72:73], v[70:71], -v[72:73]
	s_delay_alu instid0(VALU_DEP_4) | instskip(NEXT) | instid1(VALU_DEP_4)
	v_add_f64_e32 v[68:69], v[70:71], v[78:79]
	v_add_f64_e32 v[74:75], v[64:65], v[62:63]
	v_add_f64_e64 v[66:67], v[78:79], -v[66:67]
	v_add_f64_e32 v[80:81], v[76:77], v[58:59]
	v_add_f64_e64 v[60:61], v[60:61], -v[72:73]
	v_add_f64_e64 v[82:83], v[68:69], -v[70:71]
	;; [unrolled: 1-line block ×4, first 2 shown]
	v_add_f64_e32 v[84:85], v[74:75], v[80:81]
	v_add_f64_e64 v[72:73], v[80:81], -v[76:77]
	v_add_f64_e64 v[86:87], v[68:69], -v[82:83]
	;; [unrolled: 1-line block ×3, first 2 shown]
	v_add_f64_e32 v[78:79], v[60:61], v[52:53]
	v_add_f64_e64 v[62:63], v[62:63], -v[64:65]
	v_add_f64_e64 v[88:89], v[84:85], -v[74:75]
	;; [unrolled: 1-line block ×5, first 2 shown]
	s_delay_alu instid0(VALU_DEP_4) | instskip(SKIP_1) | instid1(VALU_DEP_4)
	v_add_f64_e64 v[76:77], v[84:85], -v[88:89]
	v_add_f64_e64 v[64:65], v[80:81], -v[88:89]
	v_add_f64_e32 v[66:67], v[66:67], v[70:71]
	s_delay_alu instid0(VALU_DEP_4) | instskip(NEXT) | instid1(VALU_DEP_4)
	v_add_f64_e64 v[52:53], v[52:53], -v[72:73]
	v_add_f64_e64 v[70:71], v[74:75], -v[76:77]
	v_add_f64_e32 v[74:75], v[62:63], v[58:59]
	s_delay_alu instid0(VALU_DEP_4) | instskip(NEXT) | instid1(VALU_DEP_3)
	v_add_f64_e32 v[66:67], v[78:79], v[66:67]
	v_add_f64_e32 v[64:65], v[64:65], v[70:71]
	v_add_f64_e64 v[70:71], v[78:79], -v[72:73]
	s_delay_alu instid0(VALU_DEP_4) | instskip(NEXT) | instid1(VALU_DEP_4)
	v_add_f64_e64 v[78:79], v[74:75], -v[62:63]
	v_add_f64_e32 v[76:77], v[68:69], v[66:67]
	s_delay_alu instid0(VALU_DEP_4) | instskip(NEXT) | instid1(VALU_DEP_4)
	v_add_f64_e32 v[64:65], v[74:75], v[64:65]
	v_add_f64_e64 v[60:61], v[60:61], -v[70:71]
	s_delay_alu instid0(VALU_DEP_4)
	v_add_f64_e64 v[70:71], v[74:75], -v[78:79]
	v_add_f64_e64 v[58:59], v[58:59], -v[78:79]
	;; [unrolled: 1-line block ×3, first 2 shown]
	v_add_f64_e32 v[72:73], v[84:85], v[64:65]
	v_add_f64_e32 v[52:53], v[52:53], v[60:61]
	v_add_f64_e64 v[62:63], v[62:63], -v[70:71]
	s_delay_alu instid0(VALU_DEP_4) | instskip(NEXT) | instid1(VALU_DEP_4)
	v_add_f64_e64 v[60:61], v[66:67], -v[68:69]
	v_add_f64_e64 v[66:67], v[72:73], -v[84:85]
	s_delay_alu instid0(VALU_DEP_3) | instskip(NEXT) | instid1(VALU_DEP_3)
	v_add_f64_e32 v[58:59], v[58:59], v[62:63]
	v_add_f64_e32 v[52:53], v[52:53], v[60:61]
	s_delay_alu instid0(VALU_DEP_3) | instskip(NEXT) | instid1(VALU_DEP_2)
	v_add_f64_e64 v[60:61], v[64:65], -v[66:67]
	v_add_f64_e32 v[52:53], v[76:77], v[52:53]
	s_delay_alu instid0(VALU_DEP_2) | instskip(SKIP_2) | instid1(VALU_DEP_2)
	v_add_f64_e32 v[32:33], v[58:59], v[60:61]
	v_rcp_f64_e32 v[60:61], v[56:57]
	s_wait_alu 0xfffd
	v_cndmask_b32_e32 v53, 0x7ff00000, v53, vcc_lo
	s_delay_alu instid0(VALU_DEP_3) | instskip(SKIP_1) | instid1(VALU_DEP_2)
	v_cndmask_b32_e32 v52, 0, v52, vcc_lo
	v_cmp_neq_f64_e32 vcc_lo, 0x7ff00000, v[54:55]
	v_fma_f64 v[54:55], v[52:53], s[72:73], s[64:65]
	v_fma_f64 v[58:59], v[52:53], s[76:77], 0x3fe80000
	v_add_f64_e32 v[32:33], v[72:73], v[32:33]
	s_delay_alu instid0(TRANS32_DEP_1) | instskip(SKIP_1) | instid1(VALU_DEP_2)
	v_fma_f64 v[64:65], -v[56:57], v[60:61], 1.0
	s_wait_alu 0xfffd
	v_cndmask_b32_e32 v33, 0x7ff00000, v33, vcc_lo
	s_delay_alu instid0(VALU_DEP_3) | instskip(SKIP_1) | instid1(VALU_DEP_4)
	v_cndmask_b32_e32 v32, 0, v32, vcc_lo
	v_div_scale_f64 v[68:69], vcc_lo, 1.0, v[48:49], 1.0
	v_fma_f64 v[60:61], v[60:61], v[64:65], v[60:61]
	s_delay_alu instid0(VALU_DEP_3) | instskip(NEXT) | instid1(VALU_DEP_2)
	v_add_f64_e64 v[32:33], v[32:33], -v[54:55]
	v_fma_f64 v[64:65], -v[56:57], v[60:61], 1.0
	s_delay_alu instid0(VALU_DEP_2) | instskip(NEXT) | instid1(VALU_DEP_2)
	v_fma_f64 v[54:55], v[32:33], s[78:79], v[58:59]
	v_fma_f64 v[60:61], v[60:61], v[64:65], v[60:61]
	s_delay_alu instid0(VALU_DEP_2) | instskip(SKIP_1) | instid1(VALU_DEP_2)
	v_div_scale_f64 v[58:59], null, v[54:55], v[54:55], 1.0
	v_div_scale_f64 v[64:65], s0, 1.0, v[54:55], 1.0
	v_rcp_f64_e32 v[62:63], v[58:59]
	s_delay_alu instid0(TRANS32_DEP_1) | instskip(NEXT) | instid1(VALU_DEP_1)
	v_fma_f64 v[66:67], -v[58:59], v[62:63], 1.0
	v_fma_f64 v[62:63], v[62:63], v[66:67], v[62:63]
	s_delay_alu instid0(VALU_DEP_1) | instskip(NEXT) | instid1(VALU_DEP_1)
	v_fma_f64 v[66:67], -v[58:59], v[62:63], 1.0
	v_fma_f64 v[62:63], v[62:63], v[66:67], v[62:63]
	v_mul_f64_e32 v[66:67], v[68:69], v[60:61]
	s_delay_alu instid0(VALU_DEP_2) | instskip(NEXT) | instid1(VALU_DEP_2)
	v_mul_f64_e32 v[70:71], v[64:65], v[62:63]
	v_fma_f64 v[56:57], -v[56:57], v[66:67], v[68:69]
	s_delay_alu instid0(VALU_DEP_2) | instskip(SKIP_1) | instid1(VALU_DEP_2)
	v_fma_f64 v[58:59], -v[58:59], v[70:71], v[64:65]
	s_wait_alu 0xfffd
	v_div_fmas_f64 v[56:57], v[56:57], v[60:61], v[66:67]
	s_mov_b32 vcc_lo, s0
	s_wait_alu 0xfffe
	s_delay_alu instid0(VALU_DEP_2) | instskip(NEXT) | instid1(VALU_DEP_2)
	v_div_fmas_f64 v[58:59], v[58:59], v[62:63], v[70:71]
	v_div_fixup_f64 v[48:49], v[56:57], v[48:49], 1.0
	s_delay_alu instid0(VALU_DEP_2) | instskip(NEXT) | instid1(VALU_DEP_1)
	v_div_fixup_f64 v[54:55], v[58:59], v[54:55], 1.0
	v_mul_f64_e32 v[32:33], v[32:33], v[54:55]
	s_delay_alu instid0(VALU_DEP_1) | instskip(NEXT) | instid1(VALU_DEP_1)
	v_fma_f64 v[32:33], v[32:33], v[32:33], 1.0
	v_div_scale_f64 v[54:55], null, v[32:33], v[32:33], 1.0
	v_div_scale_f64 v[62:63], vcc_lo, 1.0, v[32:33], 1.0
	s_delay_alu instid0(VALU_DEP_2) | instskip(NEXT) | instid1(TRANS32_DEP_1)
	v_rcp_f64_e32 v[58:59], v[54:55]
	v_fma_f64 v[60:61], -v[54:55], v[58:59], 1.0
	s_delay_alu instid0(VALU_DEP_1) | instskip(NEXT) | instid1(VALU_DEP_1)
	v_fma_f64 v[58:59], v[58:59], v[60:61], v[58:59]
	v_fma_f64 v[60:61], -v[54:55], v[58:59], 1.0
	s_delay_alu instid0(VALU_DEP_1) | instskip(NEXT) | instid1(VALU_DEP_1)
	v_fma_f64 v[58:59], v[58:59], v[60:61], v[58:59]
	v_mul_f64_e32 v[60:61], v[62:63], v[58:59]
	s_delay_alu instid0(VALU_DEP_1) | instskip(SKIP_1) | instid1(VALU_DEP_1)
	v_fma_f64 v[54:55], -v[54:55], v[60:61], v[62:63]
	s_wait_alu 0xfffd
	v_div_fmas_f64 v[54:55], v[54:55], v[58:59], v[60:61]
	s_delay_alu instid0(VALU_DEP_1) | instskip(NEXT) | instid1(VALU_DEP_1)
	v_div_fixup_f64 v[32:33], v[54:55], v[32:33], 1.0
	v_mul_f64_e32 v[32:33], v[52:53], v[32:33]
	s_delay_alu instid0(VALU_DEP_1) | instskip(SKIP_2) | instid1(VALU_DEP_3)
	v_mul_f64_e32 v[52:53], s[62:63], v[32:33]
	v_cmp_nlt_f64_e32 vcc_lo, 0x40900000, v[32:33]
	v_cmp_ngt_f64_e64 s0, 0xc090cc00, v[32:33]
	v_rndne_f64_e32 v[52:53], v[52:53]
	s_delay_alu instid0(VALU_DEP_1) | instskip(SKIP_2) | instid1(VALU_DEP_3)
	v_fma_f64 v[54:55], v[52:53], s[68:69], v[32:33]
	v_cvt_i32_f64_e32 v0, v[52:53]
	v_mul_f64_e32 v[32:33], v[50:51], v[48:49]
	v_fma_f64 v[54:55], v[52:53], s[66:67], v[54:55]
	s_delay_alu instid0(VALU_DEP_1) | instskip(NEXT) | instid1(VALU_DEP_1)
	v_mul_f64_e32 v[58:59], s[70:71], v[54:55]
	v_fma_f64 v[54:55], v[54:55], s[74:75], v[58:59]
	s_delay_alu instid0(VALU_DEP_1) | instskip(NEXT) | instid1(VALU_DEP_1)
	v_fma_f64 v[58:59], v[54:55], s[6:7], s[4:5]
	v_fma_f64 v[58:59], v[54:55], v[58:59], s[14:15]
	s_delay_alu instid0(VALU_DEP_1) | instskip(NEXT) | instid1(VALU_DEP_1)
	v_fma_f64 v[58:59], v[54:55], v[58:59], s[18:19]
	;; [unrolled: 3-line block ×5, first 2 shown]
	v_fma_f64 v[58:59], v[54:55], v[58:59], 1.0
	s_delay_alu instid0(VALU_DEP_1) | instskip(NEXT) | instid1(VALU_DEP_1)
	v_fma_f64 v[52:53], v[54:55], v[58:59], 1.0
	v_ldexp_f64 v[52:53], v[52:53], v0
	s_wait_alu 0xfffd
	s_delay_alu instid0(VALU_DEP_1) | instskip(SKIP_2) | instid1(VALU_DEP_2)
	v_cndmask_b32_e32 v0, 0x7ff00000, v53, vcc_lo
	s_and_b32 vcc_lo, s0, vcc_lo
	s_wait_alu 0xfffe
	v_cndmask_b32_e32 v48, 0, v52, vcc_lo
	s_delay_alu instid0(VALU_DEP_2) | instskip(SKIP_3) | instid1(VALU_DEP_2)
	v_cndmask_b32_e64 v49, 0, v0, s0
	s_mov_b32 s0, 0x79dc1a73
	s_mov_b32 s1, 0xbf6e3a91
	v_lshl_add_u32 v0, s33, 1, v34
	v_mul_f64_e32 v[32:33], v[32:33], v[48:49]
	s_wait_alu 0xfffe
	v_mul_f64_e32 v[48:49], s[0:1], v[8:9]
	s_mov_b32 s0, 0xcb978e43
	s_mov_b32 s1, 0xbf37c9bb
	v_lshlrev_b64_e32 v[34:35], 3, v[0:1]
	s_wait_alu 0xfffe
	v_mul_f64_e32 v[50:51], s[0:1], v[8:9]
	s_mov_b32 s0, 0x19ce075f
	s_mov_b32 s1, 0x3fcbda51
	s_delay_alu instid0(VALU_DEP_4) | instskip(NEXT) | instid1(VALU_DEP_4)
	v_mul_f64_e32 v[52:53], v[46:47], v[32:33]
	v_mul_f64_e32 v[54:55], s[34:35], v[48:49]
	v_add_co_u32 v46, vcc_lo, s8, v34
	s_wait_alu 0xfffd
	v_add_co_ci_u32_e64 v47, null, s9, v35, vcc_lo
	v_mul_f64_e32 v[56:57], s[34:35], v[50:51]
	v_add_co_u32 v38, vcc_lo, s12, v38
	s_wait_alu 0xfffd
	v_add_co_ci_u32_e64 v39, null, s13, v39, vcc_lo
	global_load_b64 v[38:39], v[38:39], off
	global_store_b64 v[40:41], v[52:53], off
	global_load_b64 v[40:41], v[46:47], off
	v_rndne_f64_e32 v[52:53], v[54:55]
	v_mul_f64_e32 v[54:55], 0xc0b9aa00, v[18:19]
	v_rndne_f64_e32 v[56:57], v[56:57]
	s_delay_alu instid0(VALU_DEP_3) | instskip(NEXT) | instid1(VALU_DEP_3)
	v_fma_f64 v[58:59], v[52:53], s[36:37], v[48:49]
	v_mul_f64_e32 v[60:61], s[34:35], v[54:55]
	v_cvt_i32_f64_e32 v78, v[52:53]
	s_delay_alu instid0(VALU_DEP_4) | instskip(NEXT) | instid1(VALU_DEP_4)
	v_fma_f64 v[62:63], v[56:57], s[36:37], v[50:51]
	v_fma_f64 v[58:59], v[52:53], s[38:39], v[58:59]
	s_delay_alu instid0(VALU_DEP_4) | instskip(NEXT) | instid1(VALU_DEP_3)
	v_rndne_f64_e32 v[60:61], v[60:61]
	v_fma_f64 v[62:63], v[56:57], s[38:39], v[62:63]
	s_delay_alu instid0(VALU_DEP_3) | instskip(NEXT) | instid1(VALU_DEP_3)
	v_fma_f64 v[64:65], v[58:59], s[6:7], s[4:5]
	v_fma_f64 v[66:67], v[60:61], s[36:37], v[54:55]
	s_delay_alu instid0(VALU_DEP_3) | instskip(NEXT) | instid1(VALU_DEP_3)
	v_fma_f64 v[68:69], v[62:63], s[6:7], s[4:5]
	;; [unrolled: 3-line block ×9, first 2 shown]
	v_fma_f64 v[68:69], v[62:63], v[68:69], s[28:29]
	s_wait_loadcnt 0x0
	v_div_scale_f64 v[72:73], null, v[40:41], v[40:41], 1.0
	s_delay_alu instid0(VALU_DEP_4) | instskip(NEXT) | instid1(VALU_DEP_4)
	v_fma_f64 v[64:65], v[58:59], v[64:65], s[16:17]
	v_fma_f64 v[70:71], v[66:67], v[70:71], s[26:27]
	s_delay_alu instid0(VALU_DEP_4) | instskip(NEXT) | instid1(VALU_DEP_4)
	v_fma_f64 v[68:69], v[62:63], v[68:69], s[16:17]
	v_rcp_f64_e32 v[74:75], v[72:73]
	s_delay_alu instid0(VALU_DEP_3) | instskip(NEXT) | instid1(VALU_DEP_3)
	v_fma_f64 v[64:65], v[58:59], v[64:65], s[20:21]
	v_fma_f64 v[70:71], v[66:67], v[70:71], s[28:29]
	s_delay_alu instid0(VALU_DEP_3) | instskip(NEXT) | instid1(TRANS32_DEP_1)
	v_fma_f64 v[68:69], v[62:63], v[68:69], s[20:21]
	v_fma_f64 v[76:77], -v[72:73], v[74:75], 1.0
	s_delay_alu instid0(VALU_DEP_4) | instskip(NEXT) | instid1(VALU_DEP_4)
	v_fma_f64 v[64:65], v[58:59], v[64:65], s[24:25]
	v_fma_f64 v[70:71], v[66:67], v[70:71], s[16:17]
	s_delay_alu instid0(VALU_DEP_4) | instskip(NEXT) | instid1(VALU_DEP_4)
	v_fma_f64 v[68:69], v[62:63], v[68:69], s[24:25]
	v_fma_f64 v[74:75], v[74:75], v[76:77], v[74:75]
	s_delay_alu instid0(VALU_DEP_4) | instskip(NEXT) | instid1(VALU_DEP_4)
	v_fma_f64 v[64:65], v[58:59], v[64:65], 1.0
	v_fma_f64 v[70:71], v[66:67], v[70:71], s[20:21]
	s_delay_alu instid0(VALU_DEP_4) | instskip(NEXT) | instid1(VALU_DEP_4)
	v_fma_f64 v[68:69], v[62:63], v[68:69], 1.0
	v_fma_f64 v[76:77], -v[72:73], v[74:75], 1.0
	s_delay_alu instid0(VALU_DEP_4) | instskip(NEXT) | instid1(VALU_DEP_4)
	v_fma_f64 v[52:53], v[58:59], v[64:65], 1.0
	v_fma_f64 v[58:59], v[66:67], v[70:71], s[24:25]
	v_cvt_i32_f64_e32 v70, v[56:57]
	v_fma_f64 v[56:57], v[62:63], v[68:69], 1.0
	v_div_scale_f64 v[62:63], vcc_lo, 1.0, v[40:41], 1.0
	v_fma_f64 v[64:65], v[74:75], v[76:77], v[74:75]
	v_ldexp_f64 v[52:53], v[52:53], v78
	v_fma_f64 v[58:59], v[66:67], v[58:59], 1.0
	v_ldexp_f64 v[56:57], v[56:57], v70
	v_cvt_i32_f64_e32 v70, v[60:61]
	v_mul_f64_e32 v[68:69], v[62:63], v[64:65]
	s_wait_alu 0xfffe
	v_mul_f64_e32 v[52:53], s[0:1], v[52:53]
	v_cmp_nlt_f64_e64 s0, 0x40900000, v[48:49]
	v_cmp_ngt_f64_e64 s1, 0xc090cc00, v[48:49]
	v_fma_f64 v[58:59], v[66:67], v[58:59], 1.0
	v_mul_f64_e32 v[56:57], s[2:3], v[56:57]
	v_cmp_nlt_f64_e64 s2, 0x40900000, v[50:51]
	v_cmp_ngt_f64_e64 s3, 0xc090cc00, v[50:51]
	v_fma_f64 v[60:61], -v[72:73], v[68:69], v[62:63]
	s_wait_alu 0xf1ff
	v_cndmask_b32_e64 v53, 0x7ff00000, v53, s0
	v_ldexp_f64 v[48:49], v[58:59], v70
	v_cndmask_b32_e64 v57, 0x7ff00000, v57, s2
	s_delay_alu instid0(VALU_DEP_3) | instskip(NEXT) | instid1(VALU_DEP_2)
	v_cndmask_b32_e64 v53, 0, v53, s1
	v_cndmask_b32_e64 v57, 0, v57, s3
	s_wait_alu 0xfffd
	v_div_fmas_f64 v[50:51], v[60:61], v[64:65], v[68:69]
	s_and_b32 vcc_lo, s1, s0
	v_cmp_ngt_f64_e64 s0, 0xc090cc00, v[54:55]
	s_wait_alu 0xfffe
	v_cndmask_b32_e32 v52, 0, v52, vcc_lo
	v_cmp_nlt_f64_e32 vcc_lo, 0x40900000, v[54:55]
	s_and_b32 s1, s3, s2
	s_mov_b32 s2, 0x5c28f5c3
	s_wait_alu 0xfffe
	v_cndmask_b32_e64 v56, 0, v56, s1
	s_mov_b32 s3, 0x3fe5c28f
	s_delay_alu instid0(VALU_DEP_1)
	v_add_f64_e32 v[52:53], v[52:53], v[56:57]
	s_wait_alu 0xfffd
	v_cndmask_b32_e32 v58, 0x7ff00000, v49, vcc_lo
	v_div_fixup_f64 v[49:50], v[50:51], v[40:41], 1.0
	s_and_b32 vcc_lo, s0, vcc_lo
	s_wait_alu 0xfffe
	v_cndmask_b32_e32 v54, 0, v48, vcc_lo
	v_cndmask_b32_e64 v55, 0, v58, s0
	s_delay_alu instid0(VALU_DEP_1) | instskip(NEXT) | instid1(VALU_DEP_4)
	v_add_f64_e32 v[51:52], v[54:55], v[52:53]
	v_mul_f64_e32 v[48:49], v[6:7], v[49:50]
	s_delay_alu instid0(VALU_DEP_2) | instskip(NEXT) | instid1(VALU_DEP_2)
	v_max_num_f64_e32 v[50:51], 0x38100000, v[51:52]
	v_mul_f64_e32 v[52:53], v[38:39], v[48:49]
	v_fma_f64 v[38:39], v[38:39], v[48:49], 1.0
	s_delay_alu instid0(VALU_DEP_3) | instskip(NEXT) | instid1(VALU_DEP_3)
	v_frexp_mant_f64_e32 v[54:55], v[50:51]
	v_max_num_f64_e32 v[56:57], 0x38100000, v[52:53]
	s_delay_alu instid0(VALU_DEP_2) | instskip(NEXT) | instid1(VALU_DEP_2)
	v_cmp_gt_f64_e32 vcc_lo, s[46:47], v[54:55]
	v_frexp_mant_f64_e32 v[58:59], v[56:57]
	s_wait_alu 0xfffd
	v_cndmask_b32_e64 v60, 0, 1, vcc_lo
	s_delay_alu instid0(VALU_DEP_1) | instskip(NEXT) | instid1(VALU_DEP_3)
	v_ldexp_f64 v[54:55], v[54:55], v60
	v_cmp_gt_f64_e64 s0, s[46:47], v[58:59]
	s_delay_alu instid0(VALU_DEP_2) | instskip(SKIP_1) | instid1(VALU_DEP_2)
	v_add_f64_e32 v[60:61], 1.0, v[54:55]
	s_wait_alu 0xf1ff
	v_cndmask_b32_e64 v62, 0, 1, s0
	s_delay_alu instid0(VALU_DEP_1) | instskip(NEXT) | instid1(VALU_DEP_3)
	v_ldexp_f64 v[58:59], v[58:59], v62
	v_rcp_f64_e32 v[62:63], v[60:61]
	s_delay_alu instid0(VALU_DEP_1) | instskip(SKIP_1) | instid1(TRANS32_DEP_1)
	v_add_f64_e32 v[64:65], 1.0, v[58:59]
	v_add_f64_e32 v[74:75], -1.0, v[58:59]
	v_fma_f64 v[66:67], -v[60:61], v[62:63], 1.0
	s_delay_alu instid0(VALU_DEP_3) | instskip(NEXT) | instid1(VALU_DEP_1)
	v_rcp_f64_e32 v[68:69], v[64:65]
	v_fma_f64 v[62:63], v[66:67], v[62:63], v[62:63]
	s_delay_alu instid0(TRANS32_DEP_1) | instskip(NEXT) | instid1(VALU_DEP_2)
	v_fma_f64 v[66:67], -v[64:65], v[68:69], 1.0
	v_fma_f64 v[70:71], -v[60:61], v[62:63], 1.0
	s_delay_alu instid0(VALU_DEP_2) | instskip(SKIP_1) | instid1(VALU_DEP_3)
	v_fma_f64 v[66:67], v[66:67], v[68:69], v[68:69]
	v_add_f64_e32 v[68:69], -1.0, v[54:55]
	v_fma_f64 v[62:63], v[70:71], v[62:63], v[62:63]
	s_delay_alu instid0(VALU_DEP_3) | instskip(NEXT) | instid1(VALU_DEP_2)
	v_fma_f64 v[70:71], -v[64:65], v[66:67], 1.0
	v_mul_f64_e32 v[72:73], v[68:69], v[62:63]
	s_delay_alu instid0(VALU_DEP_2) | instskip(SKIP_1) | instid1(VALU_DEP_3)
	v_fma_f64 v[66:67], v[70:71], v[66:67], v[66:67]
	v_add_f64_e32 v[70:71], -1.0, v[60:61]
	v_mul_f64_e32 v[76:77], v[60:61], v[72:73]
	s_delay_alu instid0(VALU_DEP_3) | instskip(NEXT) | instid1(VALU_DEP_3)
	v_mul_f64_e32 v[78:79], v[74:75], v[66:67]
	v_add_f64_e64 v[54:55], v[54:55], -v[70:71]
	v_add_f64_e32 v[70:71], -1.0, v[64:65]
	s_delay_alu instid0(VALU_DEP_4) | instskip(NEXT) | instid1(VALU_DEP_4)
	v_fma_f64 v[60:61], v[72:73], v[60:61], -v[76:77]
	v_mul_f64_e32 v[80:81], v[64:65], v[78:79]
	s_delay_alu instid0(VALU_DEP_3) | instskip(NEXT) | instid1(VALU_DEP_3)
	v_add_f64_e64 v[58:59], v[58:59], -v[70:71]
	v_fma_f64 v[54:55], v[72:73], v[54:55], v[60:61]
	s_delay_alu instid0(VALU_DEP_3) | instskip(NEXT) | instid1(VALU_DEP_2)
	v_fma_f64 v[60:61], v[78:79], v[64:65], -v[80:81]
	v_add_f64_e32 v[64:65], v[76:77], v[54:55]
	s_delay_alu instid0(VALU_DEP_2) | instskip(NEXT) | instid1(VALU_DEP_2)
	v_fma_f64 v[58:59], v[78:79], v[58:59], v[60:61]
	v_add_f64_e64 v[60:61], v[68:69], -v[64:65]
	v_add_f64_e64 v[76:77], v[64:65], -v[76:77]
	s_delay_alu instid0(VALU_DEP_3) | instskip(NEXT) | instid1(VALU_DEP_3)
	v_add_f64_e32 v[70:71], v[80:81], v[58:59]
	v_add_f64_e64 v[68:69], v[68:69], -v[60:61]
	s_delay_alu instid0(VALU_DEP_3) | instskip(NEXT) | instid1(VALU_DEP_3)
	v_add_f64_e64 v[54:55], v[76:77], -v[54:55]
	v_add_f64_e64 v[82:83], v[74:75], -v[70:71]
	s_delay_alu instid0(VALU_DEP_3) | instskip(SKIP_1) | instid1(VALU_DEP_3)
	v_add_f64_e64 v[64:65], v[68:69], -v[64:65]
	v_add_f64_e64 v[68:69], v[70:71], -v[80:81]
	;; [unrolled: 1-line block ×3, first 2 shown]
	s_delay_alu instid0(VALU_DEP_3) | instskip(NEXT) | instid1(VALU_DEP_3)
	v_add_f64_e32 v[54:55], v[54:55], v[64:65]
	v_add_f64_e64 v[58:59], v[68:69], -v[58:59]
	s_delay_alu instid0(VALU_DEP_3) | instskip(NEXT) | instid1(VALU_DEP_3)
	v_add_f64_e64 v[64:65], v[74:75], -v[70:71]
	v_add_f64_e32 v[54:55], v[60:61], v[54:55]
	s_delay_alu instid0(VALU_DEP_2) | instskip(NEXT) | instid1(VALU_DEP_2)
	v_add_f64_e32 v[58:59], v[58:59], v[64:65]
	v_mul_f64_e32 v[54:55], v[62:63], v[54:55]
	s_delay_alu instid0(VALU_DEP_2) | instskip(NEXT) | instid1(VALU_DEP_2)
	v_add_f64_e32 v[58:59], v[82:83], v[58:59]
	v_add_f64_e32 v[60:61], v[72:73], v[54:55]
	s_delay_alu instid0(VALU_DEP_2) | instskip(NEXT) | instid1(VALU_DEP_2)
	v_mul_f64_e32 v[58:59], v[66:67], v[58:59]
	v_mul_f64_e32 v[62:63], v[60:61], v[60:61]
	s_delay_alu instid0(VALU_DEP_2) | instskip(NEXT) | instid1(VALU_DEP_2)
	v_add_f64_e32 v[64:65], v[78:79], v[58:59]
	v_fma_f64 v[66:67], v[62:63], s[42:43], s[40:41]
	v_mul_f64_e32 v[74:75], v[60:61], v[62:63]
	s_delay_alu instid0(VALU_DEP_3) | instskip(NEXT) | instid1(VALU_DEP_3)
	v_mul_f64_e32 v[68:69], v[64:65], v[64:65]
	v_fma_f64 v[66:67], v[62:63], v[66:67], s[44:45]
	s_delay_alu instid0(VALU_DEP_2) | instskip(NEXT) | instid1(VALU_DEP_2)
	v_fma_f64 v[70:71], v[68:69], s[42:43], s[40:41]
	v_fma_f64 v[66:67], v[62:63], v[66:67], s[50:51]
	s_delay_alu instid0(VALU_DEP_2) | instskip(NEXT) | instid1(VALU_DEP_2)
	v_fma_f64 v[70:71], v[68:69], v[70:71], s[44:45]
	v_fma_f64 v[66:67], v[62:63], v[66:67], s[54:55]
	s_delay_alu instid0(VALU_DEP_2) | instskip(NEXT) | instid1(VALU_DEP_2)
	v_fma_f64 v[70:71], v[68:69], v[70:71], s[50:51]
	v_fma_f64 v[66:67], v[62:63], v[66:67], s[52:53]
	s_delay_alu instid0(VALU_DEP_2) | instskip(NEXT) | instid1(VALU_DEP_2)
	v_fma_f64 v[70:71], v[68:69], v[70:71], s[54:55]
	v_fma_f64 v[62:63], v[62:63], v[66:67], s[56:57]
	s_delay_alu instid0(VALU_DEP_2)
	v_fma_f64 v[66:67], v[68:69], v[70:71], s[52:53]
	v_ldexp_f64 v[70:71], v[60:61], 1
	v_add_f64_e64 v[60:61], v[60:61], -v[72:73]
	v_ldexp_f64 v[72:73], v[64:65], 1
	v_mul_f64_e32 v[62:63], v[74:75], v[62:63]
	v_mul_f64_e32 v[74:75], v[64:65], v[68:69]
	v_add_f64_e64 v[64:65], v[64:65], -v[78:79]
	v_fma_f64 v[66:67], v[68:69], v[66:67], s[56:57]
	v_add_f64_e64 v[54:55], v[54:55], -v[60:61]
	v_add_f64_e32 v[68:69], v[70:71], v[62:63]
	s_delay_alu instid0(VALU_DEP_4)
	v_add_f64_e64 v[58:59], v[58:59], -v[64:65]
	v_frexp_exp_i32_f64_e32 v64, v[50:51]
	v_mul_f64_e32 v[66:67], v[74:75], v[66:67]
	v_ldexp_f64 v[54:55], v[54:55], 1
	v_add_f64_e64 v[60:61], v[68:69], -v[70:71]
	v_ldexp_f64 v[58:59], v[58:59], 1
	s_delay_alu instid0(VALU_DEP_4) | instskip(NEXT) | instid1(VALU_DEP_3)
	v_add_f64_e32 v[70:71], v[72:73], v[66:67]
	v_add_f64_e64 v[60:61], v[62:63], -v[60:61]
	s_delay_alu instid0(VALU_DEP_2) | instskip(SKIP_1) | instid1(VALU_DEP_3)
	v_add_f64_e64 v[62:63], v[70:71], -v[72:73]
	v_frexp_exp_i32_f64_e32 v72, v[56:57]
	v_add_f64_e32 v[54:55], v[54:55], v[60:61]
	s_delay_alu instid0(VALU_DEP_3) | instskip(NEXT) | instid1(VALU_DEP_3)
	v_add_f64_e64 v[60:61], v[66:67], -v[62:63]
	v_subrev_co_ci_u32_e64 v74, null, 0, v72, s0
	s_delay_alu instid0(VALU_DEP_1) | instskip(NEXT) | instid1(VALU_DEP_4)
	v_cvt_f64_i32_e32 v[74:75], v74
	v_add_f64_e32 v[62:63], v[68:69], v[54:55]
	s_delay_alu instid0(VALU_DEP_4) | instskip(SKIP_2) | instid1(VALU_DEP_2)
	v_add_f64_e32 v[58:59], v[58:59], v[60:61]
	v_subrev_co_ci_u32_e64 v60, null, 0, v64, vcc_lo
	v_cmp_neq_f64_e32 vcc_lo, 0x7ff00000, v[50:51]
	v_cvt_f64_i32_e32 v[60:61], v60
	v_add_f64_e64 v[64:65], v[62:63], -v[68:69]
	v_mul_f64_e32 v[66:67], s[30:31], v[62:63]
	v_add_f64_e32 v[68:69], v[70:71], v[58:59]
	s_delay_alu instid0(VALU_DEP_4) | instskip(NEXT) | instid1(VALU_DEP_4)
	v_mul_f64_e32 v[72:73], s[48:49], v[60:61]
	v_add_f64_e64 v[54:55], v[54:55], -v[64:65]
	s_delay_alu instid0(VALU_DEP_4) | instskip(NEXT) | instid1(VALU_DEP_4)
	v_fma_f64 v[64:65], v[62:63], s[30:31], -v[66:67]
	v_add_f64_e64 v[70:71], v[68:69], -v[70:71]
	v_mul_f64_e32 v[76:77], s[30:31], v[68:69]
	v_fma_f64 v[78:79], v[60:61], s[48:49], -v[72:73]
	s_delay_alu instid0(VALU_DEP_4)
	v_fma_f64 v[54:55], v[54:55], s[30:31], v[64:65]
	v_mul_f64_e32 v[64:65], s[48:49], v[74:75]
	v_add_f64_e64 v[58:59], v[58:59], -v[70:71]
	v_fma_f64 v[70:71], v[68:69], s[30:31], -v[76:77]
	v_fma_f64 v[60:61], v[60:61], s[58:59], v[78:79]
	v_fma_f64 v[54:55], v[62:63], s[60:61], v[54:55]
	v_fma_f64 v[62:63], v[74:75], s[48:49], -v[64:65]
	s_delay_alu instid0(VALU_DEP_4) | instskip(NEXT) | instid1(VALU_DEP_4)
	v_fma_f64 v[58:59], v[58:59], s[30:31], v[70:71]
	v_add_f64_e32 v[70:71], v[72:73], v[60:61]
	s_delay_alu instid0(VALU_DEP_4) | instskip(NEXT) | instid1(VALU_DEP_4)
	v_add_f64_e32 v[78:79], v[66:67], v[54:55]
	v_fma_f64 v[62:63], v[74:75], s[58:59], v[62:63]
	s_delay_alu instid0(VALU_DEP_4) | instskip(NEXT) | instid1(VALU_DEP_4)
	v_fma_f64 v[58:59], v[68:69], s[60:61], v[58:59]
	v_add_f64_e64 v[72:73], v[70:71], -v[72:73]
	s_delay_alu instid0(VALU_DEP_4) | instskip(NEXT) | instid1(VALU_DEP_4)
	v_add_f64_e32 v[68:69], v[70:71], v[78:79]
	v_add_f64_e32 v[74:75], v[64:65], v[62:63]
	v_add_f64_e64 v[66:67], v[78:79], -v[66:67]
	v_add_f64_e32 v[80:81], v[76:77], v[58:59]
	v_add_f64_e64 v[60:61], v[60:61], -v[72:73]
	v_add_f64_e64 v[82:83], v[68:69], -v[70:71]
	;; [unrolled: 1-line block ×4, first 2 shown]
	v_add_f64_e32 v[84:85], v[74:75], v[80:81]
	v_add_f64_e64 v[72:73], v[80:81], -v[76:77]
	v_add_f64_e64 v[86:87], v[68:69], -v[82:83]
	;; [unrolled: 1-line block ×3, first 2 shown]
	v_add_f64_e32 v[78:79], v[60:61], v[54:55]
	v_add_f64_e64 v[62:63], v[62:63], -v[64:65]
	v_add_f64_e64 v[88:89], v[84:85], -v[74:75]
	;; [unrolled: 1-line block ×5, first 2 shown]
	s_delay_alu instid0(VALU_DEP_4) | instskip(SKIP_1) | instid1(VALU_DEP_4)
	v_add_f64_e64 v[76:77], v[84:85], -v[88:89]
	v_add_f64_e64 v[64:65], v[80:81], -v[88:89]
	v_add_f64_e32 v[66:67], v[66:67], v[70:71]
	s_delay_alu instid0(VALU_DEP_4) | instskip(NEXT) | instid1(VALU_DEP_4)
	v_add_f64_e64 v[54:55], v[54:55], -v[72:73]
	v_add_f64_e64 v[70:71], v[74:75], -v[76:77]
	v_add_f64_e32 v[74:75], v[62:63], v[58:59]
	s_delay_alu instid0(VALU_DEP_4) | instskip(NEXT) | instid1(VALU_DEP_3)
	v_add_f64_e32 v[66:67], v[78:79], v[66:67]
	v_add_f64_e32 v[64:65], v[64:65], v[70:71]
	v_add_f64_e64 v[70:71], v[78:79], -v[72:73]
	s_delay_alu instid0(VALU_DEP_4) | instskip(NEXT) | instid1(VALU_DEP_4)
	v_add_f64_e64 v[78:79], v[74:75], -v[62:63]
	v_add_f64_e32 v[76:77], v[68:69], v[66:67]
	s_delay_alu instid0(VALU_DEP_4) | instskip(NEXT) | instid1(VALU_DEP_4)
	v_add_f64_e32 v[64:65], v[74:75], v[64:65]
	v_add_f64_e64 v[60:61], v[60:61], -v[70:71]
	s_delay_alu instid0(VALU_DEP_4)
	v_add_f64_e64 v[70:71], v[74:75], -v[78:79]
	v_add_f64_e64 v[58:59], v[58:59], -v[78:79]
	;; [unrolled: 1-line block ×3, first 2 shown]
	v_add_f64_e32 v[72:73], v[84:85], v[64:65]
	v_add_f64_e32 v[54:55], v[54:55], v[60:61]
	v_add_f64_e64 v[62:63], v[62:63], -v[70:71]
	s_delay_alu instid0(VALU_DEP_4) | instskip(NEXT) | instid1(VALU_DEP_4)
	v_add_f64_e64 v[60:61], v[66:67], -v[68:69]
	v_add_f64_e64 v[66:67], v[72:73], -v[84:85]
	s_delay_alu instid0(VALU_DEP_3) | instskip(NEXT) | instid1(VALU_DEP_3)
	v_add_f64_e32 v[58:59], v[58:59], v[62:63]
	v_add_f64_e32 v[54:55], v[54:55], v[60:61]
	s_delay_alu instid0(VALU_DEP_3) | instskip(NEXT) | instid1(VALU_DEP_2)
	v_add_f64_e64 v[60:61], v[64:65], -v[66:67]
	v_add_f64_e32 v[54:55], v[76:77], v[54:55]
	s_delay_alu instid0(VALU_DEP_2) | instskip(SKIP_1) | instid1(VALU_DEP_2)
	v_add_f64_e32 v[50:51], v[58:59], v[60:61]
	s_wait_alu 0xfffd
	v_cndmask_b32_e32 v55, 0x7ff00000, v55, vcc_lo
	s_delay_alu instid0(VALU_DEP_3) | instskip(SKIP_1) | instid1(VALU_DEP_2)
	v_cndmask_b32_e32 v54, 0, v54, vcc_lo
	v_cmp_neq_f64_e32 vcc_lo, 0x7ff00000, v[56:57]
	v_fma_f64 v[56:57], v[54:55], s[72:73], s[64:65]
	v_fma_f64 v[58:59], v[54:55], s[76:77], 0x3fe80000
	v_add_f64_e32 v[50:51], v[72:73], v[50:51]
	s_wait_alu 0xfffd
	s_delay_alu instid0(VALU_DEP_1) | instskip(NEXT) | instid1(VALU_DEP_2)
	v_cndmask_b32_e32 v51, 0x7ff00000, v51, vcc_lo
	v_cndmask_b32_e32 v50, 0, v50, vcc_lo
	v_div_scale_f64 v[68:69], vcc_lo, 1.0, v[38:39], 1.0
	s_delay_alu instid0(VALU_DEP_2) | instskip(SKIP_1) | instid1(VALU_DEP_2)
	v_add_f64_e64 v[50:51], v[50:51], -v[56:57]
	v_div_scale_f64 v[56:57], null, v[38:39], v[38:39], 1.0
	v_fma_f64 v[48:49], v[50:51], s[78:79], v[58:59]
	s_delay_alu instid0(VALU_DEP_2) | instskip(NEXT) | instid1(VALU_DEP_1)
	v_rcp_f64_e32 v[60:61], v[56:57]
	v_div_scale_f64 v[58:59], null, v[48:49], v[48:49], 1.0
	s_delay_alu instid0(TRANS32_DEP_1) | instskip(NEXT) | instid1(VALU_DEP_2)
	v_fma_f64 v[64:65], -v[56:57], v[60:61], 1.0
	v_rcp_f64_e32 v[62:63], v[58:59]
	s_delay_alu instid0(VALU_DEP_1) | instskip(NEXT) | instid1(TRANS32_DEP_1)
	v_fma_f64 v[60:61], v[60:61], v[64:65], v[60:61]
	v_fma_f64 v[66:67], -v[58:59], v[62:63], 1.0
	s_delay_alu instid0(VALU_DEP_2) | instskip(NEXT) | instid1(VALU_DEP_2)
	v_fma_f64 v[64:65], -v[56:57], v[60:61], 1.0
	v_fma_f64 v[62:63], v[62:63], v[66:67], v[62:63]
	s_delay_alu instid0(VALU_DEP_2) | instskip(SKIP_1) | instid1(VALU_DEP_3)
	v_fma_f64 v[60:61], v[60:61], v[64:65], v[60:61]
	v_div_scale_f64 v[64:65], s0, 1.0, v[48:49], 1.0
	v_fma_f64 v[66:67], -v[58:59], v[62:63], 1.0
	s_delay_alu instid0(VALU_DEP_1) | instskip(NEXT) | instid1(VALU_DEP_4)
	v_fma_f64 v[62:63], v[62:63], v[66:67], v[62:63]
	v_mul_f64_e32 v[66:67], v[68:69], v[60:61]
	s_delay_alu instid0(VALU_DEP_2) | instskip(NEXT) | instid1(VALU_DEP_2)
	v_mul_f64_e32 v[70:71], v[64:65], v[62:63]
	v_fma_f64 v[56:57], -v[56:57], v[66:67], v[68:69]
	s_delay_alu instid0(VALU_DEP_2) | instskip(SKIP_1) | instid1(VALU_DEP_2)
	v_fma_f64 v[58:59], -v[58:59], v[70:71], v[64:65]
	s_wait_alu 0xfffd
	v_div_fmas_f64 v[56:57], v[56:57], v[60:61], v[66:67]
	s_mov_b32 vcc_lo, s0
	s_wait_alu 0xfffe
	s_delay_alu instid0(VALU_DEP_2) | instskip(NEXT) | instid1(VALU_DEP_2)
	v_div_fmas_f64 v[58:59], v[58:59], v[62:63], v[70:71]
	v_div_fixup_f64 v[38:39], v[56:57], v[38:39], 1.0
	s_delay_alu instid0(VALU_DEP_2) | instskip(NEXT) | instid1(VALU_DEP_2)
	v_div_fixup_f64 v[48:49], v[58:59], v[48:49], 1.0
	v_mul_f64_e32 v[38:39], v[52:53], v[38:39]
	s_delay_alu instid0(VALU_DEP_2) | instskip(NEXT) | instid1(VALU_DEP_1)
	v_mul_f64_e32 v[48:49], v[50:51], v[48:49]
	v_fma_f64 v[48:49], v[48:49], v[48:49], 1.0
	s_delay_alu instid0(VALU_DEP_1) | instskip(SKIP_1) | instid1(VALU_DEP_2)
	v_div_scale_f64 v[50:51], null, v[48:49], v[48:49], 1.0
	v_div_scale_f64 v[62:63], vcc_lo, 1.0, v[48:49], 1.0
	v_rcp_f64_e32 v[58:59], v[50:51]
	s_delay_alu instid0(TRANS32_DEP_1) | instskip(NEXT) | instid1(VALU_DEP_1)
	v_fma_f64 v[60:61], -v[50:51], v[58:59], 1.0
	v_fma_f64 v[58:59], v[58:59], v[60:61], v[58:59]
	s_delay_alu instid0(VALU_DEP_1) | instskip(NEXT) | instid1(VALU_DEP_1)
	v_fma_f64 v[60:61], -v[50:51], v[58:59], 1.0
	v_fma_f64 v[58:59], v[58:59], v[60:61], v[58:59]
	s_delay_alu instid0(VALU_DEP_1) | instskip(NEXT) | instid1(VALU_DEP_1)
	v_mul_f64_e32 v[60:61], v[62:63], v[58:59]
	v_fma_f64 v[50:51], -v[50:51], v[60:61], v[62:63]
	v_mad_co_u64_u32 v[62:63], null, 0xffffffdc, s33, v[0:1]
	v_mov_b32_e32 v63, v1
	s_wait_alu 0xfffd
	s_delay_alu instid0(VALU_DEP_3) | instskip(NEXT) | instid1(VALU_DEP_1)
	v_div_fmas_f64 v[50:51], v[50:51], v[58:59], v[60:61]
	v_div_fixup_f64 v[48:49], v[50:51], v[48:49], 1.0
	s_delay_alu instid0(VALU_DEP_1) | instskip(NEXT) | instid1(VALU_DEP_1)
	v_mul_f64_e32 v[48:49], v[54:55], v[48:49]
	v_mul_f64_e32 v[50:51], s[62:63], v[48:49]
	v_cmp_nlt_f64_e32 vcc_lo, 0x40900000, v[48:49]
	v_cmp_ngt_f64_e64 s0, 0xc090cc00, v[48:49]
	s_delay_alu instid0(VALU_DEP_3) | instskip(NEXT) | instid1(VALU_DEP_1)
	v_rndne_f64_e32 v[50:51], v[50:51]
	v_fma_f64 v[54:55], v[50:51], s[68:69], v[48:49]
	v_cvt_i32_f64_e32 v60, v[50:51]
	s_delay_alu instid0(VALU_DEP_2) | instskip(NEXT) | instid1(VALU_DEP_1)
	v_fma_f64 v[54:55], v[50:51], s[66:67], v[54:55]
	v_mul_f64_e32 v[58:59], s[70:71], v[54:55]
	s_delay_alu instid0(VALU_DEP_1) | instskip(NEXT) | instid1(VALU_DEP_1)
	v_fma_f64 v[54:55], v[54:55], s[74:75], v[58:59]
	v_fma_f64 v[58:59], v[54:55], s[6:7], s[4:5]
	s_delay_alu instid0(VALU_DEP_1) | instskip(NEXT) | instid1(VALU_DEP_1)
	v_fma_f64 v[58:59], v[54:55], v[58:59], s[14:15]
	v_fma_f64 v[58:59], v[54:55], v[58:59], s[18:19]
	;; [unrolled: 3-line block ×5, first 2 shown]
	s_delay_alu instid0(VALU_DEP_1) | instskip(NEXT) | instid1(VALU_DEP_1)
	v_fma_f64 v[58:59], v[54:55], v[58:59], 1.0
	v_fma_f64 v[50:51], v[54:55], v[58:59], 1.0
	s_delay_alu instid0(VALU_DEP_1) | instskip(SKIP_1) | instid1(VALU_DEP_1)
	v_ldexp_f64 v[50:51], v[50:51], v60
	s_wait_alu 0xfffd
	v_cndmask_b32_e32 v51, 0x7ff00000, v51, vcc_lo
	s_and_b32 vcc_lo, s0, vcc_lo
	s_wait_alu 0xfffe
	s_delay_alu instid0(VALU_DEP_2) | instskip(NEXT) | instid1(VALU_DEP_2)
	v_cndmask_b32_e32 v48, 0, v50, vcc_lo
	v_cndmask_b32_e64 v49, 0, v51, s0
	s_mov_b32 s0, 0x1a41a41a
	s_mov_b32 s1, 0xbf8a41a4
	s_wait_alu 0xfffe
	v_mul_f64_e32 v[54:55], s[0:1], v[8:9]
	v_mul_f64_e32 v[38:39], v[38:39], v[48:49]
	s_mov_b32 s0, 0xe80106cd
	s_mov_b32 s1, 0xbf406cd0
	v_mad_co_u64_u32 v[48:49], null, s33, 43, v[62:63]
	s_wait_alu 0xfffe
	v_mul_f64_e32 v[56:57], s[0:1], v[8:9]
	v_mov_b32_e32 v49, v1
	v_lshlrev_b64_e32 v[62:63], 3, v[62:63]
	s_mov_b32 s0, 0x47ae147b
	s_mov_b32 s1, 0x3fd47ae1
	v_mul_f64_e32 v[58:59], s[34:35], v[54:55]
	v_mul_f64_e32 v[52:53], v[40:41], v[38:39]
	v_lshlrev_b64_e32 v[40:41], 3, v[48:49]
	v_mul_f64_e32 v[60:61], s[34:35], v[56:57]
	s_delay_alu instid0(VALU_DEP_2) | instskip(SKIP_1) | instid1(VALU_DEP_3)
	v_add_co_u32 v50, vcc_lo, s8, v40
	s_wait_alu 0xfffd
	v_add_co_ci_u32_e64 v51, null, s9, v41, vcc_lo
	v_add_co_u32 v62, vcc_lo, s12, v62
	s_wait_alu 0xfffd
	v_add_co_ci_u32_e64 v63, null, s13, v63, vcc_lo
	global_load_b64 v[62:63], v[62:63], off
	global_store_b64 v[46:47], v[52:53], off
	global_load_b64 v[52:53], v[50:51], off
	v_rndne_f64_e32 v[46:47], v[58:59]
	v_mul_f64_e32 v[58:59], 0xc0b5d600, v[18:19]
	v_rndne_f64_e32 v[60:61], v[60:61]
	s_delay_alu instid0(VALU_DEP_3) | instskip(NEXT) | instid1(VALU_DEP_3)
	v_fma_f64 v[64:65], v[46:47], s[36:37], v[54:55]
	v_mul_f64_e32 v[66:67], s[34:35], v[58:59]
	v_cvt_i32_f64_e32 v0, v[46:47]
	s_delay_alu instid0(VALU_DEP_4) | instskip(SKIP_3) | instid1(VALU_DEP_4)
	v_fma_f64 v[68:69], v[60:61], s[36:37], v[56:57]
	v_cvt_i32_f64_e32 v49, v[60:61]
	v_fma_f64 v[64:65], v[46:47], s[38:39], v[64:65]
	v_rndne_f64_e32 v[66:67], v[66:67]
	v_fma_f64 v[68:69], v[60:61], s[38:39], v[68:69]
	s_delay_alu instid0(VALU_DEP_3) | instskip(NEXT) | instid1(VALU_DEP_3)
	v_fma_f64 v[70:71], v[64:65], s[6:7], s[4:5]
	v_fma_f64 v[72:73], v[66:67], s[36:37], v[58:59]
	s_delay_alu instid0(VALU_DEP_3) | instskip(NEXT) | instid1(VALU_DEP_3)
	v_fma_f64 v[74:75], v[68:69], s[6:7], s[4:5]
	v_fma_f64 v[70:71], v[64:65], v[70:71], s[14:15]
	s_delay_alu instid0(VALU_DEP_3) | instskip(NEXT) | instid1(VALU_DEP_3)
	v_fma_f64 v[72:73], v[66:67], s[38:39], v[72:73]
	v_fma_f64 v[74:75], v[68:69], v[74:75], s[14:15]
	s_delay_alu instid0(VALU_DEP_3) | instskip(NEXT) | instid1(VALU_DEP_3)
	v_fma_f64 v[70:71], v[64:65], v[70:71], s[18:19]
	v_fma_f64 v[76:77], v[72:73], s[6:7], s[4:5]
	s_delay_alu instid0(VALU_DEP_3) | instskip(NEXT) | instid1(VALU_DEP_3)
	v_fma_f64 v[74:75], v[68:69], v[74:75], s[18:19]
	v_fma_f64 v[70:71], v[64:65], v[70:71], s[22:23]
	s_delay_alu instid0(VALU_DEP_3) | instskip(NEXT) | instid1(VALU_DEP_3)
	v_fma_f64 v[76:77], v[72:73], v[76:77], s[14:15]
	v_fma_f64 v[74:75], v[68:69], v[74:75], s[22:23]
	s_delay_alu instid0(VALU_DEP_3) | instskip(NEXT) | instid1(VALU_DEP_3)
	v_fma_f64 v[70:71], v[64:65], v[70:71], s[26:27]
	v_fma_f64 v[76:77], v[72:73], v[76:77], s[18:19]
	s_delay_alu instid0(VALU_DEP_3) | instskip(NEXT) | instid1(VALU_DEP_3)
	v_fma_f64 v[74:75], v[68:69], v[74:75], s[26:27]
	v_fma_f64 v[70:71], v[64:65], v[70:71], s[28:29]
	s_delay_alu instid0(VALU_DEP_3) | instskip(NEXT) | instid1(VALU_DEP_3)
	v_fma_f64 v[76:77], v[72:73], v[76:77], s[22:23]
	v_fma_f64 v[74:75], v[68:69], v[74:75], s[28:29]
	s_wait_loadcnt 0x0
	v_div_scale_f64 v[78:79], null, v[52:53], v[52:53], 1.0
	s_delay_alu instid0(VALU_DEP_4) | instskip(NEXT) | instid1(VALU_DEP_4)
	v_fma_f64 v[70:71], v[64:65], v[70:71], s[16:17]
	v_fma_f64 v[76:77], v[72:73], v[76:77], s[26:27]
	s_delay_alu instid0(VALU_DEP_4) | instskip(NEXT) | instid1(VALU_DEP_4)
	v_fma_f64 v[74:75], v[68:69], v[74:75], s[16:17]
	v_rcp_f64_e32 v[80:81], v[78:79]
	s_delay_alu instid0(VALU_DEP_3) | instskip(NEXT) | instid1(VALU_DEP_3)
	v_fma_f64 v[70:71], v[64:65], v[70:71], s[20:21]
	v_fma_f64 v[76:77], v[72:73], v[76:77], s[28:29]
	s_delay_alu instid0(VALU_DEP_3) | instskip(NEXT) | instid1(TRANS32_DEP_1)
	v_fma_f64 v[74:75], v[68:69], v[74:75], s[20:21]
	v_fma_f64 v[82:83], -v[78:79], v[80:81], 1.0
	s_delay_alu instid0(VALU_DEP_4) | instskip(NEXT) | instid1(VALU_DEP_4)
	v_fma_f64 v[70:71], v[64:65], v[70:71], s[24:25]
	v_fma_f64 v[76:77], v[72:73], v[76:77], s[16:17]
	s_delay_alu instid0(VALU_DEP_4) | instskip(NEXT) | instid1(VALU_DEP_4)
	v_fma_f64 v[74:75], v[68:69], v[74:75], s[24:25]
	v_fma_f64 v[80:81], v[80:81], v[82:83], v[80:81]
	s_delay_alu instid0(VALU_DEP_4) | instskip(NEXT) | instid1(VALU_DEP_4)
	v_fma_f64 v[70:71], v[64:65], v[70:71], 1.0
	v_fma_f64 v[76:77], v[72:73], v[76:77], s[20:21]
	s_delay_alu instid0(VALU_DEP_4) | instskip(NEXT) | instid1(VALU_DEP_4)
	v_fma_f64 v[74:75], v[68:69], v[74:75], 1.0
	v_fma_f64 v[82:83], -v[78:79], v[80:81], 1.0
	s_delay_alu instid0(VALU_DEP_4) | instskip(NEXT) | instid1(VALU_DEP_4)
	v_fma_f64 v[46:47], v[64:65], v[70:71], 1.0
	v_fma_f64 v[64:65], v[72:73], v[76:77], s[24:25]
	s_delay_alu instid0(VALU_DEP_4)
	v_fma_f64 v[60:61], v[68:69], v[74:75], 1.0
	v_div_scale_f64 v[68:69], vcc_lo, 1.0, v[52:53], 1.0
	v_fma_f64 v[70:71], v[80:81], v[82:83], v[80:81]
	v_ldexp_f64 v[46:47], v[46:47], v0
	v_fma_f64 v[64:65], v[72:73], v[64:65], 1.0
	v_cvt_i32_f64_e32 v0, v[66:67]
	v_ldexp_f64 v[60:61], v[60:61], v49
	v_mul_f64_e32 v[74:75], v[68:69], v[70:71]
	s_wait_alu 0xfffe
	v_mul_f64_e32 v[46:47], s[0:1], v[46:47]
	v_cmp_nlt_f64_e64 s0, 0x40900000, v[54:55]
	v_cmp_ngt_f64_e64 s1, 0xc090cc00, v[54:55]
	v_fma_f64 v[64:65], v[72:73], v[64:65], 1.0
	v_mul_f64_e32 v[60:61], s[2:3], v[60:61]
	v_cmp_nlt_f64_e64 s2, 0x40900000, v[56:57]
	v_cmp_ngt_f64_e64 s3, 0xc090cc00, v[56:57]
	v_fma_f64 v[66:67], -v[78:79], v[74:75], v[68:69]
	s_wait_alu 0xf1ff
	v_cndmask_b32_e64 v47, 0x7ff00000, v47, s0
	v_ldexp_f64 v[54:55], v[64:65], v0
	v_cndmask_b32_e64 v0, 0x7ff00000, v61, s2
	s_delay_alu instid0(VALU_DEP_3) | instskip(NEXT) | instid1(VALU_DEP_2)
	v_cndmask_b32_e64 v47, 0, v47, s1
	v_cndmask_b32_e64 v61, 0, v0, s3
	s_wait_alu 0xfffd
	v_div_fmas_f64 v[56:57], v[66:67], v[70:71], v[74:75]
	s_and_b32 vcc_lo, s1, s0
	v_cmp_ngt_f64_e64 s0, 0xc090cc00, v[58:59]
	s_wait_alu 0xfffe
	v_cndmask_b32_e32 v46, 0, v46, vcc_lo
	v_cmp_nlt_f64_e32 vcc_lo, 0x40900000, v[58:59]
	s_and_b32 s1, s3, s2
	s_mov_b32 s2, 0xafb7e910
	s_wait_alu 0xfffe
	v_cndmask_b32_e64 v60, 0, v60, s1
	s_mov_b32 s3, 0x3fe2e703
	s_delay_alu instid0(VALU_DEP_1)
	v_add_f64_e32 v[46:47], v[46:47], v[60:61]
	s_wait_alu 0xfffd
	v_cndmask_b32_e32 v0, 0x7ff00000, v55, vcc_lo
	v_div_fixup_f64 v[55:56], v[56:57], v[52:53], 1.0
	s_and_b32 vcc_lo, s0, vcc_lo
	s_wait_alu 0xfffe
	v_cndmask_b32_e32 v57, 0, v54, vcc_lo
	v_cndmask_b32_e64 v58, 0, v0, s0
	s_delay_alu instid0(VALU_DEP_1) | instskip(NEXT) | instid1(VALU_DEP_4)
	v_add_f64_e32 v[46:47], v[57:58], v[46:47]
	v_mul_f64_e32 v[54:55], v[6:7], v[55:56]
	s_delay_alu instid0(VALU_DEP_2) | instskip(NEXT) | instid1(VALU_DEP_2)
	v_max_num_f64_e32 v[46:47], 0x38100000, v[46:47]
	v_mul_f64_e32 v[56:57], v[62:63], v[54:55]
	v_fma_f64 v[54:55], v[62:63], v[54:55], 1.0
	s_delay_alu instid0(VALU_DEP_3) | instskip(NEXT) | instid1(VALU_DEP_3)
	v_frexp_mant_f64_e32 v[58:59], v[46:47]
	v_max_num_f64_e32 v[60:61], 0x38100000, v[56:57]
	s_delay_alu instid0(VALU_DEP_3) | instskip(NEXT) | instid1(VALU_DEP_3)
	v_div_scale_f64 v[62:63], null, v[54:55], v[54:55], 1.0
	v_cmp_gt_f64_e32 vcc_lo, s[46:47], v[58:59]
	s_delay_alu instid0(VALU_DEP_3) | instskip(SKIP_3) | instid1(VALU_DEP_1)
	v_frexp_mant_f64_e32 v[64:65], v[60:61]
	v_frexp_exp_i32_f64_e32 v49, v[60:61]
	s_wait_alu 0xfffd
	v_cndmask_b32_e64 v0, 0, 1, vcc_lo
	v_ldexp_f64 v[58:59], v[58:59], v0
	s_delay_alu instid0(VALU_DEP_4) | instskip(NEXT) | instid1(VALU_DEP_2)
	v_cmp_gt_f64_e64 s0, s[46:47], v[64:65]
	v_add_f64_e32 v[66:67], 1.0, v[58:59]
	s_wait_alu 0xf1ff
	s_delay_alu instid0(VALU_DEP_2) | instskip(NEXT) | instid1(VALU_DEP_1)
	v_cndmask_b32_e64 v0, 0, 1, s0
	v_ldexp_f64 v[64:65], v[64:65], v0
	v_frexp_exp_i32_f64_e32 v0, v[46:47]
	s_delay_alu instid0(VALU_DEP_4) | instskip(NEXT) | instid1(VALU_DEP_2)
	v_rcp_f64_e32 v[68:69], v[66:67]
	v_add_f64_e32 v[70:71], 1.0, v[64:65]
	v_add_f64_e32 v[80:81], -1.0, v[64:65]
	s_delay_alu instid0(VALU_DEP_3) | instskip(SKIP_1) | instid1(TRANS32_DEP_1)
	v_subrev_co_ci_u32_e64 v0, null, 0, v0, vcc_lo
	v_cmp_neq_f64_e32 vcc_lo, 0x7ff00000, v[46:47]
	v_fma_f64 v[72:73], -v[66:67], v[68:69], 1.0
	v_rcp_f64_e32 v[74:75], v[70:71]
	s_delay_alu instid0(VALU_DEP_1) | instskip(NEXT) | instid1(TRANS32_DEP_1)
	v_fma_f64 v[68:69], v[72:73], v[68:69], v[68:69]
	v_fma_f64 v[72:73], -v[70:71], v[74:75], 1.0
	s_delay_alu instid0(VALU_DEP_2) | instskip(NEXT) | instid1(VALU_DEP_2)
	v_fma_f64 v[76:77], -v[66:67], v[68:69], 1.0
	v_fma_f64 v[72:73], v[72:73], v[74:75], v[74:75]
	v_add_f64_e32 v[74:75], -1.0, v[58:59]
	s_delay_alu instid0(VALU_DEP_3) | instskip(NEXT) | instid1(VALU_DEP_3)
	v_fma_f64 v[68:69], v[76:77], v[68:69], v[68:69]
	v_fma_f64 v[76:77], -v[70:71], v[72:73], 1.0
	s_delay_alu instid0(VALU_DEP_2) | instskip(NEXT) | instid1(VALU_DEP_2)
	v_mul_f64_e32 v[78:79], v[74:75], v[68:69]
	v_fma_f64 v[72:73], v[76:77], v[72:73], v[72:73]
	v_add_f64_e32 v[76:77], -1.0, v[66:67]
	s_delay_alu instid0(VALU_DEP_3) | instskip(NEXT) | instid1(VALU_DEP_3)
	v_mul_f64_e32 v[82:83], v[66:67], v[78:79]
	v_mul_f64_e32 v[84:85], v[80:81], v[72:73]
	s_delay_alu instid0(VALU_DEP_3) | instskip(SKIP_1) | instid1(VALU_DEP_4)
	v_add_f64_e64 v[58:59], v[58:59], -v[76:77]
	v_add_f64_e32 v[76:77], -1.0, v[70:71]
	v_fma_f64 v[66:67], v[78:79], v[66:67], -v[82:83]
	s_delay_alu instid0(VALU_DEP_4) | instskip(NEXT) | instid1(VALU_DEP_3)
	v_mul_f64_e32 v[86:87], v[70:71], v[84:85]
	v_add_f64_e64 v[64:65], v[64:65], -v[76:77]
	s_delay_alu instid0(VALU_DEP_3) | instskip(NEXT) | instid1(VALU_DEP_3)
	v_fma_f64 v[58:59], v[78:79], v[58:59], v[66:67]
	v_fma_f64 v[66:67], v[84:85], v[70:71], -v[86:87]
	s_delay_alu instid0(VALU_DEP_2) | instskip(NEXT) | instid1(VALU_DEP_2)
	v_add_f64_e32 v[70:71], v[82:83], v[58:59]
	v_fma_f64 v[64:65], v[84:85], v[64:65], v[66:67]
	s_delay_alu instid0(VALU_DEP_2) | instskip(SKIP_1) | instid1(VALU_DEP_3)
	v_add_f64_e64 v[66:67], v[74:75], -v[70:71]
	v_add_f64_e64 v[82:83], v[70:71], -v[82:83]
	v_add_f64_e32 v[76:77], v[86:87], v[64:65]
	s_delay_alu instid0(VALU_DEP_3) | instskip(NEXT) | instid1(VALU_DEP_3)
	v_add_f64_e64 v[74:75], v[74:75], -v[66:67]
	v_add_f64_e64 v[58:59], v[82:83], -v[58:59]
	s_delay_alu instid0(VALU_DEP_3) | instskip(NEXT) | instid1(VALU_DEP_3)
	v_add_f64_e64 v[88:89], v[80:81], -v[76:77]
	v_add_f64_e64 v[70:71], v[74:75], -v[70:71]
	;; [unrolled: 1-line block ×3, first 2 shown]
	s_delay_alu instid0(VALU_DEP_3) | instskip(NEXT) | instid1(VALU_DEP_3)
	v_add_f64_e64 v[80:81], v[80:81], -v[88:89]
	v_add_f64_e32 v[58:59], v[58:59], v[70:71]
	s_delay_alu instid0(VALU_DEP_3) | instskip(NEXT) | instid1(VALU_DEP_3)
	v_add_f64_e64 v[64:65], v[74:75], -v[64:65]
	v_add_f64_e64 v[70:71], v[80:81], -v[76:77]
	s_delay_alu instid0(VALU_DEP_3) | instskip(NEXT) | instid1(VALU_DEP_2)
	v_add_f64_e32 v[58:59], v[66:67], v[58:59]
	v_add_f64_e32 v[64:65], v[64:65], v[70:71]
	s_delay_alu instid0(VALU_DEP_2) | instskip(NEXT) | instid1(VALU_DEP_2)
	v_mul_f64_e32 v[58:59], v[68:69], v[58:59]
	v_add_f64_e32 v[64:65], v[88:89], v[64:65]
	s_delay_alu instid0(VALU_DEP_2) | instskip(NEXT) | instid1(VALU_DEP_2)
	v_add_f64_e32 v[66:67], v[78:79], v[58:59]
	v_mul_f64_e32 v[64:65], v[72:73], v[64:65]
	s_delay_alu instid0(VALU_DEP_2) | instskip(NEXT) | instid1(VALU_DEP_2)
	v_mul_f64_e32 v[68:69], v[66:67], v[66:67]
	v_add_f64_e32 v[70:71], v[84:85], v[64:65]
	s_delay_alu instid0(VALU_DEP_2) | instskip(SKIP_1) | instid1(VALU_DEP_3)
	v_fma_f64 v[72:73], v[68:69], s[42:43], s[40:41]
	v_mul_f64_e32 v[80:81], v[66:67], v[68:69]
	v_mul_f64_e32 v[74:75], v[70:71], v[70:71]
	s_delay_alu instid0(VALU_DEP_3) | instskip(NEXT) | instid1(VALU_DEP_2)
	v_fma_f64 v[72:73], v[68:69], v[72:73], s[44:45]
	v_fma_f64 v[76:77], v[74:75], s[42:43], s[40:41]
	s_delay_alu instid0(VALU_DEP_2) | instskip(NEXT) | instid1(VALU_DEP_2)
	v_fma_f64 v[72:73], v[68:69], v[72:73], s[50:51]
	v_fma_f64 v[76:77], v[74:75], v[76:77], s[44:45]
	s_delay_alu instid0(VALU_DEP_2) | instskip(NEXT) | instid1(VALU_DEP_2)
	;; [unrolled: 3-line block ×4, first 2 shown]
	v_fma_f64 v[68:69], v[68:69], v[72:73], s[56:57]
	v_fma_f64 v[72:73], v[74:75], v[76:77], s[52:53]
	v_ldexp_f64 v[76:77], v[66:67], 1
	v_add_f64_e64 v[66:67], v[66:67], -v[78:79]
	v_ldexp_f64 v[78:79], v[70:71], 1
	v_mul_f64_e32 v[68:69], v[80:81], v[68:69]
	v_mul_f64_e32 v[80:81], v[70:71], v[74:75]
	v_add_f64_e64 v[70:71], v[70:71], -v[84:85]
	v_fma_f64 v[72:73], v[74:75], v[72:73], s[56:57]
	v_add_f64_e64 v[58:59], v[58:59], -v[66:67]
	v_add_f64_e32 v[74:75], v[76:77], v[68:69]
	s_delay_alu instid0(VALU_DEP_4) | instskip(NEXT) | instid1(VALU_DEP_4)
	v_add_f64_e64 v[64:65], v[64:65], -v[70:71]
	v_mul_f64_e32 v[72:73], v[80:81], v[72:73]
	s_delay_alu instid0(VALU_DEP_4) | instskip(NEXT) | instid1(VALU_DEP_4)
	v_ldexp_f64 v[58:59], v[58:59], 1
	v_add_f64_e64 v[66:67], v[74:75], -v[76:77]
	s_delay_alu instid0(VALU_DEP_4) | instskip(NEXT) | instid1(VALU_DEP_4)
	v_ldexp_f64 v[64:65], v[64:65], 1
	v_add_f64_e32 v[76:77], v[78:79], v[72:73]
	s_delay_alu instid0(VALU_DEP_3) | instskip(NEXT) | instid1(VALU_DEP_2)
	v_add_f64_e64 v[66:67], v[68:69], -v[66:67]
	v_add_f64_e64 v[68:69], v[76:77], -v[78:79]
	s_delay_alu instid0(VALU_DEP_2) | instskip(NEXT) | instid1(VALU_DEP_2)
	v_add_f64_e32 v[58:59], v[58:59], v[66:67]
	v_add_f64_e64 v[66:67], v[72:73], -v[68:69]
	s_delay_alu instid0(VALU_DEP_2) | instskip(NEXT) | instid1(VALU_DEP_2)
	v_add_f64_e32 v[68:69], v[74:75], v[58:59]
	v_add_f64_e32 v[64:65], v[64:65], v[66:67]
	v_cvt_f64_i32_e32 v[66:67], v0
	v_subrev_co_ci_u32_e64 v0, null, 0, v49, s0
	s_delay_alu instid0(VALU_DEP_1) | instskip(SKIP_4) | instid1(VALU_DEP_4)
	v_cvt_f64_i32_e32 v[80:81], v0
	v_add_f64_e64 v[70:71], v[68:69], -v[74:75]
	v_mul_f64_e32 v[72:73], s[30:31], v[68:69]
	v_add_f64_e32 v[74:75], v[76:77], v[64:65]
	v_mul_f64_e32 v[78:79], s[48:49], v[66:67]
	v_add_f64_e64 v[58:59], v[58:59], -v[70:71]
	s_delay_alu instid0(VALU_DEP_4) | instskip(NEXT) | instid1(VALU_DEP_4)
	v_fma_f64 v[70:71], v[68:69], s[30:31], -v[72:73]
	v_add_f64_e64 v[76:77], v[74:75], -v[76:77]
	v_mul_f64_e32 v[82:83], s[30:31], v[74:75]
	v_fma_f64 v[84:85], v[66:67], s[48:49], -v[78:79]
	s_delay_alu instid0(VALU_DEP_4)
	v_fma_f64 v[58:59], v[58:59], s[30:31], v[70:71]
	v_mul_f64_e32 v[70:71], s[48:49], v[80:81]
	v_add_f64_e64 v[64:65], v[64:65], -v[76:77]
	v_fma_f64 v[76:77], v[74:75], s[30:31], -v[82:83]
	v_fma_f64 v[66:67], v[66:67], s[58:59], v[84:85]
	v_fma_f64 v[58:59], v[68:69], s[60:61], v[58:59]
	v_fma_f64 v[68:69], v[80:81], s[48:49], -v[70:71]
	s_delay_alu instid0(VALU_DEP_4) | instskip(NEXT) | instid1(VALU_DEP_4)
	v_fma_f64 v[64:65], v[64:65], s[30:31], v[76:77]
	v_add_f64_e32 v[76:77], v[78:79], v[66:67]
	s_delay_alu instid0(VALU_DEP_4) | instskip(NEXT) | instid1(VALU_DEP_4)
	v_add_f64_e32 v[84:85], v[72:73], v[58:59]
	v_fma_f64 v[68:69], v[80:81], s[58:59], v[68:69]
	s_delay_alu instid0(VALU_DEP_4) | instskip(NEXT) | instid1(VALU_DEP_4)
	v_fma_f64 v[64:65], v[74:75], s[60:61], v[64:65]
	v_add_f64_e64 v[78:79], v[76:77], -v[78:79]
	s_delay_alu instid0(VALU_DEP_4) | instskip(NEXT) | instid1(VALU_DEP_4)
	v_add_f64_e32 v[74:75], v[76:77], v[84:85]
	v_add_f64_e32 v[80:81], v[70:71], v[68:69]
	v_add_f64_e64 v[72:73], v[84:85], -v[72:73]
	v_add_f64_e32 v[86:87], v[82:83], v[64:65]
	v_add_f64_e64 v[66:67], v[66:67], -v[78:79]
	v_add_f64_e64 v[88:89], v[74:75], -v[76:77]
	;; [unrolled: 1-line block ×4, first 2 shown]
	v_add_f64_e32 v[90:91], v[80:81], v[86:87]
	s_delay_alu instid0(VALU_DEP_4) | instskip(SKIP_1) | instid1(VALU_DEP_4)
	v_add_f64_e64 v[78:79], v[74:75], -v[88:89]
	v_add_f64_e64 v[84:85], v[84:85], -v[88:89]
	v_add_f64_e32 v[88:89], v[66:67], v[58:59]
	v_add_f64_e64 v[68:69], v[68:69], -v[70:71]
	v_add_f64_e64 v[72:73], v[90:91], -v[80:81]
	;; [unrolled: 1-line block ×4, first 2 shown]
	s_delay_alu instid0(VALU_DEP_3) | instskip(SKIP_1) | instid1(VALU_DEP_4)
	v_add_f64_e64 v[82:83], v[90:91], -v[72:73]
	v_add_f64_e64 v[70:71], v[86:87], -v[72:73]
	v_add_f64_e32 v[76:77], v[84:85], v[76:77]
	s_delay_alu instid0(VALU_DEP_4) | instskip(SKIP_2) | instid1(VALU_DEP_4)
	v_add_f64_e64 v[64:65], v[64:65], -v[78:79]
	v_add_f64_e64 v[78:79], v[88:89], -v[66:67]
	;; [unrolled: 1-line block ×3, first 2 shown]
	v_add_f64_e32 v[76:77], v[88:89], v[76:77]
	s_delay_alu instid0(VALU_DEP_4) | instskip(NEXT) | instid1(VALU_DEP_4)
	v_add_f64_e32 v[80:81], v[68:69], v[64:65]
	v_add_f64_e64 v[58:59], v[58:59], -v[78:79]
	s_delay_alu instid0(VALU_DEP_4) | instskip(SKIP_3) | instid1(VALU_DEP_4)
	v_add_f64_e32 v[70:71], v[70:71], v[72:73]
	v_add_f64_e64 v[72:73], v[88:89], -v[78:79]
	v_add_f64_e32 v[82:83], v[74:75], v[76:77]
	v_add_f64_e64 v[84:85], v[80:81], -v[68:69]
	v_add_f64_e32 v[70:71], v[80:81], v[70:71]
	s_delay_alu instid0(VALU_DEP_4) | instskip(NEXT) | instid1(VALU_DEP_4)
	v_add_f64_e64 v[66:67], v[66:67], -v[72:73]
	v_add_f64_e64 v[72:73], v[82:83], -v[74:75]
	s_delay_alu instid0(VALU_DEP_4)
	v_add_f64_e64 v[74:75], v[80:81], -v[84:85]
	v_add_f64_e64 v[64:65], v[64:65], -v[84:85]
	v_add_f64_e32 v[78:79], v[90:91], v[70:71]
	v_add_f64_e32 v[58:59], v[58:59], v[66:67]
	v_add_f64_e64 v[66:67], v[76:77], -v[72:73]
	v_add_f64_e64 v[68:69], v[68:69], -v[74:75]
	s_delay_alu instid0(VALU_DEP_4) | instskip(NEXT) | instid1(VALU_DEP_3)
	v_add_f64_e64 v[72:73], v[78:79], -v[90:91]
	v_add_f64_e32 v[58:59], v[58:59], v[66:67]
	s_delay_alu instid0(VALU_DEP_3) | instskip(NEXT) | instid1(VALU_DEP_3)
	v_add_f64_e32 v[64:65], v[64:65], v[68:69]
	v_add_f64_e64 v[66:67], v[70:71], -v[72:73]
	s_delay_alu instid0(VALU_DEP_3) | instskip(NEXT) | instid1(VALU_DEP_2)
	v_add_f64_e32 v[58:59], v[82:83], v[58:59]
	v_add_f64_e32 v[46:47], v[64:65], v[66:67]
	v_rcp_f64_e32 v[66:67], v[62:63]
	s_wait_alu 0xfffd
	s_delay_alu instid0(VALU_DEP_2) | instskip(NEXT) | instid1(VALU_DEP_3)
	v_cndmask_b32_e32 v59, 0x7ff00000, v59, vcc_lo
	v_cndmask_b32_e32 v58, 0, v58, vcc_lo
	v_cmp_neq_f64_e32 vcc_lo, 0x7ff00000, v[60:61]
	s_delay_alu instid0(VALU_DEP_2) | instskip(SKIP_2) | instid1(TRANS32_DEP_1)
	v_fma_f64 v[60:61], v[58:59], s[72:73], s[64:65]
	v_fma_f64 v[64:65], v[58:59], s[76:77], 0x3fe80000
	v_add_f64_e32 v[46:47], v[78:79], v[46:47]
	v_fma_f64 v[70:71], -v[62:63], v[66:67], 1.0
	s_wait_alu 0xfffd
	s_delay_alu instid0(VALU_DEP_2) | instskip(NEXT) | instid1(VALU_DEP_3)
	v_cndmask_b32_e32 v47, 0x7ff00000, v47, vcc_lo
	v_cndmask_b32_e32 v46, 0, v46, vcc_lo
	v_div_scale_f64 v[74:75], vcc_lo, 1.0, v[54:55], 1.0
	s_delay_alu instid0(VALU_DEP_4) | instskip(NEXT) | instid1(VALU_DEP_3)
	v_fma_f64 v[66:67], v[66:67], v[70:71], v[66:67]
	v_add_f64_e64 v[46:47], v[46:47], -v[60:61]
	s_delay_alu instid0(VALU_DEP_2) | instskip(NEXT) | instid1(VALU_DEP_2)
	v_fma_f64 v[70:71], -v[62:63], v[66:67], 1.0
	v_fma_f64 v[60:61], v[46:47], s[78:79], v[64:65]
	s_delay_alu instid0(VALU_DEP_2) | instskip(NEXT) | instid1(VALU_DEP_2)
	v_fma_f64 v[66:67], v[66:67], v[70:71], v[66:67]
	v_div_scale_f64 v[64:65], null, v[60:61], v[60:61], 1.0
	v_div_scale_f64 v[70:71], s0, 1.0, v[60:61], 1.0
	s_delay_alu instid0(VALU_DEP_2) | instskip(NEXT) | instid1(TRANS32_DEP_1)
	v_rcp_f64_e32 v[68:69], v[64:65]
	v_fma_f64 v[72:73], -v[64:65], v[68:69], 1.0
	s_delay_alu instid0(VALU_DEP_1) | instskip(NEXT) | instid1(VALU_DEP_1)
	v_fma_f64 v[68:69], v[68:69], v[72:73], v[68:69]
	v_fma_f64 v[72:73], -v[64:65], v[68:69], 1.0
	s_delay_alu instid0(VALU_DEP_1) | instskip(SKIP_1) | instid1(VALU_DEP_2)
	v_fma_f64 v[68:69], v[68:69], v[72:73], v[68:69]
	v_mul_f64_e32 v[72:73], v[74:75], v[66:67]
	v_mul_f64_e32 v[76:77], v[70:71], v[68:69]
	s_delay_alu instid0(VALU_DEP_2) | instskip(NEXT) | instid1(VALU_DEP_2)
	v_fma_f64 v[62:63], -v[62:63], v[72:73], v[74:75]
	v_fma_f64 v[64:65], -v[64:65], v[76:77], v[70:71]
	s_wait_alu 0xfffd
	s_delay_alu instid0(VALU_DEP_2) | instskip(SKIP_2) | instid1(VALU_DEP_2)
	v_div_fmas_f64 v[62:63], v[62:63], v[66:67], v[72:73]
	s_mov_b32 vcc_lo, s0
	s_wait_alu 0xfffe
	v_div_fmas_f64 v[64:65], v[64:65], v[68:69], v[76:77]
	s_delay_alu instid0(VALU_DEP_2) | instskip(NEXT) | instid1(VALU_DEP_2)
	v_div_fixup_f64 v[54:55], v[62:63], v[54:55], 1.0
	v_div_fixup_f64 v[60:61], v[64:65], v[60:61], 1.0
	s_delay_alu instid0(VALU_DEP_1) | instskip(NEXT) | instid1(VALU_DEP_1)
	v_mul_f64_e32 v[46:47], v[46:47], v[60:61]
	v_fma_f64 v[46:47], v[46:47], v[46:47], 1.0
	s_delay_alu instid0(VALU_DEP_1) | instskip(SKIP_1) | instid1(VALU_DEP_2)
	v_div_scale_f64 v[60:61], null, v[46:47], v[46:47], 1.0
	v_div_scale_f64 v[68:69], vcc_lo, 1.0, v[46:47], 1.0
	v_rcp_f64_e32 v[64:65], v[60:61]
	s_delay_alu instid0(TRANS32_DEP_1) | instskip(NEXT) | instid1(VALU_DEP_1)
	v_fma_f64 v[66:67], -v[60:61], v[64:65], 1.0
	v_fma_f64 v[64:65], v[64:65], v[66:67], v[64:65]
	s_delay_alu instid0(VALU_DEP_1) | instskip(NEXT) | instid1(VALU_DEP_1)
	v_fma_f64 v[66:67], -v[60:61], v[64:65], 1.0
	v_fma_f64 v[64:65], v[64:65], v[66:67], v[64:65]
	s_delay_alu instid0(VALU_DEP_1) | instskip(NEXT) | instid1(VALU_DEP_1)
	v_mul_f64_e32 v[66:67], v[68:69], v[64:65]
	v_fma_f64 v[60:61], -v[60:61], v[66:67], v[68:69]
	s_wait_alu 0xfffd
	s_delay_alu instid0(VALU_DEP_1) | instskip(NEXT) | instid1(VALU_DEP_1)
	v_div_fmas_f64 v[60:61], v[60:61], v[64:65], v[66:67]
	v_div_fixup_f64 v[46:47], v[60:61], v[46:47], 1.0
	s_delay_alu instid0(VALU_DEP_1) | instskip(NEXT) | instid1(VALU_DEP_1)
	v_mul_f64_e32 v[46:47], v[58:59], v[46:47]
	v_mul_f64_e32 v[58:59], s[62:63], v[46:47]
	v_cmp_nlt_f64_e32 vcc_lo, 0x40900000, v[46:47]
	v_cmp_ngt_f64_e64 s0, 0xc090cc00, v[46:47]
	s_delay_alu instid0(VALU_DEP_3) | instskip(NEXT) | instid1(VALU_DEP_1)
	v_rndne_f64_e32 v[58:59], v[58:59]
	v_fma_f64 v[60:61], v[58:59], s[68:69], v[46:47]
	v_cvt_i32_f64_e32 v0, v[58:59]
	v_mul_f64_e32 v[46:47], v[56:57], v[54:55]
	s_delay_alu instid0(VALU_DEP_3) | instskip(NEXT) | instid1(VALU_DEP_1)
	v_fma_f64 v[60:61], v[58:59], s[66:67], v[60:61]
	v_mul_f64_e32 v[64:65], s[70:71], v[60:61]
	s_delay_alu instid0(VALU_DEP_1) | instskip(NEXT) | instid1(VALU_DEP_1)
	v_fma_f64 v[60:61], v[60:61], s[74:75], v[64:65]
	v_fma_f64 v[64:65], v[60:61], s[6:7], s[4:5]
	s_delay_alu instid0(VALU_DEP_1) | instskip(NEXT) | instid1(VALU_DEP_1)
	v_fma_f64 v[64:65], v[60:61], v[64:65], s[14:15]
	v_fma_f64 v[64:65], v[60:61], v[64:65], s[18:19]
	;; [unrolled: 3-line block ×5, first 2 shown]
	s_delay_alu instid0(VALU_DEP_1) | instskip(NEXT) | instid1(VALU_DEP_1)
	v_fma_f64 v[64:65], v[60:61], v[64:65], 1.0
	v_fma_f64 v[58:59], v[60:61], v[64:65], 1.0
	s_delay_alu instid0(VALU_DEP_1) | instskip(SKIP_1) | instid1(VALU_DEP_1)
	v_ldexp_f64 v[58:59], v[58:59], v0
	s_wait_alu 0xfffd
	v_cndmask_b32_e32 v0, 0x7ff00000, v59, vcc_lo
	s_and_b32 vcc_lo, s0, vcc_lo
	s_wait_alu 0xfffe
	s_delay_alu instid0(VALU_DEP_2) | instskip(NEXT) | instid1(VALU_DEP_2)
	v_cndmask_b32_e32 v54, 0, v58, vcc_lo
	v_cndmask_b32_e64 v55, 0, v0, s0
	s_mov_b32 s0, 0xdca01dca
	s_mov_b32 s1, 0xbf6dca01
	v_lshl_add_u32 v0, s33, 3, v48
	s_delay_alu instid0(VALU_DEP_2)
	v_mul_f64_e32 v[46:47], v[46:47], v[54:55]
	s_wait_alu 0xfffe
	v_mul_f64_e32 v[54:55], s[0:1], v[8:9]
	s_mov_b32 s0, 0xfbd2e5b1
	s_mov_b32 s1, 0xbf4aba41
	v_lshlrev_b64_e32 v[48:49], 3, v[0:1]
	s_wait_alu 0xfffe
	v_mul_f64_e32 v[56:57], s[0:1], v[8:9]
	s_mov_b32 s0, 0xa0902de0
	s_mov_b32 s1, 0x3fda31f8
	s_delay_alu instid0(VALU_DEP_4) | instskip(NEXT) | instid1(VALU_DEP_4)
	v_mul_f64_e32 v[58:59], v[52:53], v[46:47]
	v_mul_f64_e32 v[60:61], s[34:35], v[54:55]
	v_add_co_u32 v52, vcc_lo, s8, v48
	s_wait_alu 0xfffd
	v_add_co_ci_u32_e64 v53, null, s9, v49, vcc_lo
	v_mul_f64_e32 v[62:63], s[34:35], v[56:57]
	v_add_co_u32 v42, vcc_lo, s12, v42
	s_wait_alu 0xfffd
	v_add_co_ci_u32_e64 v43, null, s13, v43, vcc_lo
	global_load_b64 v[42:43], v[42:43], off
	global_store_b64 v[50:51], v[58:59], off
	global_load_b64 v[50:51], v[52:53], off
	v_rndne_f64_e32 v[58:59], v[60:61]
	v_mul_f64_e32 v[60:61], 0xc0b44100, v[18:19]
	v_rndne_f64_e32 v[62:63], v[62:63]
	s_delay_alu instid0(VALU_DEP_3) | instskip(NEXT) | instid1(VALU_DEP_3)
	v_fma_f64 v[64:65], v[58:59], s[36:37], v[54:55]
	v_mul_f64_e32 v[66:67], s[34:35], v[60:61]
	v_cvt_i32_f64_e32 v84, v[58:59]
	s_delay_alu instid0(VALU_DEP_4) | instskip(NEXT) | instid1(VALU_DEP_4)
	v_fma_f64 v[68:69], v[62:63], s[36:37], v[56:57]
	v_fma_f64 v[64:65], v[58:59], s[38:39], v[64:65]
	s_delay_alu instid0(VALU_DEP_4) | instskip(NEXT) | instid1(VALU_DEP_3)
	v_rndne_f64_e32 v[66:67], v[66:67]
	v_fma_f64 v[68:69], v[62:63], s[38:39], v[68:69]
	s_delay_alu instid0(VALU_DEP_3) | instskip(NEXT) | instid1(VALU_DEP_3)
	v_fma_f64 v[70:71], v[64:65], s[6:7], s[4:5]
	v_fma_f64 v[72:73], v[66:67], s[36:37], v[60:61]
	s_delay_alu instid0(VALU_DEP_3) | instskip(NEXT) | instid1(VALU_DEP_3)
	v_fma_f64 v[74:75], v[68:69], s[6:7], s[4:5]
	;; [unrolled: 3-line block ×9, first 2 shown]
	v_fma_f64 v[74:75], v[68:69], v[74:75], s[28:29]
	s_wait_loadcnt 0x0
	v_div_scale_f64 v[78:79], null, v[50:51], v[50:51], 1.0
	s_delay_alu instid0(VALU_DEP_4) | instskip(NEXT) | instid1(VALU_DEP_4)
	v_fma_f64 v[70:71], v[64:65], v[70:71], s[16:17]
	v_fma_f64 v[76:77], v[72:73], v[76:77], s[26:27]
	s_delay_alu instid0(VALU_DEP_4) | instskip(NEXT) | instid1(VALU_DEP_4)
	v_fma_f64 v[74:75], v[68:69], v[74:75], s[16:17]
	v_rcp_f64_e32 v[80:81], v[78:79]
	s_delay_alu instid0(VALU_DEP_3) | instskip(NEXT) | instid1(VALU_DEP_3)
	v_fma_f64 v[70:71], v[64:65], v[70:71], s[20:21]
	v_fma_f64 v[76:77], v[72:73], v[76:77], s[28:29]
	s_delay_alu instid0(VALU_DEP_3) | instskip(NEXT) | instid1(TRANS32_DEP_1)
	v_fma_f64 v[74:75], v[68:69], v[74:75], s[20:21]
	v_fma_f64 v[82:83], -v[78:79], v[80:81], 1.0
	s_delay_alu instid0(VALU_DEP_4) | instskip(NEXT) | instid1(VALU_DEP_4)
	v_fma_f64 v[70:71], v[64:65], v[70:71], s[24:25]
	v_fma_f64 v[76:77], v[72:73], v[76:77], s[16:17]
	s_delay_alu instid0(VALU_DEP_4) | instskip(NEXT) | instid1(VALU_DEP_4)
	v_fma_f64 v[74:75], v[68:69], v[74:75], s[24:25]
	v_fma_f64 v[80:81], v[80:81], v[82:83], v[80:81]
	s_delay_alu instid0(VALU_DEP_4) | instskip(NEXT) | instid1(VALU_DEP_4)
	v_fma_f64 v[70:71], v[64:65], v[70:71], 1.0
	v_fma_f64 v[76:77], v[72:73], v[76:77], s[20:21]
	s_delay_alu instid0(VALU_DEP_4) | instskip(NEXT) | instid1(VALU_DEP_4)
	v_fma_f64 v[74:75], v[68:69], v[74:75], 1.0
	v_fma_f64 v[82:83], -v[78:79], v[80:81], 1.0
	s_delay_alu instid0(VALU_DEP_4) | instskip(NEXT) | instid1(VALU_DEP_4)
	v_fma_f64 v[58:59], v[64:65], v[70:71], 1.0
	v_fma_f64 v[64:65], v[72:73], v[76:77], s[24:25]
	v_cvt_i32_f64_e32 v76, v[62:63]
	v_fma_f64 v[62:63], v[68:69], v[74:75], 1.0
	v_div_scale_f64 v[68:69], vcc_lo, 1.0, v[50:51], 1.0
	v_fma_f64 v[70:71], v[80:81], v[82:83], v[80:81]
	v_ldexp_f64 v[58:59], v[58:59], v84
	v_fma_f64 v[64:65], v[72:73], v[64:65], 1.0
	v_ldexp_f64 v[62:63], v[62:63], v76
	v_cvt_i32_f64_e32 v76, v[66:67]
	v_mul_f64_e32 v[74:75], v[68:69], v[70:71]
	s_wait_alu 0xfffe
	v_mul_f64_e32 v[58:59], s[0:1], v[58:59]
	v_cmp_nlt_f64_e64 s0, 0x40900000, v[54:55]
	v_cmp_ngt_f64_e64 s1, 0xc090cc00, v[54:55]
	v_fma_f64 v[64:65], v[72:73], v[64:65], 1.0
	v_mul_f64_e32 v[62:63], s[2:3], v[62:63]
	v_cmp_nlt_f64_e64 s2, 0x40900000, v[56:57]
	v_cmp_ngt_f64_e64 s3, 0xc090cc00, v[56:57]
	v_fma_f64 v[66:67], -v[78:79], v[74:75], v[68:69]
	s_wait_alu 0xf1ff
	v_cndmask_b32_e64 v59, 0x7ff00000, v59, s0
	v_ldexp_f64 v[54:55], v[64:65], v76
	v_cndmask_b32_e64 v63, 0x7ff00000, v63, s2
	s_delay_alu instid0(VALU_DEP_3) | instskip(NEXT) | instid1(VALU_DEP_2)
	v_cndmask_b32_e64 v59, 0, v59, s1
	v_cndmask_b32_e64 v63, 0, v63, s3
	s_wait_alu 0xfffd
	v_div_fmas_f64 v[56:57], v[66:67], v[70:71], v[74:75]
	s_and_b32 vcc_lo, s1, s0
	v_cmp_ngt_f64_e64 s0, 0xc090cc00, v[60:61]
	s_wait_alu 0xfffe
	v_cndmask_b32_e32 v58, 0, v58, vcc_lo
	v_cmp_nlt_f64_e32 vcc_lo, 0x40900000, v[60:61]
	s_and_b32 s1, s3, s2
	s_mov_b32 s2, 0x6c53a1d5
	s_wait_alu 0xfffe
	v_cndmask_b32_e64 v62, 0, v62, s1
	s_mov_b32 s3, 0xbf45129a
	s_delay_alu instid0(VALU_DEP_1)
	v_add_f64_e32 v[58:59], v[58:59], v[62:63]
	s_wait_alu 0xfffd
	v_cndmask_b32_e32 v64, 0x7ff00000, v55, vcc_lo
	v_div_fixup_f64 v[55:56], v[56:57], v[50:51], 1.0
	s_and_b32 vcc_lo, s0, vcc_lo
	s_wait_alu 0xfffe
	v_cndmask_b32_e32 v60, 0, v54, vcc_lo
	v_cndmask_b32_e64 v61, 0, v64, s0
	s_delay_alu instid0(VALU_DEP_1) | instskip(NEXT) | instid1(VALU_DEP_4)
	v_add_f64_e32 v[57:58], v[60:61], v[58:59]
	v_mul_f64_e32 v[54:55], v[6:7], v[55:56]
	s_delay_alu instid0(VALU_DEP_2) | instskip(NEXT) | instid1(VALU_DEP_2)
	v_max_num_f64_e32 v[56:57], 0x38100000, v[57:58]
	v_mul_f64_e32 v[58:59], v[42:43], v[54:55]
	v_fma_f64 v[42:43], v[42:43], v[54:55], 1.0
	s_delay_alu instid0(VALU_DEP_3) | instskip(NEXT) | instid1(VALU_DEP_3)
	v_frexp_mant_f64_e32 v[60:61], v[56:57]
	v_max_num_f64_e32 v[62:63], 0x38100000, v[58:59]
	s_delay_alu instid0(VALU_DEP_2) | instskip(NEXT) | instid1(VALU_DEP_2)
	v_cmp_gt_f64_e32 vcc_lo, s[46:47], v[60:61]
	v_frexp_mant_f64_e32 v[64:65], v[62:63]
	s_wait_alu 0xfffd
	v_cndmask_b32_e64 v66, 0, 1, vcc_lo
	s_delay_alu instid0(VALU_DEP_1) | instskip(NEXT) | instid1(VALU_DEP_3)
	v_ldexp_f64 v[60:61], v[60:61], v66
	v_cmp_gt_f64_e64 s0, s[46:47], v[64:65]
	s_delay_alu instid0(VALU_DEP_2) | instskip(SKIP_1) | instid1(VALU_DEP_2)
	v_add_f64_e32 v[66:67], 1.0, v[60:61]
	s_wait_alu 0xf1ff
	v_cndmask_b32_e64 v68, 0, 1, s0
	s_delay_alu instid0(VALU_DEP_1) | instskip(NEXT) | instid1(VALU_DEP_3)
	v_ldexp_f64 v[64:65], v[64:65], v68
	v_rcp_f64_e32 v[68:69], v[66:67]
	s_delay_alu instid0(VALU_DEP_1) | instskip(SKIP_1) | instid1(TRANS32_DEP_1)
	v_add_f64_e32 v[70:71], 1.0, v[64:65]
	v_add_f64_e32 v[80:81], -1.0, v[64:65]
	v_fma_f64 v[72:73], -v[66:67], v[68:69], 1.0
	s_delay_alu instid0(VALU_DEP_3) | instskip(NEXT) | instid1(VALU_DEP_1)
	v_rcp_f64_e32 v[74:75], v[70:71]
	v_fma_f64 v[68:69], v[72:73], v[68:69], v[68:69]
	s_delay_alu instid0(TRANS32_DEP_1) | instskip(NEXT) | instid1(VALU_DEP_2)
	v_fma_f64 v[72:73], -v[70:71], v[74:75], 1.0
	v_fma_f64 v[76:77], -v[66:67], v[68:69], 1.0
	s_delay_alu instid0(VALU_DEP_2) | instskip(SKIP_1) | instid1(VALU_DEP_3)
	v_fma_f64 v[72:73], v[72:73], v[74:75], v[74:75]
	v_add_f64_e32 v[74:75], -1.0, v[60:61]
	v_fma_f64 v[68:69], v[76:77], v[68:69], v[68:69]
	s_delay_alu instid0(VALU_DEP_3) | instskip(NEXT) | instid1(VALU_DEP_2)
	v_fma_f64 v[76:77], -v[70:71], v[72:73], 1.0
	v_mul_f64_e32 v[78:79], v[74:75], v[68:69]
	s_delay_alu instid0(VALU_DEP_2) | instskip(SKIP_1) | instid1(VALU_DEP_3)
	v_fma_f64 v[72:73], v[76:77], v[72:73], v[72:73]
	v_add_f64_e32 v[76:77], -1.0, v[66:67]
	v_mul_f64_e32 v[82:83], v[66:67], v[78:79]
	s_delay_alu instid0(VALU_DEP_3) | instskip(NEXT) | instid1(VALU_DEP_3)
	v_mul_f64_e32 v[84:85], v[80:81], v[72:73]
	v_add_f64_e64 v[60:61], v[60:61], -v[76:77]
	v_add_f64_e32 v[76:77], -1.0, v[70:71]
	s_delay_alu instid0(VALU_DEP_4) | instskip(NEXT) | instid1(VALU_DEP_4)
	v_fma_f64 v[66:67], v[78:79], v[66:67], -v[82:83]
	v_mul_f64_e32 v[86:87], v[70:71], v[84:85]
	s_delay_alu instid0(VALU_DEP_3) | instskip(NEXT) | instid1(VALU_DEP_3)
	v_add_f64_e64 v[64:65], v[64:65], -v[76:77]
	v_fma_f64 v[60:61], v[78:79], v[60:61], v[66:67]
	s_delay_alu instid0(VALU_DEP_3) | instskip(NEXT) | instid1(VALU_DEP_2)
	v_fma_f64 v[66:67], v[84:85], v[70:71], -v[86:87]
	v_add_f64_e32 v[70:71], v[82:83], v[60:61]
	s_delay_alu instid0(VALU_DEP_2) | instskip(NEXT) | instid1(VALU_DEP_2)
	v_fma_f64 v[64:65], v[84:85], v[64:65], v[66:67]
	v_add_f64_e64 v[66:67], v[74:75], -v[70:71]
	v_add_f64_e64 v[82:83], v[70:71], -v[82:83]
	s_delay_alu instid0(VALU_DEP_3) | instskip(NEXT) | instid1(VALU_DEP_3)
	v_add_f64_e32 v[76:77], v[86:87], v[64:65]
	v_add_f64_e64 v[74:75], v[74:75], -v[66:67]
	s_delay_alu instid0(VALU_DEP_3) | instskip(NEXT) | instid1(VALU_DEP_3)
	v_add_f64_e64 v[60:61], v[82:83], -v[60:61]
	v_add_f64_e64 v[88:89], v[80:81], -v[76:77]
	s_delay_alu instid0(VALU_DEP_3) | instskip(SKIP_1) | instid1(VALU_DEP_3)
	v_add_f64_e64 v[70:71], v[74:75], -v[70:71]
	v_add_f64_e64 v[74:75], v[76:77], -v[86:87]
	;; [unrolled: 1-line block ×3, first 2 shown]
	s_delay_alu instid0(VALU_DEP_3) | instskip(NEXT) | instid1(VALU_DEP_3)
	v_add_f64_e32 v[60:61], v[60:61], v[70:71]
	v_add_f64_e64 v[64:65], v[74:75], -v[64:65]
	s_delay_alu instid0(VALU_DEP_3) | instskip(NEXT) | instid1(VALU_DEP_3)
	v_add_f64_e64 v[70:71], v[80:81], -v[76:77]
	v_add_f64_e32 v[60:61], v[66:67], v[60:61]
	s_delay_alu instid0(VALU_DEP_2) | instskip(NEXT) | instid1(VALU_DEP_2)
	v_add_f64_e32 v[64:65], v[64:65], v[70:71]
	v_mul_f64_e32 v[60:61], v[68:69], v[60:61]
	s_delay_alu instid0(VALU_DEP_2) | instskip(NEXT) | instid1(VALU_DEP_2)
	v_add_f64_e32 v[64:65], v[88:89], v[64:65]
	v_add_f64_e32 v[66:67], v[78:79], v[60:61]
	s_delay_alu instid0(VALU_DEP_2) | instskip(NEXT) | instid1(VALU_DEP_2)
	v_mul_f64_e32 v[64:65], v[72:73], v[64:65]
	v_mul_f64_e32 v[68:69], v[66:67], v[66:67]
	s_delay_alu instid0(VALU_DEP_2) | instskip(NEXT) | instid1(VALU_DEP_2)
	v_add_f64_e32 v[70:71], v[84:85], v[64:65]
	v_fma_f64 v[72:73], v[68:69], s[42:43], s[40:41]
	v_mul_f64_e32 v[80:81], v[66:67], v[68:69]
	s_delay_alu instid0(VALU_DEP_3) | instskip(NEXT) | instid1(VALU_DEP_3)
	v_mul_f64_e32 v[74:75], v[70:71], v[70:71]
	v_fma_f64 v[72:73], v[68:69], v[72:73], s[44:45]
	s_delay_alu instid0(VALU_DEP_2) | instskip(NEXT) | instid1(VALU_DEP_2)
	v_fma_f64 v[76:77], v[74:75], s[42:43], s[40:41]
	v_fma_f64 v[72:73], v[68:69], v[72:73], s[50:51]
	s_delay_alu instid0(VALU_DEP_2) | instskip(NEXT) | instid1(VALU_DEP_2)
	v_fma_f64 v[76:77], v[74:75], v[76:77], s[44:45]
	;; [unrolled: 3-line block ×4, first 2 shown]
	v_fma_f64 v[68:69], v[68:69], v[72:73], s[56:57]
	s_delay_alu instid0(VALU_DEP_2)
	v_fma_f64 v[72:73], v[74:75], v[76:77], s[52:53]
	v_ldexp_f64 v[76:77], v[66:67], 1
	v_add_f64_e64 v[66:67], v[66:67], -v[78:79]
	v_ldexp_f64 v[78:79], v[70:71], 1
	v_mul_f64_e32 v[68:69], v[80:81], v[68:69]
	v_mul_f64_e32 v[80:81], v[70:71], v[74:75]
	v_add_f64_e64 v[70:71], v[70:71], -v[84:85]
	v_fma_f64 v[72:73], v[74:75], v[72:73], s[56:57]
	v_add_f64_e64 v[60:61], v[60:61], -v[66:67]
	v_add_f64_e32 v[74:75], v[76:77], v[68:69]
	s_delay_alu instid0(VALU_DEP_4)
	v_add_f64_e64 v[64:65], v[64:65], -v[70:71]
	v_frexp_exp_i32_f64_e32 v70, v[56:57]
	v_mul_f64_e32 v[72:73], v[80:81], v[72:73]
	v_ldexp_f64 v[60:61], v[60:61], 1
	v_add_f64_e64 v[66:67], v[74:75], -v[76:77]
	v_ldexp_f64 v[64:65], v[64:65], 1
	s_delay_alu instid0(VALU_DEP_4) | instskip(NEXT) | instid1(VALU_DEP_3)
	v_add_f64_e32 v[76:77], v[78:79], v[72:73]
	v_add_f64_e64 v[66:67], v[68:69], -v[66:67]
	s_delay_alu instid0(VALU_DEP_2) | instskip(SKIP_1) | instid1(VALU_DEP_3)
	v_add_f64_e64 v[68:69], v[76:77], -v[78:79]
	v_frexp_exp_i32_f64_e32 v78, v[62:63]
	v_add_f64_e32 v[60:61], v[60:61], v[66:67]
	s_delay_alu instid0(VALU_DEP_3) | instskip(NEXT) | instid1(VALU_DEP_3)
	v_add_f64_e64 v[66:67], v[72:73], -v[68:69]
	v_subrev_co_ci_u32_e64 v80, null, 0, v78, s0
	s_delay_alu instid0(VALU_DEP_1) | instskip(NEXT) | instid1(VALU_DEP_4)
	v_cvt_f64_i32_e32 v[80:81], v80
	v_add_f64_e32 v[68:69], v[74:75], v[60:61]
	s_delay_alu instid0(VALU_DEP_4) | instskip(SKIP_2) | instid1(VALU_DEP_2)
	v_add_f64_e32 v[64:65], v[64:65], v[66:67]
	v_subrev_co_ci_u32_e64 v66, null, 0, v70, vcc_lo
	v_cmp_neq_f64_e32 vcc_lo, 0x7ff00000, v[56:57]
	v_cvt_f64_i32_e32 v[66:67], v66
	v_add_f64_e64 v[70:71], v[68:69], -v[74:75]
	v_mul_f64_e32 v[72:73], s[30:31], v[68:69]
	v_add_f64_e32 v[74:75], v[76:77], v[64:65]
	s_delay_alu instid0(VALU_DEP_4) | instskip(NEXT) | instid1(VALU_DEP_4)
	v_mul_f64_e32 v[78:79], s[48:49], v[66:67]
	v_add_f64_e64 v[60:61], v[60:61], -v[70:71]
	s_delay_alu instid0(VALU_DEP_4) | instskip(NEXT) | instid1(VALU_DEP_4)
	v_fma_f64 v[70:71], v[68:69], s[30:31], -v[72:73]
	v_add_f64_e64 v[76:77], v[74:75], -v[76:77]
	v_mul_f64_e32 v[82:83], s[30:31], v[74:75]
	v_fma_f64 v[84:85], v[66:67], s[48:49], -v[78:79]
	s_delay_alu instid0(VALU_DEP_4)
	v_fma_f64 v[60:61], v[60:61], s[30:31], v[70:71]
	v_mul_f64_e32 v[70:71], s[48:49], v[80:81]
	v_add_f64_e64 v[64:65], v[64:65], -v[76:77]
	v_fma_f64 v[76:77], v[74:75], s[30:31], -v[82:83]
	v_fma_f64 v[66:67], v[66:67], s[58:59], v[84:85]
	v_fma_f64 v[60:61], v[68:69], s[60:61], v[60:61]
	v_fma_f64 v[68:69], v[80:81], s[48:49], -v[70:71]
	s_delay_alu instid0(VALU_DEP_4) | instskip(NEXT) | instid1(VALU_DEP_4)
	v_fma_f64 v[64:65], v[64:65], s[30:31], v[76:77]
	v_add_f64_e32 v[76:77], v[78:79], v[66:67]
	s_delay_alu instid0(VALU_DEP_4) | instskip(NEXT) | instid1(VALU_DEP_4)
	v_add_f64_e32 v[84:85], v[72:73], v[60:61]
	v_fma_f64 v[68:69], v[80:81], s[58:59], v[68:69]
	s_delay_alu instid0(VALU_DEP_4) | instskip(NEXT) | instid1(VALU_DEP_4)
	v_fma_f64 v[64:65], v[74:75], s[60:61], v[64:65]
	v_add_f64_e64 v[78:79], v[76:77], -v[78:79]
	s_delay_alu instid0(VALU_DEP_4) | instskip(NEXT) | instid1(VALU_DEP_4)
	v_add_f64_e32 v[74:75], v[76:77], v[84:85]
	v_add_f64_e32 v[80:81], v[70:71], v[68:69]
	v_add_f64_e64 v[72:73], v[84:85], -v[72:73]
	v_add_f64_e32 v[86:87], v[82:83], v[64:65]
	v_add_f64_e64 v[66:67], v[66:67], -v[78:79]
	v_add_f64_e64 v[88:89], v[74:75], -v[76:77]
	;; [unrolled: 1-line block ×4, first 2 shown]
	v_add_f64_e32 v[90:91], v[80:81], v[86:87]
	s_delay_alu instid0(VALU_DEP_4) | instskip(SKIP_1) | instid1(VALU_DEP_4)
	v_add_f64_e64 v[78:79], v[74:75], -v[88:89]
	v_add_f64_e64 v[84:85], v[84:85], -v[88:89]
	v_add_f64_e32 v[88:89], v[66:67], v[60:61]
	v_add_f64_e64 v[68:69], v[68:69], -v[70:71]
	v_add_f64_e64 v[72:73], v[90:91], -v[80:81]
	;; [unrolled: 1-line block ×4, first 2 shown]
	s_delay_alu instid0(VALU_DEP_3) | instskip(SKIP_1) | instid1(VALU_DEP_4)
	v_add_f64_e64 v[82:83], v[90:91], -v[72:73]
	v_add_f64_e64 v[70:71], v[86:87], -v[72:73]
	v_add_f64_e32 v[76:77], v[84:85], v[76:77]
	s_delay_alu instid0(VALU_DEP_4) | instskip(SKIP_2) | instid1(VALU_DEP_4)
	v_add_f64_e64 v[64:65], v[64:65], -v[78:79]
	v_add_f64_e64 v[78:79], v[88:89], -v[66:67]
	;; [unrolled: 1-line block ×3, first 2 shown]
	v_add_f64_e32 v[76:77], v[88:89], v[76:77]
	s_delay_alu instid0(VALU_DEP_4) | instskip(NEXT) | instid1(VALU_DEP_4)
	v_add_f64_e32 v[80:81], v[68:69], v[64:65]
	v_add_f64_e64 v[60:61], v[60:61], -v[78:79]
	s_delay_alu instid0(VALU_DEP_4) | instskip(SKIP_3) | instid1(VALU_DEP_4)
	v_add_f64_e32 v[70:71], v[70:71], v[72:73]
	v_add_f64_e64 v[72:73], v[88:89], -v[78:79]
	v_add_f64_e32 v[82:83], v[74:75], v[76:77]
	v_add_f64_e64 v[84:85], v[80:81], -v[68:69]
	v_add_f64_e32 v[70:71], v[80:81], v[70:71]
	s_delay_alu instid0(VALU_DEP_4) | instskip(NEXT) | instid1(VALU_DEP_4)
	v_add_f64_e64 v[66:67], v[66:67], -v[72:73]
	v_add_f64_e64 v[72:73], v[82:83], -v[74:75]
	s_delay_alu instid0(VALU_DEP_4)
	v_add_f64_e64 v[74:75], v[80:81], -v[84:85]
	v_add_f64_e64 v[64:65], v[64:65], -v[84:85]
	v_add_f64_e32 v[78:79], v[90:91], v[70:71]
	v_add_f64_e32 v[60:61], v[60:61], v[66:67]
	v_add_f64_e64 v[66:67], v[76:77], -v[72:73]
	v_add_f64_e64 v[68:69], v[68:69], -v[74:75]
	s_delay_alu instid0(VALU_DEP_4) | instskip(NEXT) | instid1(VALU_DEP_3)
	v_add_f64_e64 v[72:73], v[78:79], -v[90:91]
	v_add_f64_e32 v[60:61], v[60:61], v[66:67]
	s_delay_alu instid0(VALU_DEP_3) | instskip(NEXT) | instid1(VALU_DEP_3)
	v_add_f64_e32 v[64:65], v[64:65], v[68:69]
	v_add_f64_e64 v[66:67], v[70:71], -v[72:73]
	s_delay_alu instid0(VALU_DEP_3) | instskip(NEXT) | instid1(VALU_DEP_2)
	v_add_f64_e32 v[60:61], v[82:83], v[60:61]
	v_add_f64_e32 v[56:57], v[64:65], v[66:67]
	s_wait_alu 0xfffd
	s_delay_alu instid0(VALU_DEP_2) | instskip(NEXT) | instid1(VALU_DEP_3)
	v_cndmask_b32_e32 v61, 0x7ff00000, v61, vcc_lo
	v_cndmask_b32_e32 v60, 0, v60, vcc_lo
	v_cmp_neq_f64_e32 vcc_lo, 0x7ff00000, v[62:63]
	s_delay_alu instid0(VALU_DEP_2) | instskip(SKIP_3) | instid1(VALU_DEP_1)
	v_fma_f64 v[62:63], v[60:61], s[72:73], s[64:65]
	v_fma_f64 v[64:65], v[60:61], s[76:77], 0x3fe80000
	v_add_f64_e32 v[56:57], v[78:79], v[56:57]
	s_wait_alu 0xfffd
	v_cndmask_b32_e32 v57, 0x7ff00000, v57, vcc_lo
	s_delay_alu instid0(VALU_DEP_2) | instskip(SKIP_1) | instid1(VALU_DEP_2)
	v_cndmask_b32_e32 v56, 0, v56, vcc_lo
	v_div_scale_f64 v[74:75], vcc_lo, 1.0, v[42:43], 1.0
	v_add_f64_e64 v[56:57], v[56:57], -v[62:63]
	v_div_scale_f64 v[62:63], null, v[42:43], v[42:43], 1.0
	s_delay_alu instid0(VALU_DEP_2) | instskip(NEXT) | instid1(VALU_DEP_2)
	v_fma_f64 v[54:55], v[56:57], s[78:79], v[64:65]
	v_rcp_f64_e32 v[66:67], v[62:63]
	s_delay_alu instid0(VALU_DEP_1) | instskip(NEXT) | instid1(TRANS32_DEP_1)
	v_div_scale_f64 v[64:65], null, v[54:55], v[54:55], 1.0
	v_fma_f64 v[70:71], -v[62:63], v[66:67], 1.0
	s_delay_alu instid0(VALU_DEP_2) | instskip(NEXT) | instid1(VALU_DEP_1)
	v_rcp_f64_e32 v[68:69], v[64:65]
	v_fma_f64 v[66:67], v[66:67], v[70:71], v[66:67]
	s_delay_alu instid0(TRANS32_DEP_1) | instskip(NEXT) | instid1(VALU_DEP_2)
	v_fma_f64 v[72:73], -v[64:65], v[68:69], 1.0
	v_fma_f64 v[70:71], -v[62:63], v[66:67], 1.0
	s_delay_alu instid0(VALU_DEP_2) | instskip(NEXT) | instid1(VALU_DEP_2)
	v_fma_f64 v[68:69], v[68:69], v[72:73], v[68:69]
	v_fma_f64 v[66:67], v[66:67], v[70:71], v[66:67]
	v_div_scale_f64 v[70:71], s0, 1.0, v[54:55], 1.0
	s_delay_alu instid0(VALU_DEP_3) | instskip(NEXT) | instid1(VALU_DEP_1)
	v_fma_f64 v[72:73], -v[64:65], v[68:69], 1.0
	v_fma_f64 v[68:69], v[68:69], v[72:73], v[68:69]
	s_delay_alu instid0(VALU_DEP_4) | instskip(NEXT) | instid1(VALU_DEP_2)
	v_mul_f64_e32 v[72:73], v[74:75], v[66:67]
	v_mul_f64_e32 v[76:77], v[70:71], v[68:69]
	s_delay_alu instid0(VALU_DEP_2) | instskip(NEXT) | instid1(VALU_DEP_2)
	v_fma_f64 v[62:63], -v[62:63], v[72:73], v[74:75]
	v_fma_f64 v[64:65], -v[64:65], v[76:77], v[70:71]
	s_wait_alu 0xfffd
	s_delay_alu instid0(VALU_DEP_2) | instskip(SKIP_2) | instid1(VALU_DEP_2)
	v_div_fmas_f64 v[62:63], v[62:63], v[66:67], v[72:73]
	s_mov_b32 vcc_lo, s0
	s_wait_alu 0xfffe
	v_div_fmas_f64 v[64:65], v[64:65], v[68:69], v[76:77]
	s_delay_alu instid0(VALU_DEP_2) | instskip(SKIP_1) | instid1(VALU_DEP_3)
	v_div_fixup_f64 v[42:43], v[62:63], v[42:43], 1.0
	v_mul_f64_e32 v[62:63], 0xc0b06800, v[18:19]
	v_div_fixup_f64 v[54:55], v[64:65], v[54:55], 1.0
	s_delay_alu instid0(VALU_DEP_3) | instskip(SKIP_1) | instid1(VALU_DEP_4)
	v_mul_f64_e32 v[42:43], v[58:59], v[42:43]
	v_mul_f64_e32 v[58:59], s[2:3], v[8:9]
	v_cmp_nlt_f64_e64 s2, 0x40900000, v[62:63]
	v_cmp_ngt_f64_e64 s3, 0xc090cc00, v[62:63]
	v_mul_f64_e32 v[54:55], v[56:57], v[54:55]
	s_delay_alu instid0(VALU_DEP_1) | instskip(NEXT) | instid1(VALU_DEP_1)
	v_fma_f64 v[54:55], v[54:55], v[54:55], 1.0
	v_div_scale_f64 v[56:57], null, v[54:55], v[54:55], 1.0
	v_div_scale_f64 v[68:69], vcc_lo, 1.0, v[54:55], 1.0
	s_delay_alu instid0(VALU_DEP_2) | instskip(NEXT) | instid1(TRANS32_DEP_1)
	v_rcp_f64_e32 v[64:65], v[56:57]
	v_fma_f64 v[66:67], -v[56:57], v[64:65], 1.0
	s_delay_alu instid0(VALU_DEP_1) | instskip(NEXT) | instid1(VALU_DEP_1)
	v_fma_f64 v[64:65], v[64:65], v[66:67], v[64:65]
	v_fma_f64 v[66:67], -v[56:57], v[64:65], 1.0
	s_delay_alu instid0(VALU_DEP_1) | instskip(NEXT) | instid1(VALU_DEP_1)
	v_fma_f64 v[64:65], v[64:65], v[66:67], v[64:65]
	v_mul_f64_e32 v[66:67], v[68:69], v[64:65]
	s_delay_alu instid0(VALU_DEP_1) | instskip(SKIP_1) | instid1(VALU_DEP_1)
	v_fma_f64 v[56:57], -v[56:57], v[66:67], v[68:69]
	s_wait_alu 0xfffd
	v_div_fmas_f64 v[56:57], v[56:57], v[64:65], v[66:67]
	s_delay_alu instid0(VALU_DEP_1) | instskip(NEXT) | instid1(VALU_DEP_1)
	v_div_fixup_f64 v[54:55], v[56:57], v[54:55], 1.0
	v_mul_f64_e32 v[54:55], v[60:61], v[54:55]
	s_delay_alu instid0(VALU_DEP_1) | instskip(SKIP_2) | instid1(VALU_DEP_3)
	v_mul_f64_e32 v[56:57], s[62:63], v[54:55]
	v_cmp_nlt_f64_e32 vcc_lo, 0x40900000, v[54:55]
	v_cmp_ngt_f64_e64 s0, 0xc090cc00, v[54:55]
	v_rndne_f64_e32 v[56:57], v[56:57]
	s_delay_alu instid0(VALU_DEP_1) | instskip(SKIP_1) | instid1(VALU_DEP_2)
	v_fma_f64 v[60:61], v[56:57], s[68:69], v[54:55]
	v_cvt_i32_f64_e32 v66, v[56:57]
	v_fma_f64 v[60:61], v[56:57], s[66:67], v[60:61]
	s_delay_alu instid0(VALU_DEP_1) | instskip(NEXT) | instid1(VALU_DEP_1)
	v_mul_f64_e32 v[64:65], s[70:71], v[60:61]
	v_fma_f64 v[60:61], v[60:61], s[74:75], v[64:65]
	s_delay_alu instid0(VALU_DEP_1) | instskip(NEXT) | instid1(VALU_DEP_1)
	v_fma_f64 v[64:65], v[60:61], s[6:7], s[4:5]
	v_fma_f64 v[64:65], v[60:61], v[64:65], s[14:15]
	s_delay_alu instid0(VALU_DEP_1) | instskip(NEXT) | instid1(VALU_DEP_1)
	v_fma_f64 v[64:65], v[60:61], v[64:65], s[18:19]
	;; [unrolled: 3-line block ×5, first 2 shown]
	v_fma_f64 v[64:65], v[60:61], v[64:65], 1.0
	s_delay_alu instid0(VALU_DEP_1) | instskip(NEXT) | instid1(VALU_DEP_1)
	v_fma_f64 v[56:57], v[60:61], v[64:65], 1.0
	v_ldexp_f64 v[56:57], v[56:57], v66
	s_wait_alu 0xfffd
	s_delay_alu instid0(VALU_DEP_1) | instskip(SKIP_2) | instid1(VALU_DEP_2)
	v_cndmask_b32_e32 v57, 0x7ff00000, v57, vcc_lo
	s_and_b32 vcc_lo, s0, vcc_lo
	s_wait_alu 0xfffe
	v_cndmask_b32_e32 v54, 0, v56, vcc_lo
	s_delay_alu instid0(VALU_DEP_2) | instskip(SKIP_2) | instid1(VALU_DEP_1)
	v_cndmask_b32_e64 v55, 0, v57, s0
	s_mov_b32 s0, 0x374bc6a8
	s_mov_b32 s1, 0x3fe84189
	v_mul_f64_e32 v[42:43], v[42:43], v[54:55]
	v_mul_f64_e32 v[54:55], s[34:35], v[58:59]
	s_delay_alu instid0(VALU_DEP_2) | instskip(NEXT) | instid1(VALU_DEP_2)
	v_mul_f64_e32 v[60:61], v[50:51], v[42:43]
	v_rndne_f64_e32 v[64:65], v[54:55]
	v_mad_co_u64_u32 v[54:55], null, s33, 15, v[0:1]
	v_mov_b32_e32 v55, v1
	s_delay_alu instid0(VALU_DEP_1) | instskip(NEXT) | instid1(VALU_DEP_1)
	v_lshlrev_b64_e32 v[50:51], 3, v[54:55]
	v_add_co_u32 v56, vcc_lo, s8, v50
	s_wait_alu 0xfffd
	s_delay_alu instid0(VALU_DEP_2)
	v_add_co_ci_u32_e64 v57, null, s9, v51, vcc_lo
	v_add_co_u32 v36, vcc_lo, s12, v36
	s_wait_alu 0xfffd
	v_add_co_ci_u32_e64 v37, null, s13, v37, vcc_lo
	global_load_b64 v[36:37], v[36:37], off
	global_store_b64 v[52:53], v[60:61], off
	global_load_b64 v[52:53], v[56:57], off
	v_mul_f64_e32 v[60:61], s[34:35], v[62:63]
	v_fma_f64 v[66:67], v[64:65], s[36:37], v[58:59]
	v_cvt_i32_f64_e32 v0, v[64:65]
	s_delay_alu instid0(VALU_DEP_3) | instskip(NEXT) | instid1(VALU_DEP_3)
	v_rndne_f64_e32 v[60:61], v[60:61]
	v_fma_f64 v[66:67], v[64:65], s[38:39], v[66:67]
	s_delay_alu instid0(VALU_DEP_2) | instskip(NEXT) | instid1(VALU_DEP_2)
	v_fma_f64 v[68:69], v[60:61], s[36:37], v[62:63]
	v_fma_f64 v[70:71], v[66:67], s[6:7], s[4:5]
	s_delay_alu instid0(VALU_DEP_2) | instskip(NEXT) | instid1(VALU_DEP_2)
	v_fma_f64 v[68:69], v[60:61], s[38:39], v[68:69]
	;; [unrolled: 3-line block ×7, first 2 shown]
	v_fma_f64 v[70:71], v[66:67], v[70:71], s[16:17]
	s_wait_loadcnt 0x0
	v_div_scale_f64 v[74:75], null, v[52:53], v[52:53], 1.0
	s_delay_alu instid0(VALU_DEP_3) | instskip(NEXT) | instid1(VALU_DEP_3)
	v_fma_f64 v[72:73], v[68:69], v[72:73], s[28:29]
	v_fma_f64 v[70:71], v[66:67], v[70:71], s[20:21]
	s_delay_alu instid0(VALU_DEP_3) | instskip(NEXT) | instid1(VALU_DEP_2)
	v_rcp_f64_e32 v[76:77], v[74:75]
	v_fma_f64 v[72:73], v[68:69], v[72:73], s[16:17]
	s_delay_alu instid0(VALU_DEP_2) | instskip(NEXT) | instid1(TRANS32_DEP_1)
	v_fma_f64 v[70:71], v[66:67], v[70:71], s[24:25]
	v_fma_f64 v[78:79], -v[74:75], v[76:77], 1.0
	s_delay_alu instid0(VALU_DEP_3) | instskip(NEXT) | instid1(VALU_DEP_3)
	v_fma_f64 v[72:73], v[68:69], v[72:73], s[20:21]
	v_fma_f64 v[70:71], v[66:67], v[70:71], 1.0
	s_delay_alu instid0(VALU_DEP_3) | instskip(NEXT) | instid1(VALU_DEP_3)
	v_fma_f64 v[76:77], v[76:77], v[78:79], v[76:77]
	v_fma_f64 v[72:73], v[68:69], v[72:73], s[24:25]
	s_delay_alu instid0(VALU_DEP_3) | instskip(NEXT) | instid1(VALU_DEP_3)
	v_fma_f64 v[64:65], v[66:67], v[70:71], 1.0
	v_fma_f64 v[66:67], -v[74:75], v[76:77], 1.0
	s_delay_alu instid0(VALU_DEP_3) | instskip(SKIP_1) | instid1(VALU_DEP_4)
	v_fma_f64 v[70:71], v[68:69], v[72:73], 1.0
	v_div_scale_f64 v[72:73], vcc_lo, 1.0, v[52:53], 1.0
	v_ldexp_f64 v[64:65], v[64:65], v0
	v_cvt_i32_f64_e32 v0, v[60:61]
	v_fma_f64 v[66:67], v[76:77], v[66:67], v[76:77]
	v_fma_f64 v[60:61], v[68:69], v[70:71], 1.0
	s_wait_alu 0xfffe
	s_delay_alu instid0(VALU_DEP_4)
	v_mul_f64_e32 v[64:65], s[0:1], v[64:65]
	v_cmp_nlt_f64_e64 s0, 0x40900000, v[58:59]
	v_cmp_ngt_f64_e64 s1, 0xc090cc00, v[58:59]
	v_mul_f64_e32 v[68:69], v[72:73], v[66:67]
	v_ldexp_f64 v[60:61], v[60:61], v0
	s_wait_alu 0xf1ff
	s_delay_alu instid0(VALU_DEP_4) | instskip(SKIP_3) | instid1(VALU_DEP_2)
	v_cndmask_b32_e64 v0, 0x7ff00000, v65, s0
	s_and_b32 s0, s1, s0
	s_wait_alu 0xfffe
	v_cndmask_b32_e64 v64, 0, v64, s0
	v_cndmask_b32_e64 v65, 0, v0, s1
	s_mov_b32 s0, 0x22d0e560
	s_mov_b32 s1, 0x3fcef9db
	s_wait_alu 0xfffe
	s_delay_alu instid0(VALU_DEP_1) | instskip(SKIP_2) | instid1(VALU_DEP_1)
	v_fma_f64 v[44:45], v[44:45], s[0:1], v[64:65]
	v_fma_f64 v[58:59], -v[74:75], v[68:69], v[72:73]
	v_cndmask_b32_e64 v0, 0x7ff00000, v61, s2
	v_cndmask_b32_e64 v61, 0, v0, s3
	s_wait_alu 0xfffd
	s_delay_alu instid0(VALU_DEP_3)
	v_div_fmas_f64 v[58:59], v[58:59], v[66:67], v[68:69]
	s_and_b32 vcc_lo, s3, s2
	s_mov_b32 s2, 0x14c1bad0
	s_wait_alu 0xfffe
	v_cndmask_b32_e32 v60, 0, v60, vcc_lo
	s_mov_b32 s3, 0xbf8bacf9
	s_delay_alu instid0(VALU_DEP_1) | instskip(NEXT) | instid1(VALU_DEP_3)
	v_add_f64_e32 v[44:45], v[60:61], v[44:45]
	v_div_fixup_f64 v[58:59], v[58:59], v[52:53], 1.0
	s_delay_alu instid0(VALU_DEP_2) | instskip(NEXT) | instid1(VALU_DEP_2)
	v_max_num_f64_e32 v[44:45], 0x38100000, v[44:45]
	v_mul_f64_e32 v[58:59], v[6:7], v[58:59]
	s_delay_alu instid0(VALU_DEP_2) | instskip(NEXT) | instid1(VALU_DEP_2)
	v_frexp_mant_f64_e32 v[60:61], v[44:45]
	v_mul_f64_e32 v[62:63], v[36:37], v[58:59]
	v_fma_f64 v[36:37], v[36:37], v[58:59], 1.0
	s_delay_alu instid0(VALU_DEP_3) | instskip(NEXT) | instid1(VALU_DEP_3)
	v_cmp_gt_f64_e32 vcc_lo, s[46:47], v[60:61]
	v_max_num_f64_e32 v[64:65], 0x38100000, v[62:63]
	s_wait_alu 0xfffd
	v_cndmask_b32_e64 v0, 0, 1, vcc_lo
	s_delay_alu instid0(VALU_DEP_1) | instskip(NEXT) | instid1(VALU_DEP_3)
	v_ldexp_f64 v[60:61], v[60:61], v0
	v_frexp_mant_f64_e32 v[66:67], v[64:65]
	s_delay_alu instid0(VALU_DEP_2) | instskip(SKIP_1) | instid1(VALU_DEP_3)
	v_add_f64_e32 v[68:69], 1.0, v[60:61]
	v_add_f64_e32 v[80:81], -1.0, v[60:61]
	v_cmp_gt_f64_e64 s0, s[46:47], v[66:67]
	s_delay_alu instid0(VALU_DEP_3) | instskip(SKIP_2) | instid1(VALU_DEP_2)
	v_rcp_f64_e32 v[70:71], v[68:69]
	v_add_f64_e32 v[82:83], -1.0, v[68:69]
	s_wait_alu 0xf1ff
	v_cndmask_b32_e64 v0, 0, 1, s0
	s_delay_alu instid0(VALU_DEP_1) | instskip(SKIP_1) | instid1(VALU_DEP_4)
	v_ldexp_f64 v[66:67], v[66:67], v0
	v_frexp_exp_i32_f64_e32 v0, v[44:45]
	v_add_f64_e64 v[60:61], v[60:61], -v[82:83]
	s_delay_alu instid0(TRANS32_DEP_1) | instskip(NEXT) | instid1(VALU_DEP_4)
	v_fma_f64 v[72:73], -v[68:69], v[70:71], 1.0
	v_add_f64_e32 v[74:75], 1.0, v[66:67]
	v_add_f64_e32 v[86:87], -1.0, v[66:67]
	v_subrev_co_ci_u32_e64 v0, null, 0, v0, vcc_lo
	v_cmp_neq_f64_e32 vcc_lo, 0x7ff00000, v[44:45]
	v_fma_f64 v[70:71], v[72:73], v[70:71], v[70:71]
	v_rcp_f64_e32 v[72:73], v[74:75]
	s_delay_alu instid0(VALU_DEP_1) | instskip(NEXT) | instid1(TRANS32_DEP_1)
	v_fma_f64 v[76:77], -v[68:69], v[70:71], 1.0
	v_fma_f64 v[78:79], -v[74:75], v[72:73], 1.0
	s_delay_alu instid0(VALU_DEP_2) | instskip(NEXT) | instid1(VALU_DEP_2)
	v_fma_f64 v[70:71], v[76:77], v[70:71], v[70:71]
	v_fma_f64 v[72:73], v[78:79], v[72:73], v[72:73]
	s_delay_alu instid0(VALU_DEP_2) | instskip(NEXT) | instid1(VALU_DEP_2)
	v_mul_f64_e32 v[76:77], v[80:81], v[70:71]
	v_fma_f64 v[78:79], -v[74:75], v[72:73], 1.0
	s_delay_alu instid0(VALU_DEP_2) | instskip(NEXT) | instid1(VALU_DEP_2)
	v_mul_f64_e32 v[84:85], v[68:69], v[76:77]
	v_fma_f64 v[72:73], v[78:79], v[72:73], v[72:73]
	s_delay_alu instid0(VALU_DEP_2) | instskip(NEXT) | instid1(VALU_DEP_2)
	v_fma_f64 v[68:69], v[76:77], v[68:69], -v[84:85]
	v_mul_f64_e32 v[78:79], v[86:87], v[72:73]
	s_delay_alu instid0(VALU_DEP_2) | instskip(SKIP_1) | instid1(VALU_DEP_3)
	v_fma_f64 v[60:61], v[76:77], v[60:61], v[68:69]
	v_add_f64_e32 v[68:69], -1.0, v[74:75]
	v_mul_f64_e32 v[82:83], v[74:75], v[78:79]
	s_delay_alu instid0(VALU_DEP_3) | instskip(NEXT) | instid1(VALU_DEP_3)
	v_add_f64_e32 v[88:89], v[84:85], v[60:61]
	v_add_f64_e64 v[66:67], v[66:67], -v[68:69]
	s_delay_alu instid0(VALU_DEP_3) | instskip(NEXT) | instid1(VALU_DEP_3)
	v_fma_f64 v[68:69], v[78:79], v[74:75], -v[82:83]
	v_add_f64_e64 v[74:75], v[80:81], -v[88:89]
	s_delay_alu instid0(VALU_DEP_2) | instskip(SKIP_1) | instid1(VALU_DEP_3)
	v_fma_f64 v[66:67], v[78:79], v[66:67], v[68:69]
	v_add_f64_e64 v[68:69], v[88:89], -v[84:85]
	v_add_f64_e64 v[80:81], v[80:81], -v[74:75]
	s_delay_alu instid0(VALU_DEP_3) | instskip(NEXT) | instid1(VALU_DEP_3)
	v_add_f64_e32 v[84:85], v[82:83], v[66:67]
	v_add_f64_e64 v[60:61], v[68:69], -v[60:61]
	s_delay_alu instid0(VALU_DEP_3) | instskip(NEXT) | instid1(VALU_DEP_3)
	v_add_f64_e64 v[68:69], v[80:81], -v[88:89]
	v_add_f64_e64 v[80:81], v[86:87], -v[84:85]
	s_delay_alu instid0(VALU_DEP_2) | instskip(SKIP_1) | instid1(VALU_DEP_3)
	v_add_f64_e32 v[60:61], v[60:61], v[68:69]
	v_add_f64_e64 v[68:69], v[84:85], -v[82:83]
	v_add_f64_e64 v[82:83], v[86:87], -v[80:81]
	s_delay_alu instid0(VALU_DEP_3) | instskip(NEXT) | instid1(VALU_DEP_3)
	v_add_f64_e32 v[60:61], v[74:75], v[60:61]
	v_add_f64_e64 v[66:67], v[68:69], -v[66:67]
	s_delay_alu instid0(VALU_DEP_3) | instskip(NEXT) | instid1(VALU_DEP_3)
	v_add_f64_e64 v[68:69], v[82:83], -v[84:85]
	v_mul_f64_e32 v[60:61], v[70:71], v[60:61]
	s_delay_alu instid0(VALU_DEP_2) | instskip(NEXT) | instid1(VALU_DEP_2)
	v_add_f64_e32 v[66:67], v[66:67], v[68:69]
	v_add_f64_e32 v[68:69], v[76:77], v[60:61]
	s_delay_alu instid0(VALU_DEP_2) | instskip(NEXT) | instid1(VALU_DEP_2)
	v_add_f64_e32 v[66:67], v[80:81], v[66:67]
	v_mul_f64_e32 v[70:71], v[68:69], v[68:69]
	s_delay_alu instid0(VALU_DEP_2) | instskip(NEXT) | instid1(VALU_DEP_2)
	v_mul_f64_e32 v[66:67], v[72:73], v[66:67]
	v_fma_f64 v[72:73], v[70:71], s[42:43], s[40:41]
	v_mul_f64_e32 v[84:85], v[68:69], v[70:71]
	s_delay_alu instid0(VALU_DEP_3) | instskip(NEXT) | instid1(VALU_DEP_3)
	v_add_f64_e32 v[74:75], v[78:79], v[66:67]
	v_fma_f64 v[72:73], v[70:71], v[72:73], s[44:45]
	s_delay_alu instid0(VALU_DEP_2) | instskip(NEXT) | instid1(VALU_DEP_2)
	v_mul_f64_e32 v[80:81], v[74:75], v[74:75]
	v_fma_f64 v[72:73], v[70:71], v[72:73], s[50:51]
	s_delay_alu instid0(VALU_DEP_2) | instskip(NEXT) | instid1(VALU_DEP_2)
	v_fma_f64 v[82:83], v[80:81], s[42:43], s[40:41]
	v_fma_f64 v[72:73], v[70:71], v[72:73], s[54:55]
	s_delay_alu instid0(VALU_DEP_2) | instskip(NEXT) | instid1(VALU_DEP_2)
	v_fma_f64 v[82:83], v[80:81], v[82:83], s[44:45]
	;; [unrolled: 3-line block ×3, first 2 shown]
	v_fma_f64 v[70:71], v[70:71], v[72:73], s[56:57]
	s_delay_alu instid0(VALU_DEP_2) | instskip(SKIP_2) | instid1(VALU_DEP_4)
	v_fma_f64 v[72:73], v[80:81], v[82:83], s[54:55]
	v_ldexp_f64 v[82:83], v[68:69], 1
	v_add_f64_e64 v[68:69], v[68:69], -v[76:77]
	v_mul_f64_e32 v[70:71], v[84:85], v[70:71]
	v_mul_f64_e32 v[84:85], v[74:75], v[80:81]
	v_fma_f64 v[72:73], v[80:81], v[72:73], s[52:53]
	s_delay_alu instid0(VALU_DEP_4) | instskip(NEXT) | instid1(VALU_DEP_4)
	v_add_f64_e64 v[60:61], v[60:61], -v[68:69]
	v_add_f64_e32 v[76:77], v[82:83], v[70:71]
	s_delay_alu instid0(VALU_DEP_3) | instskip(SKIP_1) | instid1(VALU_DEP_4)
	v_fma_f64 v[72:73], v[80:81], v[72:73], s[56:57]
	v_ldexp_f64 v[80:81], v[74:75], 1
	v_ldexp_f64 v[60:61], v[60:61], 1
	s_delay_alu instid0(VALU_DEP_4) | instskip(NEXT) | instid1(VALU_DEP_4)
	v_add_f64_e64 v[68:69], v[76:77], -v[82:83]
	v_mul_f64_e32 v[72:73], v[84:85], v[72:73]
	s_delay_alu instid0(VALU_DEP_2) | instskip(SKIP_1) | instid1(VALU_DEP_3)
	v_add_f64_e64 v[68:69], v[70:71], -v[68:69]
	v_add_f64_e64 v[70:71], v[74:75], -v[78:79]
	v_add_f64_e32 v[74:75], v[80:81], v[72:73]
	s_delay_alu instid0(VALU_DEP_3) | instskip(NEXT) | instid1(VALU_DEP_3)
	v_add_f64_e32 v[60:61], v[60:61], v[68:69]
	v_add_f64_e64 v[66:67], v[66:67], -v[70:71]
	s_delay_alu instid0(VALU_DEP_3) | instskip(NEXT) | instid1(VALU_DEP_3)
	v_add_f64_e64 v[68:69], v[74:75], -v[80:81]
	v_add_f64_e32 v[70:71], v[76:77], v[60:61]
	s_delay_alu instid0(VALU_DEP_3) | instskip(NEXT) | instid1(VALU_DEP_3)
	v_ldexp_f64 v[66:67], v[66:67], 1
	v_add_f64_e64 v[68:69], v[72:73], -v[68:69]
	v_cvt_f64_i32_e32 v[72:73], v0
	v_frexp_exp_i32_f64_e32 v0, v[64:65]
	v_add_f64_e64 v[76:77], v[70:71], -v[76:77]
	v_mul_f64_e32 v[78:79], s[30:31], v[70:71]
	v_add_f64_e32 v[66:67], v[66:67], v[68:69]
	v_mul_f64_e32 v[68:69], s[48:49], v[72:73]
	v_subrev_co_ci_u32_e64 v0, null, 0, v0, s0
	v_add_f64_e64 v[60:61], v[60:61], -v[76:77]
	v_fma_f64 v[76:77], v[70:71], s[30:31], -v[78:79]
	v_add_f64_e32 v[80:81], v[74:75], v[66:67]
	v_fma_f64 v[82:83], v[72:73], s[48:49], -v[68:69]
	s_delay_alu instid0(VALU_DEP_3) | instskip(SKIP_1) | instid1(VALU_DEP_4)
	v_fma_f64 v[60:61], v[60:61], s[30:31], v[76:77]
	v_cvt_f64_i32_e32 v[76:77], v0
	v_add_f64_e64 v[74:75], v[80:81], -v[74:75]
	v_mul_f64_e32 v[84:85], s[30:31], v[80:81]
	v_fma_f64 v[72:73], v[72:73], s[58:59], v[82:83]
	v_fma_f64 v[60:61], v[70:71], s[60:61], v[60:61]
	v_mul_f64_e32 v[70:71], s[48:49], v[76:77]
	v_add_f64_e64 v[66:67], v[66:67], -v[74:75]
	v_fma_f64 v[74:75], v[80:81], s[30:31], -v[84:85]
	v_add_f64_e32 v[82:83], v[68:69], v[72:73]
	v_add_f64_e32 v[86:87], v[78:79], v[60:61]
	v_fma_f64 v[88:89], v[76:77], s[48:49], -v[70:71]
	s_delay_alu instid0(VALU_DEP_4) | instskip(NEXT) | instid1(VALU_DEP_4)
	v_fma_f64 v[66:67], v[66:67], s[30:31], v[74:75]
	v_add_f64_e64 v[68:69], v[82:83], -v[68:69]
	s_delay_alu instid0(VALU_DEP_4) | instskip(NEXT) | instid1(VALU_DEP_4)
	v_add_f64_e32 v[74:75], v[82:83], v[86:87]
	v_fma_f64 v[76:77], v[76:77], s[58:59], v[88:89]
	s_delay_alu instid0(VALU_DEP_4) | instskip(NEXT) | instid1(VALU_DEP_4)
	v_fma_f64 v[66:67], v[80:81], s[60:61], v[66:67]
	v_add_f64_e64 v[68:69], v[72:73], -v[68:69]
	v_add_f64_e64 v[72:73], v[86:87], -v[78:79]
	;; [unrolled: 1-line block ×3, first 2 shown]
	v_add_f64_e32 v[88:89], v[70:71], v[76:77]
	v_add_f64_e32 v[90:91], v[84:85], v[66:67]
	s_delay_alu instid0(VALU_DEP_4) | instskip(NEXT) | instid1(VALU_DEP_4)
	v_add_f64_e64 v[60:61], v[60:61], -v[72:73]
	v_add_f64_e64 v[78:79], v[74:75], -v[80:81]
	;; [unrolled: 1-line block ×4, first 2 shown]
	v_add_f64_e32 v[86:87], v[88:89], v[90:91]
	v_add_f64_e64 v[72:73], v[90:91], -v[84:85]
	v_add_f64_e64 v[78:79], v[82:83], -v[78:79]
	s_delay_alu instid0(VALU_DEP_4) | instskip(NEXT) | instid1(VALU_DEP_4)
	v_add_f64_e64 v[70:71], v[76:77], -v[70:71]
	v_add_f64_e64 v[82:83], v[86:87], -v[88:89]
	s_delay_alu instid0(VALU_DEP_4) | instskip(NEXT) | instid1(VALU_DEP_4)
	v_add_f64_e64 v[66:67], v[66:67], -v[72:73]
	v_add_f64_e32 v[78:79], v[80:81], v[78:79]
	v_add_f64_e32 v[80:81], v[68:69], v[60:61]
	s_delay_alu instid0(VALU_DEP_4) | instskip(SKIP_1) | instid1(VALU_DEP_3)
	v_add_f64_e64 v[84:85], v[86:87], -v[82:83]
	v_add_f64_e64 v[72:73], v[90:91], -v[82:83]
	;; [unrolled: 1-line block ×3, first 2 shown]
	v_add_f64_e32 v[78:79], v[80:81], v[78:79]
	s_delay_alu instid0(VALU_DEP_4) | instskip(SKIP_1) | instid1(VALU_DEP_4)
	v_add_f64_e64 v[76:77], v[88:89], -v[84:85]
	v_add_f64_e32 v[84:85], v[70:71], v[66:67]
	v_add_f64_e64 v[60:61], v[60:61], -v[82:83]
	s_delay_alu instid0(VALU_DEP_3) | instskip(SKIP_3) | instid1(VALU_DEP_4)
	v_add_f64_e32 v[72:73], v[72:73], v[76:77]
	v_add_f64_e64 v[76:77], v[80:81], -v[82:83]
	v_add_f64_e32 v[80:81], v[74:75], v[78:79]
	v_add_f64_e64 v[88:89], v[84:85], -v[70:71]
	v_add_f64_e32 v[72:73], v[84:85], v[72:73]
	s_delay_alu instid0(VALU_DEP_4) | instskip(NEXT) | instid1(VALU_DEP_4)
	v_add_f64_e64 v[68:69], v[68:69], -v[76:77]
	v_add_f64_e64 v[74:75], v[80:81], -v[74:75]
	s_delay_alu instid0(VALU_DEP_4)
	v_add_f64_e64 v[76:77], v[84:85], -v[88:89]
	v_add_f64_e64 v[66:67], v[66:67], -v[88:89]
	v_add_f64_e32 v[82:83], v[86:87], v[72:73]
	v_add_f64_e32 v[60:61], v[60:61], v[68:69]
	v_add_f64_e64 v[68:69], v[78:79], -v[74:75]
	v_add_f64_e64 v[70:71], v[70:71], -v[76:77]
	s_delay_alu instid0(VALU_DEP_4) | instskip(NEXT) | instid1(VALU_DEP_3)
	v_add_f64_e64 v[74:75], v[82:83], -v[86:87]
	v_add_f64_e32 v[60:61], v[60:61], v[68:69]
	s_delay_alu instid0(VALU_DEP_3) | instskip(NEXT) | instid1(VALU_DEP_3)
	v_add_f64_e32 v[66:67], v[66:67], v[70:71]
	v_add_f64_e64 v[68:69], v[72:73], -v[74:75]
	s_delay_alu instid0(VALU_DEP_3) | instskip(NEXT) | instid1(VALU_DEP_2)
	v_add_f64_e32 v[60:61], v[80:81], v[60:61]
	v_add_f64_e32 v[44:45], v[66:67], v[68:69]
	s_wait_alu 0xfffd
	s_delay_alu instid0(VALU_DEP_2) | instskip(NEXT) | instid1(VALU_DEP_3)
	v_cndmask_b32_e32 v61, 0x7ff00000, v61, vcc_lo
	v_cndmask_b32_e32 v60, 0, v60, vcc_lo
	v_cmp_neq_f64_e32 vcc_lo, 0x7ff00000, v[64:65]
	s_delay_alu instid0(VALU_DEP_2) | instskip(SKIP_3) | instid1(VALU_DEP_1)
	v_fma_f64 v[64:65], v[60:61], s[72:73], s[64:65]
	v_fma_f64 v[66:67], v[60:61], s[76:77], 0x3fe80000
	v_add_f64_e32 v[44:45], v[82:83], v[44:45]
	s_wait_alu 0xfffd
	v_cndmask_b32_e32 v45, 0x7ff00000, v45, vcc_lo
	s_delay_alu instid0(VALU_DEP_2) | instskip(SKIP_1) | instid1(VALU_DEP_2)
	v_cndmask_b32_e32 v44, 0, v44, vcc_lo
	v_div_scale_f64 v[76:77], vcc_lo, 1.0, v[36:37], 1.0
	v_add_f64_e64 v[44:45], v[44:45], -v[64:65]
	v_div_scale_f64 v[64:65], null, v[36:37], v[36:37], 1.0
	s_delay_alu instid0(VALU_DEP_2) | instskip(NEXT) | instid1(VALU_DEP_2)
	v_fma_f64 v[58:59], v[44:45], s[78:79], v[66:67]
	v_rcp_f64_e32 v[68:69], v[64:65]
	s_delay_alu instid0(VALU_DEP_1) | instskip(NEXT) | instid1(TRANS32_DEP_1)
	v_div_scale_f64 v[66:67], null, v[58:59], v[58:59], 1.0
	v_fma_f64 v[72:73], -v[64:65], v[68:69], 1.0
	s_delay_alu instid0(VALU_DEP_2) | instskip(NEXT) | instid1(VALU_DEP_1)
	v_rcp_f64_e32 v[70:71], v[66:67]
	v_fma_f64 v[68:69], v[68:69], v[72:73], v[68:69]
	s_delay_alu instid0(TRANS32_DEP_1) | instskip(NEXT) | instid1(VALU_DEP_2)
	v_fma_f64 v[74:75], -v[66:67], v[70:71], 1.0
	v_fma_f64 v[72:73], -v[64:65], v[68:69], 1.0
	s_delay_alu instid0(VALU_DEP_2) | instskip(NEXT) | instid1(VALU_DEP_2)
	v_fma_f64 v[70:71], v[70:71], v[74:75], v[70:71]
	v_fma_f64 v[68:69], v[68:69], v[72:73], v[68:69]
	v_div_scale_f64 v[72:73], s0, 1.0, v[58:59], 1.0
	s_delay_alu instid0(VALU_DEP_3) | instskip(NEXT) | instid1(VALU_DEP_1)
	v_fma_f64 v[74:75], -v[66:67], v[70:71], 1.0
	v_fma_f64 v[70:71], v[70:71], v[74:75], v[70:71]
	s_delay_alu instid0(VALU_DEP_4) | instskip(NEXT) | instid1(VALU_DEP_2)
	v_mul_f64_e32 v[74:75], v[76:77], v[68:69]
	v_mul_f64_e32 v[78:79], v[72:73], v[70:71]
	s_delay_alu instid0(VALU_DEP_2) | instskip(NEXT) | instid1(VALU_DEP_2)
	v_fma_f64 v[64:65], -v[64:65], v[74:75], v[76:77]
	v_fma_f64 v[66:67], -v[66:67], v[78:79], v[72:73]
	s_wait_alu 0xfffd
	s_delay_alu instid0(VALU_DEP_2) | instskip(SKIP_2) | instid1(VALU_DEP_2)
	v_div_fmas_f64 v[64:65], v[64:65], v[68:69], v[74:75]
	s_mov_b32 vcc_lo, s0
	s_wait_alu 0xfffe
	v_div_fmas_f64 v[66:67], v[66:67], v[70:71], v[78:79]
	s_delay_alu instid0(VALU_DEP_2) | instskip(NEXT) | instid1(VALU_DEP_2)
	v_div_fixup_f64 v[36:37], v[64:65], v[36:37], 1.0
	v_div_fixup_f64 v[58:59], v[66:67], v[58:59], 1.0
	s_delay_alu instid0(VALU_DEP_2) | instskip(NEXT) | instid1(VALU_DEP_2)
	v_mul_f64_e32 v[36:37], v[62:63], v[36:37]
	v_mul_f64_e32 v[44:45], v[44:45], v[58:59]
	s_delay_alu instid0(VALU_DEP_1) | instskip(NEXT) | instid1(VALU_DEP_1)
	v_fma_f64 v[44:45], v[44:45], v[44:45], 1.0
	v_div_scale_f64 v[58:59], null, v[44:45], v[44:45], 1.0
	v_div_scale_f64 v[70:71], vcc_lo, 1.0, v[44:45], 1.0
	s_delay_alu instid0(VALU_DEP_2) | instskip(NEXT) | instid1(TRANS32_DEP_1)
	v_rcp_f64_e32 v[66:67], v[58:59]
	v_fma_f64 v[68:69], -v[58:59], v[66:67], 1.0
	s_delay_alu instid0(VALU_DEP_1) | instskip(NEXT) | instid1(VALU_DEP_1)
	v_fma_f64 v[66:67], v[66:67], v[68:69], v[66:67]
	v_fma_f64 v[68:69], -v[58:59], v[66:67], 1.0
	s_delay_alu instid0(VALU_DEP_1) | instskip(NEXT) | instid1(VALU_DEP_1)
	v_fma_f64 v[66:67], v[66:67], v[68:69], v[66:67]
	v_mul_f64_e32 v[68:69], v[70:71], v[66:67]
	s_delay_alu instid0(VALU_DEP_1) | instskip(SKIP_1) | instid1(VALU_DEP_1)
	v_fma_f64 v[58:59], -v[58:59], v[68:69], v[70:71]
	s_wait_alu 0xfffd
	v_div_fmas_f64 v[58:59], v[58:59], v[66:67], v[68:69]
	v_mul_f64_e32 v[69:70], 0xc0bb3400, v[18:19]
	s_delay_alu instid0(VALU_DEP_2) | instskip(NEXT) | instid1(VALU_DEP_2)
	v_div_fixup_f64 v[44:45], v[58:59], v[44:45], 1.0
	v_mul_f64_e32 v[71:72], s[34:35], v[69:70]
	s_delay_alu instid0(VALU_DEP_2) | instskip(NEXT) | instid1(VALU_DEP_2)
	v_mul_f64_e32 v[44:45], v[60:61], v[44:45]
	v_rndne_f64_e32 v[71:72], v[71:72]
	s_delay_alu instid0(VALU_DEP_2) | instskip(SKIP_2) | instid1(VALU_DEP_4)
	v_mul_f64_e32 v[58:59], s[62:63], v[44:45]
	v_cmp_nlt_f64_e32 vcc_lo, 0x40900000, v[44:45]
	v_cmp_ngt_f64_e64 s0, 0xc090cc00, v[44:45]
	v_fma_f64 v[77:78], v[71:72], s[36:37], v[69:70]
	s_delay_alu instid0(VALU_DEP_4) | instskip(NEXT) | instid1(VALU_DEP_2)
	v_rndne_f64_e32 v[58:59], v[58:59]
	v_fma_f64 v[77:78], v[71:72], s[38:39], v[77:78]
	s_delay_alu instid0(VALU_DEP_2) | instskip(SKIP_1) | instid1(VALU_DEP_3)
	v_fma_f64 v[60:61], v[58:59], s[68:69], v[44:45]
	v_cvt_i32_f64_e32 v0, v[58:59]
	v_fma_f64 v[81:82], v[77:78], s[6:7], s[4:5]
	s_delay_alu instid0(VALU_DEP_3) | instskip(NEXT) | instid1(VALU_DEP_2)
	v_fma_f64 v[60:61], v[58:59], s[66:67], v[60:61]
	v_fma_f64 v[81:82], v[77:78], v[81:82], s[14:15]
	s_delay_alu instid0(VALU_DEP_2) | instskip(NEXT) | instid1(VALU_DEP_2)
	v_mul_f64_e32 v[66:67], s[70:71], v[60:61]
	v_fma_f64 v[81:82], v[77:78], v[81:82], s[18:19]
	s_delay_alu instid0(VALU_DEP_2) | instskip(NEXT) | instid1(VALU_DEP_2)
	v_fma_f64 v[60:61], v[60:61], s[74:75], v[66:67]
	v_fma_f64 v[81:82], v[77:78], v[81:82], s[22:23]
	s_delay_alu instid0(VALU_DEP_2) | instskip(NEXT) | instid1(VALU_DEP_2)
	v_fma_f64 v[66:67], v[60:61], s[6:7], s[4:5]
	;; [unrolled: 3-line block ×4, first 2 shown]
	v_fma_f64 v[81:82], v[77:78], v[81:82], s[16:17]
	s_delay_alu instid0(VALU_DEP_2) | instskip(NEXT) | instid1(VALU_DEP_1)
	v_fma_f64 v[66:67], v[60:61], v[66:67], s[22:23]
	v_fma_f64 v[66:67], v[60:61], v[66:67], s[26:27]
	s_delay_alu instid0(VALU_DEP_1) | instskip(NEXT) | instid1(VALU_DEP_1)
	v_fma_f64 v[66:67], v[60:61], v[66:67], s[28:29]
	v_fma_f64 v[66:67], v[60:61], v[66:67], s[16:17]
	s_delay_alu instid0(VALU_DEP_1) | instskip(NEXT) | instid1(VALU_DEP_1)
	;; [unrolled: 3-line block ×3, first 2 shown]
	v_fma_f64 v[66:67], v[60:61], v[66:67], 1.0
	v_fma_f64 v[58:59], v[60:61], v[66:67], 1.0
	s_delay_alu instid0(VALU_DEP_1) | instskip(SKIP_1) | instid1(VALU_DEP_1)
	v_ldexp_f64 v[58:59], v[58:59], v0
	s_wait_alu 0xfffd
	v_cndmask_b32_e32 v0, 0x7ff00000, v59, vcc_lo
	v_mul_f64_e32 v[59:60], s[2:3], v[8:9]
	s_and_b32 vcc_lo, s0, vcc_lo
	s_mov_b32 s2, 0x80d3b1a9
	s_wait_alu 0xfffe
	s_delay_alu instid0(VALU_DEP_3)
	v_cndmask_b32_e32 v44, 0, v58, vcc_lo
	v_cndmask_b32_e64 v45, 0, v0, s0
	s_mov_b32 s3, 0xbf364898
	s_mov_b32 s0, 0xef9db22d
	s_wait_alu 0xfffe
	v_mul_f64_e32 v[61:62], s[2:3], v[8:9]
	s_mov_b32 s1, 0x3fcbc6a7
	v_mul_f64_e32 v[36:37], v[36:37], v[44:45]
	s_mov_b32 s2, 0x4189375
	s_mov_b32 s3, 0x3fe90e56
	v_mul_f64_e32 v[44:45], s[34:35], v[59:60]
	s_delay_alu instid0(VALU_DEP_3) | instskip(NEXT) | instid1(VALU_DEP_3)
	v_mul_f64_e32 v[63:64], s[34:35], v[61:62]
	v_mul_f64_e32 v[65:66], v[52:53], v[36:37]
	v_mad_co_u64_u32 v[52:53], null, s33, 7, v[54:55]
	v_mov_b32_e32 v53, v1
	v_rndne_f64_e32 v[67:68], v[44:45]
	s_delay_alu instid0(VALU_DEP_2) | instskip(NEXT) | instid1(VALU_DEP_1)
	v_lshlrev_b64_e32 v[44:45], 3, v[52:53]
	v_add_co_u32 v54, vcc_lo, s8, v44
	s_wait_alu 0xfffd
	s_delay_alu instid0(VALU_DEP_2)
	v_add_co_ci_u32_e64 v55, null, s9, v45, vcc_lo
	global_store_b64 v[56:57], v[65:66], off
	v_rndne_f64_e32 v[63:64], v[63:64]
	v_add_co_u32 v30, vcc_lo, s12, v30
	global_load_b64 v[56:57], v[54:55], off
	s_wait_alu 0xfffd
	v_add_co_ci_u32_e64 v31, null, s13, v31, vcc_lo
	global_load_b64 v[89:90], v[30:31], off
	v_fma_f64 v[65:66], v[67:68], s[36:37], v[59:60]
	v_cvt_i32_f64_e32 v0, v[67:68]
	v_fma_f64 v[73:74], v[63:64], s[36:37], v[61:62]
	v_cvt_i32_f64_e32 v53, v[63:64]
	s_delay_alu instid0(VALU_DEP_4) | instskip(NEXT) | instid1(VALU_DEP_3)
	v_fma_f64 v[65:66], v[67:68], s[38:39], v[65:66]
	v_fma_f64 v[73:74], v[63:64], s[38:39], v[73:74]
	s_delay_alu instid0(VALU_DEP_2) | instskip(NEXT) | instid1(VALU_DEP_2)
	v_fma_f64 v[75:76], v[65:66], s[6:7], s[4:5]
	v_fma_f64 v[79:80], v[73:74], s[6:7], s[4:5]
	s_delay_alu instid0(VALU_DEP_2) | instskip(NEXT) | instid1(VALU_DEP_2)
	;; [unrolled: 3-line block ×6, first 2 shown]
	v_fma_f64 v[75:76], v[65:66], v[75:76], s[28:29]
	v_fma_f64 v[79:80], v[73:74], v[79:80], s[28:29]
	s_wait_loadcnt 0x1
	v_div_scale_f64 v[83:84], null, v[56:57], v[56:57], 1.0
	s_delay_alu instid0(VALU_DEP_3) | instskip(NEXT) | instid1(VALU_DEP_3)
	v_fma_f64 v[75:76], v[65:66], v[75:76], s[16:17]
	v_fma_f64 v[79:80], v[73:74], v[79:80], s[16:17]
	s_delay_alu instid0(VALU_DEP_3) | instskip(NEXT) | instid1(VALU_DEP_2)
	v_rcp_f64_e32 v[85:86], v[83:84]
	v_fma_f64 v[75:76], v[65:66], v[75:76], s[20:21]
	s_delay_alu instid0(VALU_DEP_2) | instskip(NEXT) | instid1(TRANS32_DEP_1)
	v_fma_f64 v[79:80], v[73:74], v[79:80], s[20:21]
	v_fma_f64 v[87:88], -v[83:84], v[85:86], 1.0
	s_delay_alu instid0(VALU_DEP_3) | instskip(NEXT) | instid1(VALU_DEP_3)
	v_fma_f64 v[75:76], v[65:66], v[75:76], s[24:25]
	v_fma_f64 v[79:80], v[73:74], v[79:80], s[24:25]
	s_delay_alu instid0(VALU_DEP_2) | instskip(SKIP_2) | instid1(VALU_DEP_4)
	v_fma_f64 v[30:31], v[65:66], v[75:76], 1.0
	v_fma_f64 v[75:76], v[77:78], v[81:82], s[20:21]
	v_fma_f64 v[81:82], v[85:86], v[87:88], v[85:86]
	v_fma_f64 v[79:80], v[73:74], v[79:80], 1.0
	s_delay_alu instid0(VALU_DEP_4) | instskip(NEXT) | instid1(VALU_DEP_4)
	v_fma_f64 v[30:31], v[65:66], v[30:31], 1.0
	v_fma_f64 v[65:66], v[77:78], v[75:76], s[24:25]
	s_delay_alu instid0(VALU_DEP_4) | instskip(NEXT) | instid1(VALU_DEP_4)
	v_fma_f64 v[67:68], -v[83:84], v[81:82], 1.0
	v_fma_f64 v[63:64], v[73:74], v[79:80], 1.0
	v_div_scale_f64 v[73:74], vcc_lo, 1.0, v[56:57], 1.0
	v_ldexp_f64 v[30:31], v[30:31], v0
	v_fma_f64 v[65:66], v[77:78], v[65:66], 1.0
	v_fma_f64 v[67:68], v[81:82], v[67:68], v[81:82]
	v_cvt_i32_f64_e32 v0, v[71:72]
	v_ldexp_f64 v[63:64], v[63:64], v53
	s_wait_alu 0xfffe
	v_mul_f64_e32 v[30:31], s[0:1], v[30:31]
	v_cmp_nlt_f64_e64 s0, 0x40900000, v[59:60]
	v_cmp_ngt_f64_e64 s1, 0xc090cc00, v[59:60]
	v_fma_f64 v[65:66], v[77:78], v[65:66], 1.0
	v_mul_f64_e32 v[71:72], v[73:74], v[67:68]
	v_mul_f64_e32 v[63:64], s[2:3], v[63:64]
	v_cmp_nlt_f64_e64 s2, 0x40900000, v[61:62]
	v_cmp_ngt_f64_e64 s3, 0xc090cc00, v[61:62]
	s_wait_alu 0xf1ff
	v_cndmask_b32_e64 v31, 0x7ff00000, v31, s0
	s_and_b32 s0, s1, s0
	v_ldexp_f64 v[58:59], v[65:66], v0
	v_fma_f64 v[60:61], -v[83:84], v[71:72], v[73:74]
	s_wait_alu 0xfffe
	v_cndmask_b32_e64 v30, 0, v30, s0
	v_cmp_nlt_f64_e64 s0, 0x40900000, v[69:70]
	v_cndmask_b32_e64 v31, 0, v31, s1
	v_cmp_ngt_f64_e64 s1, 0xc090cc00, v[69:70]
	v_cndmask_b32_e64 v0, 0x7ff00000, v64, s2
	s_and_b32 s2, s3, s2
	s_wait_alu 0xfffe
	v_cndmask_b32_e64 v63, 0, v63, s2
	s_delay_alu instid0(VALU_DEP_2) | instskip(SKIP_2) | instid1(VALU_DEP_1)
	v_cndmask_b32_e64 v64, 0, v0, s3
	s_mov_b32 s2, 0xedfa43fe
	s_mov_b32 s3, 0x3fe3c0eb
	v_add_f64_e32 v[30:31], v[30:31], v[63:64]
	v_cndmask_b32_e64 v0, 0x7ff00000, v59, s0
	s_wait_alu 0xfffd
	v_div_fmas_f64 v[59:60], v[60:61], v[67:68], v[71:72]
	s_and_b32 vcc_lo, s1, s0
	s_wait_alu 0xfffe
	v_cndmask_b32_e32 v61, 0, v58, vcc_lo
	v_cndmask_b32_e64 v62, 0, v0, s1
	s_delay_alu instid0(VALU_DEP_1) | instskip(NEXT) | instid1(VALU_DEP_4)
	v_add_f64_e32 v[30:31], v[61:62], v[30:31]
	v_div_fixup_f64 v[58:59], v[59:60], v[56:57], 1.0
	s_delay_alu instid0(VALU_DEP_2) | instskip(NEXT) | instid1(VALU_DEP_2)
	v_max_num_f64_e32 v[60:61], 0x38100000, v[30:31]
	v_mul_f64_e32 v[58:59], v[6:7], v[58:59]
	s_delay_alu instid0(VALU_DEP_2) | instskip(SKIP_1) | instid1(VALU_DEP_2)
	v_frexp_mant_f64_e32 v[62:63], v[60:61]
	s_wait_loadcnt 0x0
	v_mul_f64_e32 v[30:31], v[89:90], v[58:59]
	v_fma_f64 v[58:59], v[89:90], v[58:59], 1.0
	v_mad_co_u64_u32 v[88:89], null, 0xffffffbb, s33, v[52:53]
	v_mov_b32_e32 v89, v1
	v_cmp_gt_f64_e32 vcc_lo, s[46:47], v[62:63]
	v_max_num_f64_e32 v[64:65], 0x38100000, v[30:31]
	s_wait_alu 0xfffd
	v_cndmask_b32_e64 v0, 0, 1, vcc_lo
	s_delay_alu instid0(VALU_DEP_1) | instskip(NEXT) | instid1(VALU_DEP_3)
	v_ldexp_f64 v[62:63], v[62:63], v0
	v_frexp_mant_f64_e32 v[66:67], v[64:65]
	s_delay_alu instid0(VALU_DEP_2) | instskip(SKIP_1) | instid1(VALU_DEP_3)
	v_add_f64_e32 v[68:69], 1.0, v[62:63]
	v_add_f64_e32 v[80:81], -1.0, v[62:63]
	v_cmp_gt_f64_e64 s0, s[46:47], v[66:67]
	s_delay_alu instid0(VALU_DEP_3) | instskip(SKIP_2) | instid1(VALU_DEP_2)
	v_rcp_f64_e32 v[70:71], v[68:69]
	v_add_f64_e32 v[82:83], -1.0, v[68:69]
	s_wait_alu 0xf1ff
	v_cndmask_b32_e64 v0, 0, 1, s0
	s_delay_alu instid0(VALU_DEP_1) | instskip(SKIP_1) | instid1(VALU_DEP_4)
	v_ldexp_f64 v[66:67], v[66:67], v0
	v_frexp_exp_i32_f64_e32 v0, v[60:61]
	v_add_f64_e64 v[62:63], v[62:63], -v[82:83]
	s_delay_alu instid0(TRANS32_DEP_1) | instskip(NEXT) | instid1(VALU_DEP_4)
	v_fma_f64 v[72:73], -v[68:69], v[70:71], 1.0
	v_add_f64_e32 v[74:75], 1.0, v[66:67]
	v_add_f64_e32 v[86:87], -1.0, v[66:67]
	v_subrev_co_ci_u32_e64 v0, null, 0, v0, vcc_lo
	v_cmp_neq_f64_e32 vcc_lo, 0x7ff00000, v[60:61]
	v_fma_f64 v[70:71], v[72:73], v[70:71], v[70:71]
	v_rcp_f64_e32 v[72:73], v[74:75]
	s_delay_alu instid0(VALU_DEP_1) | instskip(NEXT) | instid1(TRANS32_DEP_1)
	v_fma_f64 v[76:77], -v[68:69], v[70:71], 1.0
	v_fma_f64 v[78:79], -v[74:75], v[72:73], 1.0
	s_delay_alu instid0(VALU_DEP_2) | instskip(NEXT) | instid1(VALU_DEP_2)
	v_fma_f64 v[70:71], v[76:77], v[70:71], v[70:71]
	v_fma_f64 v[72:73], v[78:79], v[72:73], v[72:73]
	s_delay_alu instid0(VALU_DEP_2) | instskip(NEXT) | instid1(VALU_DEP_2)
	v_mul_f64_e32 v[76:77], v[80:81], v[70:71]
	v_fma_f64 v[78:79], -v[74:75], v[72:73], 1.0
	s_delay_alu instid0(VALU_DEP_2) | instskip(NEXT) | instid1(VALU_DEP_2)
	v_mul_f64_e32 v[84:85], v[68:69], v[76:77]
	v_fma_f64 v[72:73], v[78:79], v[72:73], v[72:73]
	s_delay_alu instid0(VALU_DEP_2) | instskip(NEXT) | instid1(VALU_DEP_2)
	v_fma_f64 v[68:69], v[76:77], v[68:69], -v[84:85]
	v_mul_f64_e32 v[78:79], v[86:87], v[72:73]
	s_delay_alu instid0(VALU_DEP_2) | instskip(SKIP_1) | instid1(VALU_DEP_3)
	v_fma_f64 v[62:63], v[76:77], v[62:63], v[68:69]
	v_add_f64_e32 v[68:69], -1.0, v[74:75]
	v_mul_f64_e32 v[82:83], v[74:75], v[78:79]
	s_delay_alu instid0(VALU_DEP_3) | instskip(NEXT) | instid1(VALU_DEP_3)
	v_add_f64_e32 v[91:92], v[84:85], v[62:63]
	v_add_f64_e64 v[66:67], v[66:67], -v[68:69]
	s_delay_alu instid0(VALU_DEP_3) | instskip(NEXT) | instid1(VALU_DEP_3)
	v_fma_f64 v[68:69], v[78:79], v[74:75], -v[82:83]
	v_add_f64_e64 v[74:75], v[80:81], -v[91:92]
	s_delay_alu instid0(VALU_DEP_2) | instskip(SKIP_1) | instid1(VALU_DEP_3)
	v_fma_f64 v[66:67], v[78:79], v[66:67], v[68:69]
	v_add_f64_e64 v[68:69], v[91:92], -v[84:85]
	v_add_f64_e64 v[80:81], v[80:81], -v[74:75]
	s_delay_alu instid0(VALU_DEP_3) | instskip(NEXT) | instid1(VALU_DEP_3)
	v_add_f64_e32 v[84:85], v[82:83], v[66:67]
	v_add_f64_e64 v[62:63], v[68:69], -v[62:63]
	s_delay_alu instid0(VALU_DEP_3) | instskip(NEXT) | instid1(VALU_DEP_3)
	v_add_f64_e64 v[68:69], v[80:81], -v[91:92]
	v_add_f64_e64 v[80:81], v[86:87], -v[84:85]
	s_delay_alu instid0(VALU_DEP_2) | instskip(SKIP_1) | instid1(VALU_DEP_3)
	v_add_f64_e32 v[62:63], v[62:63], v[68:69]
	v_add_f64_e64 v[68:69], v[84:85], -v[82:83]
	v_add_f64_e64 v[82:83], v[86:87], -v[80:81]
	s_delay_alu instid0(VALU_DEP_3) | instskip(NEXT) | instid1(VALU_DEP_3)
	v_add_f64_e32 v[62:63], v[74:75], v[62:63]
	v_add_f64_e64 v[66:67], v[68:69], -v[66:67]
	s_delay_alu instid0(VALU_DEP_3) | instskip(NEXT) | instid1(VALU_DEP_3)
	v_add_f64_e64 v[68:69], v[82:83], -v[84:85]
	v_mul_f64_e32 v[62:63], v[70:71], v[62:63]
	s_delay_alu instid0(VALU_DEP_2) | instskip(NEXT) | instid1(VALU_DEP_2)
	v_add_f64_e32 v[66:67], v[66:67], v[68:69]
	v_add_f64_e32 v[68:69], v[76:77], v[62:63]
	s_delay_alu instid0(VALU_DEP_2) | instskip(NEXT) | instid1(VALU_DEP_2)
	v_add_f64_e32 v[66:67], v[80:81], v[66:67]
	v_mul_f64_e32 v[70:71], v[68:69], v[68:69]
	s_delay_alu instid0(VALU_DEP_2) | instskip(NEXT) | instid1(VALU_DEP_2)
	v_mul_f64_e32 v[66:67], v[72:73], v[66:67]
	v_fma_f64 v[72:73], v[70:71], s[42:43], s[40:41]
	v_mul_f64_e32 v[84:85], v[68:69], v[70:71]
	s_delay_alu instid0(VALU_DEP_3) | instskip(NEXT) | instid1(VALU_DEP_3)
	v_add_f64_e32 v[74:75], v[78:79], v[66:67]
	v_fma_f64 v[72:73], v[70:71], v[72:73], s[44:45]
	s_delay_alu instid0(VALU_DEP_2) | instskip(NEXT) | instid1(VALU_DEP_2)
	v_mul_f64_e32 v[80:81], v[74:75], v[74:75]
	v_fma_f64 v[72:73], v[70:71], v[72:73], s[50:51]
	s_delay_alu instid0(VALU_DEP_2) | instskip(NEXT) | instid1(VALU_DEP_2)
	v_fma_f64 v[82:83], v[80:81], s[42:43], s[40:41]
	v_fma_f64 v[72:73], v[70:71], v[72:73], s[54:55]
	s_delay_alu instid0(VALU_DEP_2) | instskip(NEXT) | instid1(VALU_DEP_2)
	v_fma_f64 v[82:83], v[80:81], v[82:83], s[44:45]
	;; [unrolled: 3-line block ×3, first 2 shown]
	v_fma_f64 v[70:71], v[70:71], v[72:73], s[56:57]
	s_delay_alu instid0(VALU_DEP_2) | instskip(SKIP_2) | instid1(VALU_DEP_4)
	v_fma_f64 v[72:73], v[80:81], v[82:83], s[54:55]
	v_ldexp_f64 v[82:83], v[68:69], 1
	v_add_f64_e64 v[68:69], v[68:69], -v[76:77]
	v_mul_f64_e32 v[70:71], v[84:85], v[70:71]
	v_mul_f64_e32 v[84:85], v[74:75], v[80:81]
	v_fma_f64 v[72:73], v[80:81], v[72:73], s[52:53]
	s_delay_alu instid0(VALU_DEP_4) | instskip(NEXT) | instid1(VALU_DEP_4)
	v_add_f64_e64 v[62:63], v[62:63], -v[68:69]
	v_add_f64_e32 v[76:77], v[82:83], v[70:71]
	s_delay_alu instid0(VALU_DEP_3) | instskip(SKIP_1) | instid1(VALU_DEP_4)
	v_fma_f64 v[72:73], v[80:81], v[72:73], s[56:57]
	v_ldexp_f64 v[80:81], v[74:75], 1
	v_ldexp_f64 v[62:63], v[62:63], 1
	s_delay_alu instid0(VALU_DEP_4) | instskip(NEXT) | instid1(VALU_DEP_4)
	v_add_f64_e64 v[68:69], v[76:77], -v[82:83]
	v_mul_f64_e32 v[72:73], v[84:85], v[72:73]
	s_delay_alu instid0(VALU_DEP_2) | instskip(SKIP_1) | instid1(VALU_DEP_3)
	v_add_f64_e64 v[68:69], v[70:71], -v[68:69]
	v_add_f64_e64 v[70:71], v[74:75], -v[78:79]
	v_add_f64_e32 v[74:75], v[80:81], v[72:73]
	s_delay_alu instid0(VALU_DEP_3) | instskip(NEXT) | instid1(VALU_DEP_3)
	v_add_f64_e32 v[62:63], v[62:63], v[68:69]
	v_add_f64_e64 v[66:67], v[66:67], -v[70:71]
	s_delay_alu instid0(VALU_DEP_3) | instskip(NEXT) | instid1(VALU_DEP_3)
	v_add_f64_e64 v[68:69], v[74:75], -v[80:81]
	v_add_f64_e32 v[70:71], v[76:77], v[62:63]
	s_delay_alu instid0(VALU_DEP_3) | instskip(NEXT) | instid1(VALU_DEP_3)
	v_ldexp_f64 v[66:67], v[66:67], 1
	v_add_f64_e64 v[68:69], v[72:73], -v[68:69]
	v_cvt_f64_i32_e32 v[72:73], v0
	v_frexp_exp_i32_f64_e32 v0, v[64:65]
	v_add_f64_e64 v[76:77], v[70:71], -v[76:77]
	v_mul_f64_e32 v[78:79], s[30:31], v[70:71]
	v_add_f64_e32 v[66:67], v[66:67], v[68:69]
	v_mul_f64_e32 v[68:69], s[48:49], v[72:73]
	v_subrev_co_ci_u32_e64 v0, null, 0, v0, s0
	v_add_f64_e64 v[62:63], v[62:63], -v[76:77]
	v_fma_f64 v[76:77], v[70:71], s[30:31], -v[78:79]
	v_add_f64_e32 v[80:81], v[74:75], v[66:67]
	v_fma_f64 v[82:83], v[72:73], s[48:49], -v[68:69]
	s_delay_alu instid0(VALU_DEP_3) | instskip(SKIP_1) | instid1(VALU_DEP_4)
	v_fma_f64 v[62:63], v[62:63], s[30:31], v[76:77]
	v_cvt_f64_i32_e32 v[76:77], v0
	v_add_f64_e64 v[74:75], v[80:81], -v[74:75]
	v_mul_f64_e32 v[84:85], s[30:31], v[80:81]
	v_fma_f64 v[72:73], v[72:73], s[58:59], v[82:83]
	v_fma_f64 v[62:63], v[70:71], s[60:61], v[62:63]
	v_mul_f64_e32 v[70:71], s[48:49], v[76:77]
	v_add_f64_e64 v[66:67], v[66:67], -v[74:75]
	v_fma_f64 v[74:75], v[80:81], s[30:31], -v[84:85]
	v_add_f64_e32 v[82:83], v[68:69], v[72:73]
	v_add_f64_e32 v[86:87], v[78:79], v[62:63]
	v_fma_f64 v[91:92], v[76:77], s[48:49], -v[70:71]
	s_delay_alu instid0(VALU_DEP_4) | instskip(NEXT) | instid1(VALU_DEP_4)
	v_fma_f64 v[66:67], v[66:67], s[30:31], v[74:75]
	v_add_f64_e64 v[68:69], v[82:83], -v[68:69]
	s_delay_alu instid0(VALU_DEP_4) | instskip(NEXT) | instid1(VALU_DEP_4)
	v_add_f64_e32 v[74:75], v[82:83], v[86:87]
	v_fma_f64 v[76:77], v[76:77], s[58:59], v[91:92]
	s_delay_alu instid0(VALU_DEP_4) | instskip(NEXT) | instid1(VALU_DEP_4)
	v_fma_f64 v[66:67], v[80:81], s[60:61], v[66:67]
	v_add_f64_e64 v[68:69], v[72:73], -v[68:69]
	v_add_f64_e64 v[72:73], v[86:87], -v[78:79]
	;; [unrolled: 1-line block ×3, first 2 shown]
	v_add_f64_e32 v[80:81], v[70:71], v[76:77]
	v_add_f64_e32 v[91:92], v[84:85], v[66:67]
	s_delay_alu instid0(VALU_DEP_4) | instskip(NEXT) | instid1(VALU_DEP_4)
	v_add_f64_e64 v[62:63], v[62:63], -v[72:73]
	v_add_f64_e64 v[72:73], v[74:75], -v[78:79]
	;; [unrolled: 1-line block ×4, first 2 shown]
	v_add_f64_e32 v[86:87], v[80:81], v[91:92]
	v_add_f64_e64 v[84:85], v[91:92], -v[84:85]
	v_add_f64_e64 v[72:73], v[82:83], -v[72:73]
	s_delay_alu instid0(VALU_DEP_4) | instskip(SKIP_4) | instid1(VALU_DEP_3)
	v_add_f64_e64 v[70:71], v[76:77], -v[70:71]
	v_add_f64_e32 v[76:77], v[68:69], v[62:63]
	v_add_f64_e64 v[82:83], v[86:87], -v[80:81]
	v_add_f64_e64 v[66:67], v[66:67], -v[84:85]
	v_add_f64_e32 v[72:73], v[78:79], v[72:73]
	v_add_f64_e64 v[78:79], v[86:87], -v[82:83]
	v_add_f64_e64 v[82:83], v[91:92], -v[82:83]
	s_delay_alu instid0(VALU_DEP_4) | instskip(NEXT) | instid1(VALU_DEP_4)
	v_add_f64_e32 v[84:85], v[70:71], v[66:67]
	v_add_f64_e32 v[72:73], v[76:77], v[72:73]
	s_delay_alu instid0(VALU_DEP_4) | instskip(SKIP_1) | instid1(VALU_DEP_4)
	v_add_f64_e64 v[78:79], v[80:81], -v[78:79]
	v_add_f64_e64 v[80:81], v[76:77], -v[68:69]
	;; [unrolled: 1-line block ×3, first 2 shown]
	s_delay_alu instid0(VALU_DEP_3) | instskip(NEXT) | instid1(VALU_DEP_3)
	v_add_f64_e32 v[78:79], v[82:83], v[78:79]
	v_add_f64_e64 v[76:77], v[76:77], -v[80:81]
	v_add_f64_e32 v[82:83], v[74:75], v[72:73]
	v_add_f64_e64 v[62:63], v[62:63], -v[80:81]
	v_add_f64_e64 v[66:67], v[66:67], -v[91:92]
	v_add_f64_e32 v[78:79], v[84:85], v[78:79]
	v_add_f64_e64 v[68:69], v[68:69], -v[76:77]
	v_add_f64_e64 v[74:75], v[82:83], -v[74:75]
	;; [unrolled: 1-line block ×3, first 2 shown]
	s_delay_alu instid0(VALU_DEP_4) | instskip(NEXT) | instid1(VALU_DEP_4)
	v_add_f64_e32 v[80:81], v[86:87], v[78:79]
	v_add_f64_e32 v[62:63], v[62:63], v[68:69]
	s_delay_alu instid0(VALU_DEP_4) | instskip(NEXT) | instid1(VALU_DEP_4)
	v_add_f64_e64 v[68:69], v[72:73], -v[74:75]
	v_add_f64_e64 v[70:71], v[70:71], -v[76:77]
	s_delay_alu instid0(VALU_DEP_4) | instskip(NEXT) | instid1(VALU_DEP_3)
	v_add_f64_e64 v[72:73], v[80:81], -v[86:87]
	v_add_f64_e32 v[62:63], v[62:63], v[68:69]
	s_delay_alu instid0(VALU_DEP_3) | instskip(NEXT) | instid1(VALU_DEP_3)
	v_add_f64_e32 v[66:67], v[66:67], v[70:71]
	v_add_f64_e64 v[68:69], v[78:79], -v[72:73]
	s_delay_alu instid0(VALU_DEP_3) | instskip(NEXT) | instid1(VALU_DEP_2)
	v_add_f64_e32 v[62:63], v[82:83], v[62:63]
	v_add_f64_e32 v[60:61], v[66:67], v[68:69]
	s_wait_alu 0xfffd
	s_delay_alu instid0(VALU_DEP_2) | instskip(NEXT) | instid1(VALU_DEP_3)
	v_cndmask_b32_e32 v63, 0x7ff00000, v63, vcc_lo
	v_cndmask_b32_e32 v62, 0, v62, vcc_lo
	v_cmp_neq_f64_e32 vcc_lo, 0x7ff00000, v[64:65]
	s_delay_alu instid0(VALU_DEP_2) | instskip(SKIP_3) | instid1(VALU_DEP_1)
	v_fma_f64 v[64:65], v[62:63], s[72:73], s[64:65]
	v_fma_f64 v[66:67], v[62:63], s[76:77], 0x3fe80000
	v_add_f64_e32 v[60:61], v[80:81], v[60:61]
	s_wait_alu 0xfffd
	v_cndmask_b32_e32 v61, 0x7ff00000, v61, vcc_lo
	s_delay_alu instid0(VALU_DEP_2) | instskip(SKIP_1) | instid1(VALU_DEP_2)
	v_cndmask_b32_e32 v60, 0, v60, vcc_lo
	v_div_scale_f64 v[78:79], vcc_lo, 1.0, v[58:59], 1.0
	v_add_f64_e64 v[60:61], v[60:61], -v[64:65]
	s_delay_alu instid0(VALU_DEP_1) | instskip(SKIP_1) | instid1(VALU_DEP_2)
	v_fma_f64 v[64:65], v[60:61], s[78:79], v[66:67]
	v_div_scale_f64 v[66:67], null, v[58:59], v[58:59], 1.0
	v_div_scale_f64 v[68:69], null, v[64:65], v[64:65], 1.0
	s_delay_alu instid0(VALU_DEP_2) | instskip(NEXT) | instid1(VALU_DEP_1)
	v_rcp_f64_e32 v[70:71], v[66:67]
	v_rcp_f64_e32 v[72:73], v[68:69]
	s_delay_alu instid0(TRANS32_DEP_2) | instskip(NEXT) | instid1(TRANS32_DEP_1)
	v_fma_f64 v[74:75], -v[66:67], v[70:71], 1.0
	v_fma_f64 v[76:77], -v[68:69], v[72:73], 1.0
	s_delay_alu instid0(VALU_DEP_2) | instskip(NEXT) | instid1(VALU_DEP_2)
	v_fma_f64 v[70:71], v[70:71], v[74:75], v[70:71]
	v_fma_f64 v[72:73], v[72:73], v[76:77], v[72:73]
	s_delay_alu instid0(VALU_DEP_2) | instskip(NEXT) | instid1(VALU_DEP_2)
	v_fma_f64 v[74:75], -v[66:67], v[70:71], 1.0
	v_fma_f64 v[76:77], -v[68:69], v[72:73], 1.0
	s_delay_alu instid0(VALU_DEP_2) | instskip(SKIP_1) | instid1(VALU_DEP_3)
	v_fma_f64 v[70:71], v[70:71], v[74:75], v[70:71]
	v_div_scale_f64 v[74:75], s0, 1.0, v[64:65], 1.0
	v_fma_f64 v[72:73], v[72:73], v[76:77], v[72:73]
	s_delay_alu instid0(VALU_DEP_3) | instskip(NEXT) | instid1(VALU_DEP_2)
	v_mul_f64_e32 v[76:77], v[78:79], v[70:71]
	v_mul_f64_e32 v[80:81], v[74:75], v[72:73]
	s_delay_alu instid0(VALU_DEP_2) | instskip(SKIP_1) | instid1(VALU_DEP_3)
	v_fma_f64 v[66:67], -v[66:67], v[76:77], v[78:79]
	v_mul_f64_e32 v[78:79], 0xc0b3e500, v[18:19]
	v_fma_f64 v[68:69], -v[68:69], v[80:81], v[74:75]
	s_wait_alu 0xfffd
	s_delay_alu instid0(VALU_DEP_3) | instskip(SKIP_4) | instid1(VALU_DEP_2)
	v_div_fmas_f64 v[66:67], v[66:67], v[70:71], v[76:77]
	s_mov_b32 vcc_lo, s0
	s_mov_b32 s0, 0x251e9ea8
	s_mov_b32 s1, 0xbfb393ee
	s_wait_alu 0xfffe
	v_div_fmas_f64 v[68:69], v[68:69], v[72:73], v[80:81]
	s_delay_alu instid0(VALU_DEP_2) | instskip(NEXT) | instid1(VALU_DEP_2)
	v_div_fixup_f64 v[58:59], v[66:67], v[58:59], 1.0
	v_div_fixup_f64 v[64:65], v[68:69], v[64:65], 1.0
	s_delay_alu instid0(VALU_DEP_2) | instskip(NEXT) | instid1(VALU_DEP_2)
	v_mul_f64_e32 v[30:31], v[30:31], v[58:59]
	v_mul_f64_e32 v[60:61], v[60:61], v[64:65]
	s_delay_alu instid0(VALU_DEP_1) | instskip(NEXT) | instid1(VALU_DEP_1)
	v_fma_f64 v[60:61], v[60:61], v[60:61], 1.0
	v_div_scale_f64 v[64:65], null, v[60:61], v[60:61], 1.0
	v_div_scale_f64 v[72:73], vcc_lo, 1.0, v[60:61], 1.0
	s_delay_alu instid0(VALU_DEP_2) | instskip(NEXT) | instid1(TRANS32_DEP_1)
	v_rcp_f64_e32 v[68:69], v[64:65]
	v_fma_f64 v[70:71], -v[64:65], v[68:69], 1.0
	s_delay_alu instid0(VALU_DEP_1) | instskip(NEXT) | instid1(VALU_DEP_1)
	v_fma_f64 v[68:69], v[68:69], v[70:71], v[68:69]
	v_fma_f64 v[70:71], -v[64:65], v[68:69], 1.0
	s_delay_alu instid0(VALU_DEP_1) | instskip(NEXT) | instid1(VALU_DEP_1)
	v_fma_f64 v[68:69], v[68:69], v[70:71], v[68:69]
	v_mul_f64_e32 v[70:71], v[72:73], v[68:69]
	s_delay_alu instid0(VALU_DEP_1) | instskip(SKIP_1) | instid1(VALU_DEP_1)
	v_fma_f64 v[64:65], -v[64:65], v[70:71], v[72:73]
	s_wait_alu 0xfffd
	v_div_fmas_f64 v[64:65], v[64:65], v[68:69], v[70:71]
	v_mul_f64_e32 v[70:71], s[0:1], v[8:9]
	s_mov_b32 s0, 0x80dcc421
	s_mov_b32 s1, 0xbf3f89bb
	s_wait_alu 0xfffe
	v_mul_f64_e32 v[72:73], s[0:1], v[8:9]
	s_delay_alu instid0(VALU_DEP_3) | instskip(NEXT) | instid1(VALU_DEP_3)
	v_div_fixup_f64 v[60:61], v[64:65], v[60:61], 1.0
	v_mul_f64_e32 v[74:75], s[34:35], v[70:71]
	s_delay_alu instid0(VALU_DEP_3) | instskip(NEXT) | instid1(VALU_DEP_3)
	v_mul_f64_e32 v[76:77], s[34:35], v[72:73]
	v_mul_f64_e32 v[60:61], v[62:63], v[60:61]
	s_delay_alu instid0(VALU_DEP_3) | instskip(NEXT) | instid1(VALU_DEP_3)
	v_rndne_f64_e32 v[74:75], v[74:75]
	v_rndne_f64_e32 v[76:77], v[76:77]
	s_delay_alu instid0(VALU_DEP_3) | instskip(SKIP_2) | instid1(VALU_DEP_4)
	v_mul_f64_e32 v[62:63], s[62:63], v[60:61]
	v_cmp_nlt_f64_e32 vcc_lo, 0x40900000, v[60:61]
	v_cmp_ngt_f64_e64 s0, 0xc090cc00, v[60:61]
	v_fma_f64 v[80:81], v[76:77], s[36:37], v[72:73]
	s_delay_alu instid0(VALU_DEP_4) | instskip(NEXT) | instid1(VALU_DEP_1)
	v_rndne_f64_e32 v[62:63], v[62:63]
	v_fma_f64 v[64:65], v[62:63], s[68:69], v[60:61]
	v_cvt_i32_f64_e32 v0, v[62:63]
	s_delay_alu instid0(VALU_DEP_2) | instskip(NEXT) | instid1(VALU_DEP_1)
	v_fma_f64 v[64:65], v[62:63], s[66:67], v[64:65]
	v_mul_f64_e32 v[68:69], s[70:71], v[64:65]
	s_delay_alu instid0(VALU_DEP_1) | instskip(NEXT) | instid1(VALU_DEP_1)
	v_fma_f64 v[64:65], v[64:65], s[74:75], v[68:69]
	v_fma_f64 v[68:69], v[64:65], s[6:7], s[4:5]
	s_delay_alu instid0(VALU_DEP_1) | instskip(NEXT) | instid1(VALU_DEP_1)
	v_fma_f64 v[68:69], v[64:65], v[68:69], s[14:15]
	v_fma_f64 v[68:69], v[64:65], v[68:69], s[18:19]
	;; [unrolled: 3-line block ×5, first 2 shown]
	s_delay_alu instid0(VALU_DEP_1) | instskip(NEXT) | instid1(VALU_DEP_1)
	v_fma_f64 v[68:69], v[64:65], v[68:69], 1.0
	v_fma_f64 v[62:63], v[64:65], v[68:69], 1.0
	v_fma_f64 v[64:65], v[74:75], s[36:37], v[70:71]
	v_mul_f64_e32 v[68:69], s[34:35], v[78:79]
	s_delay_alu instid0(VALU_DEP_3) | instskip(NEXT) | instid1(VALU_DEP_3)
	v_ldexp_f64 v[62:63], v[62:63], v0
	v_fma_f64 v[64:65], v[74:75], s[38:39], v[64:65]
	s_delay_alu instid0(VALU_DEP_3) | instskip(SKIP_2) | instid1(VALU_DEP_4)
	v_rndne_f64_e32 v[66:67], v[68:69]
	v_fma_f64 v[68:69], v[76:77], s[38:39], v[80:81]
	s_wait_alu 0xfffd
	v_cndmask_b32_e32 v0, 0x7ff00000, v63, vcc_lo
	s_delay_alu instid0(VALU_DEP_4) | instskip(NEXT) | instid1(VALU_DEP_4)
	v_fma_f64 v[58:59], v[64:65], s[6:7], s[4:5]
	v_fma_f64 v[60:61], v[66:67], s[36:37], v[78:79]
	s_and_b32 vcc_lo, s0, vcc_lo
	s_delay_alu instid0(VALU_DEP_4)
	v_fma_f64 v[80:81], v[68:69], s[6:7], s[4:5]
	v_cndmask_b32_e64 v63, 0, v0, s0
	s_wait_alu 0xfffe
	v_cndmask_b32_e32 v62, 0, v62, vcc_lo
	v_cvt_i32_f64_e32 v0, v[74:75]
	s_mov_b32 s0, 0x240b7803
	s_mov_b32 s1, 0x3fd87e28
	s_delay_alu instid0(VALU_DEP_2) | instskip(SKIP_3) | instid1(VALU_DEP_4)
	v_mul_f64_e32 v[30:31], v[30:31], v[62:63]
	v_fma_f64 v[58:59], v[64:65], v[58:59], s[14:15]
	v_fma_f64 v[62:63], v[66:67], s[38:39], v[60:61]
	;; [unrolled: 1-line block ×3, first 2 shown]
	v_mul_f64_e32 v[80:81], v[56:57], v[30:31]
	v_mad_co_u64_u32 v[56:57], null, 0x50, s33, v[88:89]
	v_mov_b32_e32 v57, v1
	s_delay_alu instid0(VALU_DEP_1) | instskip(SKIP_3) | instid1(VALU_DEP_4)
	v_lshlrev_b64_e32 v[52:53], 3, v[56:57]
	v_cvt_i32_f64_e32 v57, v[76:77]
	v_fma_f64 v[82:83], v[64:65], v[58:59], s[18:19]
	v_fma_f64 v[84:85], v[62:63], s[6:7], s[4:5]
	v_add_co_u32 v58, vcc_lo, s8, v52
	s_wait_alu 0xfffd
	v_add_co_ci_u32_e64 v59, null, s9, v53, vcc_lo
	v_fma_f64 v[86:87], v[68:69], v[60:61], s[18:19]
	v_cmp_nlt_f64_e32 vcc_lo, 0x40900000, v[70:71]
	global_store_b64 v[54:55], v[80:81], off
	global_load_b64 v[60:61], v[58:59], off
	v_fma_f64 v[54:55], v[64:65], v[82:83], s[22:23]
	v_fma_f64 v[80:81], v[62:63], v[84:85], s[14:15]
	;; [unrolled: 1-line block ×3, first 2 shown]
	s_delay_alu instid0(VALU_DEP_3) | instskip(NEXT) | instid1(VALU_DEP_3)
	v_fma_f64 v[54:55], v[64:65], v[54:55], s[26:27]
	v_fma_f64 v[80:81], v[62:63], v[80:81], s[18:19]
	s_delay_alu instid0(VALU_DEP_3) | instskip(NEXT) | instid1(VALU_DEP_3)
	v_fma_f64 v[82:83], v[68:69], v[82:83], s[26:27]
	v_fma_f64 v[54:55], v[64:65], v[54:55], s[28:29]
	;; [unrolled: 3-line block ×7, first 2 shown]
	s_delay_alu instid0(VALU_DEP_3) | instskip(NEXT) | instid1(VALU_DEP_3)
	v_fma_f64 v[82:83], v[68:69], v[82:83], s[24:25]
	v_fma_f64 v[54:55], v[64:65], v[54:55], 1.0
	s_delay_alu instid0(VALU_DEP_3) | instskip(NEXT) | instid1(VALU_DEP_3)
	v_fma_f64 v[80:81], v[62:63], v[80:81], s[20:21]
	v_fma_f64 v[82:83], v[68:69], v[82:83], 1.0
	s_delay_alu instid0(VALU_DEP_3) | instskip(NEXT) | instid1(VALU_DEP_3)
	v_fma_f64 v[54:55], v[64:65], v[54:55], 1.0
	v_fma_f64 v[64:65], v[62:63], v[80:81], s[24:25]
	s_delay_alu instid0(VALU_DEP_3) | instskip(SKIP_2) | instid1(VALU_DEP_4)
	v_fma_f64 v[68:69], v[68:69], v[82:83], 1.0
	s_wait_loadcnt 0x0
	v_div_scale_f64 v[74:75], null, v[60:61], v[60:61], 1.0
	v_ldexp_f64 v[54:55], v[54:55], v0
	s_delay_alu instid0(VALU_DEP_4) | instskip(SKIP_4) | instid1(VALU_DEP_4)
	v_fma_f64 v[64:65], v[62:63], v[64:65], 1.0
	v_cvt_i32_f64_e32 v0, v[66:67]
	v_ldexp_f64 v[68:69], v[68:69], v57
	v_rcp_f64_e32 v[66:67], v[74:75]
	s_wait_alu 0xfffe
	v_mul_f64_e32 v[54:55], s[0:1], v[54:55]
	v_cmp_ngt_f64_e64 s0, 0xc090cc00, v[70:71]
	v_fma_f64 v[62:63], v[62:63], v[64:65], 1.0
	v_cmp_nlt_f64_e64 s1, 0x40900000, v[72:73]
	v_lshlrev_b64_e32 v[70:71], 3, v[88:89]
	v_mul_f64_e32 v[64:65], s[2:3], v[68:69]
	v_cmp_ngt_f64_e64 s2, 0xc090cc00, v[72:73]
	s_delay_alu instid0(VALU_DEP_3) | instskip(SKIP_1) | instid1(VALU_DEP_4)
	v_add_co_u32 v70, s3, s12, v70
	s_wait_alu 0xf1ff
	v_add_co_ci_u32_e64 v71, null, s13, v71, s3
	global_load_b64 v[70:71], v[70:71], off
	v_fma_f64 v[68:69], -v[74:75], v[66:67], 1.0
	s_wait_alu 0xfffd
	v_cndmask_b32_e32 v55, 0x7ff00000, v55, vcc_lo
	s_and_b32 vcc_lo, s0, vcc_lo
	v_ldexp_f64 v[62:63], v[62:63], v0
	s_wait_alu 0xfffe
	v_cndmask_b32_e32 v54, 0, v54, vcc_lo
	v_cmp_nlt_f64_e32 vcc_lo, 0x40900000, v[78:79]
	v_cndmask_b32_e64 v55, 0, v55, s0
	v_cndmask_b32_e64 v0, 0x7ff00000, v65, s1
	v_cmp_ngt_f64_e64 s0, 0xc090cc00, v[78:79]
	s_and_b32 s1, s2, s1
	s_wait_alu 0xfffe
	v_cndmask_b32_e64 v64, 0, v64, s1
	v_cndmask_b32_e64 v65, 0, v0, s2
	s_mov_b32 s2, 0x70a3d70a
	s_mov_b32 s3, 0x3fe10a3d
	s_delay_alu instid0(VALU_DEP_1) | instskip(SKIP_4) | instid1(VALU_DEP_2)
	v_add_f64_e32 v[54:55], v[54:55], v[64:65]
	s_wait_alu 0xfffd
	v_cndmask_b32_e32 v0, 0x7ff00000, v63, vcc_lo
	v_fma_f64 v[63:64], v[66:67], v[68:69], v[66:67]
	s_and_b32 vcc_lo, s0, vcc_lo
	v_cndmask_b32_e64 v66, 0, v0, s0
	s_wait_alu 0xfffe
	v_cndmask_b32_e32 v65, 0, v62, vcc_lo
	s_delay_alu instid0(VALU_DEP_1) | instskip(NEXT) | instid1(VALU_DEP_4)
	v_add_f64_e32 v[54:55], v[65:66], v[54:55]
	v_fma_f64 v[65:66], -v[74:75], v[63:64], 1.0
	s_delay_alu instid0(VALU_DEP_2) | instskip(SKIP_1) | instid1(VALU_DEP_3)
	v_max_num_f64_e32 v[67:68], 0x38100000, v[54:55]
	v_div_scale_f64 v[54:55], vcc_lo, 1.0, v[60:61], 1.0
	v_fma_f64 v[62:63], v[63:64], v[65:66], v[63:64]
	s_delay_alu instid0(VALU_DEP_3) | instskip(NEXT) | instid1(VALU_DEP_2)
	v_frexp_mant_f64_e32 v[64:65], v[67:68]
	v_mul_f64_e32 v[72:73], v[54:55], v[62:63]
	s_delay_alu instid0(VALU_DEP_2) | instskip(NEXT) | instid1(VALU_DEP_2)
	v_cmp_gt_f64_e64 s0, s[46:47], v[64:65]
	v_fma_f64 v[54:55], -v[74:75], v[72:73], v[54:55]
	s_wait_alu 0xf1ff
	s_delay_alu instid0(VALU_DEP_2) | instskip(NEXT) | instid1(VALU_DEP_1)
	v_cndmask_b32_e64 v0, 0, 1, s0
	v_ldexp_f64 v[64:65], v[64:65], v0
	s_wait_alu 0xfffd
	s_delay_alu instid0(VALU_DEP_3) | instskip(NEXT) | instid1(VALU_DEP_2)
	v_div_fmas_f64 v[54:55], v[54:55], v[62:63], v[72:73]
	v_add_f64_e32 v[62:63], 1.0, v[64:65]
	v_add_f64_e32 v[82:83], -1.0, v[64:65]
	s_delay_alu instid0(VALU_DEP_3) | instskip(NEXT) | instid1(VALU_DEP_3)
	v_div_fixup_f64 v[54:55], v[54:55], v[60:61], 1.0
	v_rcp_f64_e32 v[72:73], v[62:63]
	v_add_f64_e32 v[84:85], -1.0, v[62:63]
	s_delay_alu instid0(VALU_DEP_2) | instskip(NEXT) | instid1(VALU_DEP_2)
	v_mul_f64_e32 v[74:75], v[6:7], v[54:55]
	v_add_f64_e64 v[64:65], v[64:65], -v[84:85]
	s_delay_alu instid0(TRANS32_DEP_1) | instskip(SKIP_1) | instid1(VALU_DEP_3)
	v_fma_f64 v[76:77], -v[62:63], v[72:73], 1.0
	s_wait_loadcnt 0x0
	v_mul_f64_e32 v[54:55], v[70:71], v[74:75]
	s_delay_alu instid0(VALU_DEP_2) | instskip(NEXT) | instid1(VALU_DEP_2)
	v_fma_f64 v[72:73], v[76:77], v[72:73], v[72:73]
	v_max_num_f64_e32 v[76:77], 0x38100000, v[54:55]
	s_delay_alu instid0(VALU_DEP_2) | instskip(NEXT) | instid1(VALU_DEP_2)
	v_fma_f64 v[78:79], -v[62:63], v[72:73], 1.0
	v_frexp_mant_f64_e32 v[80:81], v[76:77]
	s_delay_alu instid0(VALU_DEP_2) | instskip(NEXT) | instid1(VALU_DEP_2)
	v_fma_f64 v[72:73], v[78:79], v[72:73], v[72:73]
	v_cmp_gt_f64_e32 vcc_lo, s[46:47], v[80:81]
	s_wait_alu 0xfffd
	v_cndmask_b32_e64 v0, 0, 1, vcc_lo
	s_delay_alu instid0(VALU_DEP_1) | instskip(NEXT) | instid1(VALU_DEP_4)
	v_ldexp_f64 v[78:79], v[80:81], v0
	v_mul_f64_e32 v[80:81], v[82:83], v[72:73]
	v_frexp_exp_i32_f64_e32 v0, v[67:68]
	s_delay_alu instid0(VALU_DEP_3) | instskip(NEXT) | instid1(VALU_DEP_3)
	v_add_f64_e32 v[86:87], 1.0, v[78:79]
	v_mul_f64_e32 v[88:89], v[62:63], v[80:81]
	s_delay_alu instid0(VALU_DEP_3) | instskip(NEXT) | instid1(VALU_DEP_3)
	v_subrev_co_ci_u32_e64 v0, null, 0, v0, s0
	v_rcp_f64_e32 v[84:85], v[86:87]
	s_delay_alu instid0(VALU_DEP_2) | instskip(NEXT) | instid1(VALU_DEP_1)
	v_fma_f64 v[62:63], v[80:81], v[62:63], -v[88:89]
	v_fma_f64 v[62:63], v[80:81], v[64:65], v[62:63]
	s_delay_alu instid0(TRANS32_DEP_1) | instskip(NEXT) | instid1(VALU_DEP_2)
	v_fma_f64 v[64:65], -v[86:87], v[84:85], 1.0
	v_add_f64_e32 v[90:91], v[88:89], v[62:63]
	s_delay_alu instid0(VALU_DEP_2) | instskip(NEXT) | instid1(VALU_DEP_2)
	v_fma_f64 v[64:65], v[64:65], v[84:85], v[84:85]
	v_add_f64_e64 v[84:85], v[82:83], -v[90:91]
	s_delay_alu instid0(VALU_DEP_2) | instskip(SKIP_1) | instid1(VALU_DEP_3)
	v_fma_f64 v[92:93], -v[86:87], v[64:65], 1.0
	v_add_f64_e64 v[88:89], v[90:91], -v[88:89]
	v_add_f64_e64 v[82:83], v[82:83], -v[84:85]
	s_delay_alu instid0(VALU_DEP_3) | instskip(SKIP_1) | instid1(VALU_DEP_4)
	v_fma_f64 v[64:65], v[92:93], v[64:65], v[64:65]
	v_add_f64_e32 v[92:93], -1.0, v[78:79]
	v_add_f64_e64 v[62:63], v[88:89], -v[62:63]
	s_delay_alu instid0(VALU_DEP_4) | instskip(NEXT) | instid1(VALU_DEP_3)
	v_add_f64_e64 v[82:83], v[82:83], -v[90:91]
	v_mul_f64_e32 v[88:89], v[92:93], v[64:65]
	s_delay_alu instid0(VALU_DEP_2) | instskip(SKIP_1) | instid1(VALU_DEP_3)
	v_add_f64_e32 v[62:63], v[62:63], v[82:83]
	v_add_f64_e32 v[82:83], -1.0, v[86:87]
	v_mul_f64_e32 v[90:91], v[86:87], v[88:89]
	s_delay_alu instid0(VALU_DEP_3) | instskip(NEXT) | instid1(VALU_DEP_3)
	v_add_f64_e32 v[62:63], v[84:85], v[62:63]
	v_add_f64_e64 v[78:79], v[78:79], -v[82:83]
	s_delay_alu instid0(VALU_DEP_3) | instskip(NEXT) | instid1(VALU_DEP_3)
	v_fma_f64 v[82:83], v[88:89], v[86:87], -v[90:91]
	v_mul_f64_e32 v[62:63], v[72:73], v[62:63]
	s_delay_alu instid0(VALU_DEP_2) | instskip(NEXT) | instid1(VALU_DEP_2)
	v_fma_f64 v[78:79], v[88:89], v[78:79], v[82:83]
	v_add_f64_e32 v[82:83], v[80:81], v[62:63]
	s_delay_alu instid0(VALU_DEP_2) | instskip(NEXT) | instid1(VALU_DEP_2)
	v_add_f64_e32 v[72:73], v[90:91], v[78:79]
	v_add_f64_e64 v[80:81], v[82:83], -v[80:81]
	s_delay_alu instid0(VALU_DEP_2) | instskip(SKIP_2) | instid1(VALU_DEP_4)
	v_add_f64_e64 v[84:85], v[92:93], -v[72:73]
	v_add_f64_e64 v[86:87], v[72:73], -v[90:91]
	v_mul_f64_e32 v[90:91], v[82:83], v[82:83]
	v_add_f64_e64 v[62:63], v[62:63], -v[80:81]
	s_delay_alu instid0(VALU_DEP_4) | instskip(NEXT) | instid1(VALU_DEP_4)
	v_add_f64_e64 v[92:93], v[92:93], -v[84:85]
	v_add_f64_e64 v[78:79], v[86:87], -v[78:79]
	s_delay_alu instid0(VALU_DEP_4) | instskip(NEXT) | instid1(VALU_DEP_4)
	v_fma_f64 v[86:87], v[90:91], s[42:43], s[40:41]
	v_ldexp_f64 v[62:63], v[62:63], 1
	s_delay_alu instid0(VALU_DEP_4) | instskip(NEXT) | instid1(VALU_DEP_3)
	v_add_f64_e64 v[72:73], v[92:93], -v[72:73]
	v_fma_f64 v[86:87], v[90:91], v[86:87], s[44:45]
	s_delay_alu instid0(VALU_DEP_2) | instskip(NEXT) | instid1(VALU_DEP_2)
	v_add_f64_e32 v[72:73], v[78:79], v[72:73]
	v_fma_f64 v[78:79], v[90:91], v[86:87], s[50:51]
	s_delay_alu instid0(VALU_DEP_2) | instskip(SKIP_1) | instid1(VALU_DEP_3)
	v_add_f64_e32 v[72:73], v[84:85], v[72:73]
	v_mul_f64_e32 v[84:85], v[82:83], v[90:91]
	v_fma_f64 v[78:79], v[90:91], v[78:79], s[54:55]
	s_delay_alu instid0(VALU_DEP_3) | instskip(NEXT) | instid1(VALU_DEP_2)
	v_mul_f64_e32 v[64:65], v[64:65], v[72:73]
	v_fma_f64 v[72:73], v[90:91], v[78:79], s[52:53]
	s_delay_alu instid0(VALU_DEP_2) | instskip(NEXT) | instid1(VALU_DEP_2)
	v_add_f64_e32 v[78:79], v[88:89], v[64:65]
	v_fma_f64 v[72:73], v[90:91], v[72:73], s[56:57]
	v_ldexp_f64 v[90:91], v[82:83], 1
	s_delay_alu instid0(VALU_DEP_3) | instskip(SKIP_1) | instid1(VALU_DEP_4)
	v_mul_f64_e32 v[86:87], v[78:79], v[78:79]
	v_ldexp_f64 v[92:93], v[78:79], 1
	v_mul_f64_e32 v[72:73], v[84:85], v[72:73]
	s_delay_alu instid0(VALU_DEP_3) | instskip(NEXT) | instid1(VALU_DEP_2)
	v_fma_f64 v[84:85], v[86:87], s[42:43], s[40:41]
	v_add_f64_e32 v[82:83], v[90:91], v[72:73]
	s_delay_alu instid0(VALU_DEP_2) | instskip(NEXT) | instid1(VALU_DEP_2)
	v_fma_f64 v[84:85], v[86:87], v[84:85], s[44:45]
	v_add_f64_e64 v[80:81], v[82:83], -v[90:91]
	v_cvt_f64_i32_e32 v[90:91], v0
	v_frexp_exp_i32_f64_e32 v0, v[76:77]
	s_delay_alu instid0(VALU_DEP_4) | instskip(NEXT) | instid1(VALU_DEP_4)
	v_fma_f64 v[84:85], v[86:87], v[84:85], s[50:51]
	v_add_f64_e64 v[72:73], v[72:73], -v[80:81]
	s_delay_alu instid0(VALU_DEP_3) | instskip(SKIP_1) | instid1(VALU_DEP_4)
	v_subrev_co_ci_u32_e64 v0, null, 0, v0, vcc_lo
	v_cmp_neq_f64_e32 vcc_lo, 0x7ff00000, v[67:68]
	v_fma_f64 v[80:81], v[86:87], v[84:85], s[54:55]
	v_mul_f64_e32 v[84:85], v[78:79], v[86:87]
	v_add_f64_e32 v[62:63], v[62:63], v[72:73]
	v_add_f64_e64 v[78:79], v[78:79], -v[88:89]
	s_delay_alu instid0(VALU_DEP_4) | instskip(NEXT) | instid1(VALU_DEP_3)
	v_fma_f64 v[72:73], v[86:87], v[80:81], s[52:53]
	v_add_f64_e32 v[80:81], v[82:83], v[62:63]
	s_delay_alu instid0(VALU_DEP_3) | instskip(NEXT) | instid1(VALU_DEP_3)
	v_add_f64_e64 v[64:65], v[64:65], -v[78:79]
	v_fma_f64 v[72:73], v[86:87], v[72:73], s[56:57]
	s_delay_alu instid0(VALU_DEP_3) | instskip(SKIP_1) | instid1(VALU_DEP_4)
	v_add_f64_e64 v[82:83], v[80:81], -v[82:83]
	v_mul_f64_e32 v[86:87], s[30:31], v[80:81]
	v_ldexp_f64 v[64:65], v[64:65], 1
	s_delay_alu instid0(VALU_DEP_4) | instskip(SKIP_3) | instid1(VALU_DEP_4)
	v_mul_f64_e32 v[72:73], v[84:85], v[72:73]
	v_mul_f64_e32 v[84:85], s[48:49], v[90:91]
	v_add_f64_e64 v[62:63], v[62:63], -v[82:83]
	v_fma_f64 v[82:83], v[80:81], s[30:31], -v[86:87]
	v_add_f64_e32 v[88:89], v[92:93], v[72:73]
	s_delay_alu instid0(VALU_DEP_2) | instskip(SKIP_1) | instid1(VALU_DEP_3)
	v_fma_f64 v[62:63], v[62:63], s[30:31], v[82:83]
	v_fma_f64 v[82:83], v[90:91], s[48:49], -v[84:85]
	v_add_f64_e64 v[78:79], v[88:89], -v[92:93]
	s_delay_alu instid0(VALU_DEP_3) | instskip(NEXT) | instid1(VALU_DEP_3)
	v_fma_f64 v[62:63], v[80:81], s[60:61], v[62:63]
	v_fma_f64 v[82:83], v[90:91], s[58:59], v[82:83]
	v_cvt_f64_i32_e32 v[90:91], v0
	s_delay_alu instid0(VALU_DEP_4) | instskip(NEXT) | instid1(VALU_DEP_4)
	v_add_f64_e64 v[72:73], v[72:73], -v[78:79]
	v_add_f64_e32 v[80:81], v[86:87], v[62:63]
	s_delay_alu instid0(VALU_DEP_4) | instskip(NEXT) | instid1(VALU_DEP_3)
	v_add_f64_e32 v[78:79], v[84:85], v[82:83]
	v_add_f64_e32 v[64:65], v[64:65], v[72:73]
	s_delay_alu instid0(VALU_DEP_2) | instskip(NEXT) | instid1(VALU_DEP_4)
	v_add_f64_e64 v[72:73], v[78:79], -v[84:85]
	v_add_f64_e64 v[84:85], v[80:81], -v[86:87]
	v_mul_f64_e32 v[86:87], s[48:49], v[90:91]
	s_delay_alu instid0(VALU_DEP_4) | instskip(NEXT) | instid1(VALU_DEP_4)
	v_add_f64_e32 v[92:93], v[88:89], v[64:65]
	v_add_f64_e64 v[72:73], v[82:83], -v[72:73]
	s_delay_alu instid0(VALU_DEP_4) | instskip(NEXT) | instid1(VALU_DEP_4)
	v_add_f64_e64 v[62:63], v[62:63], -v[84:85]
	v_fma_f64 v[82:83], v[90:91], s[48:49], -v[86:87]
	s_delay_alu instid0(VALU_DEP_4) | instskip(SKIP_1) | instid1(VALU_DEP_3)
	v_add_f64_e64 v[84:85], v[92:93], -v[88:89]
	v_mul_f64_e32 v[88:89], s[30:31], v[92:93]
	v_fma_f64 v[82:83], v[90:91], s[58:59], v[82:83]
	v_add_f64_e32 v[90:91], v[78:79], v[80:81]
	s_delay_alu instid0(VALU_DEP_4) | instskip(NEXT) | instid1(VALU_DEP_4)
	v_add_f64_e64 v[64:65], v[64:65], -v[84:85]
	v_fma_f64 v[84:85], v[92:93], s[30:31], -v[88:89]
	s_delay_alu instid0(VALU_DEP_1) | instskip(NEXT) | instid1(VALU_DEP_4)
	v_fma_f64 v[64:65], v[64:65], s[30:31], v[84:85]
	v_add_f64_e64 v[84:85], v[90:91], -v[78:79]
	s_delay_alu instid0(VALU_DEP_2) | instskip(NEXT) | instid1(VALU_DEP_2)
	v_fma_f64 v[64:65], v[92:93], s[60:61], v[64:65]
	v_add_f64_e64 v[92:93], v[90:91], -v[84:85]
	v_add_f64_e64 v[80:81], v[80:81], -v[84:85]
	v_add_f64_e32 v[84:85], v[86:87], v[82:83]
	s_delay_alu instid0(VALU_DEP_3) | instskip(SKIP_1) | instid1(VALU_DEP_3)
	v_add_f64_e64 v[78:79], v[78:79], -v[92:93]
	v_add_f64_e32 v[92:93], v[88:89], v[64:65]
	v_add_f64_e64 v[86:87], v[84:85], -v[86:87]
	s_delay_alu instid0(VALU_DEP_3) | instskip(NEXT) | instid1(VALU_DEP_3)
	v_add_f64_e32 v[78:79], v[80:81], v[78:79]
	v_add_f64_e32 v[80:81], v[84:85], v[92:93]
	s_delay_alu instid0(VALU_DEP_3) | instskip(SKIP_1) | instid1(VALU_DEP_3)
	v_add_f64_e64 v[82:83], v[82:83], -v[86:87]
	v_add_f64_e64 v[86:87], v[92:93], -v[88:89]
	;; [unrolled: 1-line block ×3, first 2 shown]
	s_delay_alu instid0(VALU_DEP_2) | instskip(NEXT) | instid1(VALU_DEP_2)
	v_add_f64_e64 v[64:65], v[64:65], -v[86:87]
	v_add_f64_e64 v[86:87], v[80:81], -v[88:89]
	;; [unrolled: 1-line block ×3, first 2 shown]
	v_add_f64_e32 v[92:93], v[72:73], v[62:63]
	s_delay_alu instid0(VALU_DEP_3) | instskip(NEXT) | instid1(VALU_DEP_2)
	v_add_f64_e64 v[84:85], v[84:85], -v[86:87]
	v_add_f64_e64 v[86:87], v[92:93], -v[72:73]
	v_add_f64_e32 v[78:79], v[92:93], v[78:79]
	s_delay_alu instid0(VALU_DEP_3) | instskip(SKIP_1) | instid1(VALU_DEP_4)
	v_add_f64_e32 v[84:85], v[88:89], v[84:85]
	v_add_f64_e32 v[88:89], v[82:83], v[64:65]
	v_add_f64_e64 v[92:93], v[92:93], -v[86:87]
	v_add_f64_e64 v[62:63], v[62:63], -v[86:87]
	v_add_f64_e32 v[86:87], v[90:91], v[78:79]
	s_delay_alu instid0(VALU_DEP_4) | instskip(NEXT) | instid1(VALU_DEP_4)
	v_add_f64_e32 v[84:85], v[88:89], v[84:85]
	v_add_f64_e64 v[72:73], v[72:73], -v[92:93]
	v_add_f64_e64 v[92:93], v[88:89], -v[82:83]
	s_delay_alu instid0(VALU_DEP_4) | instskip(NEXT) | instid1(VALU_DEP_3)
	v_add_f64_e64 v[90:91], v[86:87], -v[90:91]
	v_add_f64_e32 v[62:63], v[62:63], v[72:73]
	s_delay_alu instid0(VALU_DEP_3) | instskip(SKIP_1) | instid1(VALU_DEP_4)
	v_add_f64_e64 v[72:73], v[88:89], -v[92:93]
	v_add_f64_e32 v[88:89], v[80:81], v[84:85]
	v_add_f64_e64 v[78:79], v[78:79], -v[90:91]
	v_add_f64_e64 v[64:65], v[64:65], -v[92:93]
	s_delay_alu instid0(VALU_DEP_4) | instskip(NEXT) | instid1(VALU_DEP_4)
	v_add_f64_e64 v[72:73], v[82:83], -v[72:73]
	v_add_f64_e64 v[80:81], v[88:89], -v[80:81]
	s_delay_alu instid0(VALU_DEP_4) | instskip(NEXT) | instid1(VALU_DEP_3)
	v_add_f64_e32 v[62:63], v[62:63], v[78:79]
	v_add_f64_e32 v[64:65], v[64:65], v[72:73]
	s_delay_alu instid0(VALU_DEP_3) | instskip(NEXT) | instid1(VALU_DEP_3)
	v_add_f64_e64 v[72:73], v[84:85], -v[80:81]
	v_add_f64_e32 v[62:63], v[86:87], v[62:63]
	s_delay_alu instid0(VALU_DEP_2) | instskip(SKIP_1) | instid1(VALU_DEP_2)
	v_add_f64_e32 v[64:65], v[64:65], v[72:73]
	s_wait_alu 0xfffd
	v_cndmask_b32_e32 v63, 0x7ff00000, v63, vcc_lo
	s_delay_alu instid0(VALU_DEP_3) | instskip(SKIP_1) | instid1(VALU_DEP_2)
	v_cndmask_b32_e32 v62, 0, v62, vcc_lo
	v_cmp_neq_f64_e32 vcc_lo, 0x7ff00000, v[76:77]
	v_fma_f64 v[66:67], v[62:63], s[72:73], s[64:65]
	v_fma_f64 v[68:69], v[62:63], s[76:77], 0x3fe80000
	v_add_f64_e32 v[64:65], v[88:89], v[64:65]
	s_wait_alu 0xfffd
	s_delay_alu instid0(VALU_DEP_1) | instskip(NEXT) | instid1(VALU_DEP_2)
	v_cndmask_b32_e32 v65, 0x7ff00000, v65, vcc_lo
	v_cndmask_b32_e32 v64, 0, v64, vcc_lo
	s_delay_alu instid0(VALU_DEP_1) | instskip(SKIP_1) | instid1(VALU_DEP_2)
	v_add_f64_e64 v[64:65], v[64:65], -v[66:67]
	v_fma_f64 v[66:67], v[70:71], v[74:75], 1.0
	v_fma_f64 v[68:69], v[64:65], s[78:79], v[68:69]
	s_delay_alu instid0(VALU_DEP_2) | instskip(SKIP_1) | instid1(VALU_DEP_3)
	v_div_scale_f64 v[70:71], null, v[66:67], v[66:67], 1.0
	v_div_scale_f64 v[82:83], vcc_lo, 1.0, v[66:67], 1.0
	v_div_scale_f64 v[72:73], null, v[68:69], v[68:69], 1.0
	s_delay_alu instid0(VALU_DEP_3) | instskip(NEXT) | instid1(VALU_DEP_1)
	v_rcp_f64_e32 v[74:75], v[70:71]
	v_rcp_f64_e32 v[76:77], v[72:73]
	s_delay_alu instid0(TRANS32_DEP_2) | instskip(NEXT) | instid1(TRANS32_DEP_1)
	v_fma_f64 v[78:79], -v[70:71], v[74:75], 1.0
	v_fma_f64 v[80:81], -v[72:73], v[76:77], 1.0
	s_delay_alu instid0(VALU_DEP_2) | instskip(NEXT) | instid1(VALU_DEP_2)
	v_fma_f64 v[74:75], v[74:75], v[78:79], v[74:75]
	v_fma_f64 v[76:77], v[76:77], v[80:81], v[76:77]
	s_delay_alu instid0(VALU_DEP_2) | instskip(NEXT) | instid1(VALU_DEP_2)
	v_fma_f64 v[78:79], -v[70:71], v[74:75], 1.0
	v_fma_f64 v[80:81], -v[72:73], v[76:77], 1.0
	s_delay_alu instid0(VALU_DEP_2) | instskip(SKIP_1) | instid1(VALU_DEP_3)
	v_fma_f64 v[74:75], v[74:75], v[78:79], v[74:75]
	v_div_scale_f64 v[78:79], s0, 1.0, v[68:69], 1.0
	v_fma_f64 v[76:77], v[76:77], v[80:81], v[76:77]
	s_delay_alu instid0(VALU_DEP_3) | instskip(NEXT) | instid1(VALU_DEP_2)
	v_mul_f64_e32 v[80:81], v[82:83], v[74:75]
	v_mul_f64_e32 v[84:85], v[78:79], v[76:77]
	s_delay_alu instid0(VALU_DEP_2) | instskip(SKIP_1) | instid1(VALU_DEP_3)
	v_fma_f64 v[70:71], -v[70:71], v[80:81], v[82:83]
	v_mul_f64_e32 v[82:83], 0xc0b36a00, v[18:19]
	v_fma_f64 v[72:73], -v[72:73], v[84:85], v[78:79]
	s_wait_alu 0xfffd
	s_delay_alu instid0(VALU_DEP_3) | instskip(SKIP_4) | instid1(VALU_DEP_2)
	v_div_fmas_f64 v[70:71], v[70:71], v[74:75], v[80:81]
	s_mov_b32 vcc_lo, s0
	s_mov_b32 s0, 0x406c80d9
	s_mov_b32 s1, 0xbf7b2036
	s_wait_alu 0xfffe
	v_div_fmas_f64 v[72:73], v[72:73], v[76:77], v[84:85]
	s_delay_alu instid0(VALU_DEP_2) | instskip(NEXT) | instid1(VALU_DEP_2)
	v_div_fixup_f64 v[66:67], v[70:71], v[66:67], 1.0
	v_div_fixup_f64 v[68:69], v[72:73], v[68:69], 1.0
	s_delay_alu instid0(VALU_DEP_2) | instskip(NEXT) | instid1(VALU_DEP_2)
	v_mul_f64_e32 v[54:55], v[54:55], v[66:67]
	v_mul_f64_e32 v[64:65], v[64:65], v[68:69]
	s_delay_alu instid0(VALU_DEP_1) | instskip(NEXT) | instid1(VALU_DEP_1)
	v_fma_f64 v[64:65], v[64:65], v[64:65], 1.0
	v_div_scale_f64 v[68:69], null, v[64:65], v[64:65], 1.0
	v_div_scale_f64 v[76:77], vcc_lo, 1.0, v[64:65], 1.0
	s_delay_alu instid0(VALU_DEP_2) | instskip(NEXT) | instid1(TRANS32_DEP_1)
	v_rcp_f64_e32 v[72:73], v[68:69]
	v_fma_f64 v[74:75], -v[68:69], v[72:73], 1.0
	s_delay_alu instid0(VALU_DEP_1) | instskip(NEXT) | instid1(VALU_DEP_1)
	v_fma_f64 v[72:73], v[72:73], v[74:75], v[72:73]
	v_fma_f64 v[74:75], -v[68:69], v[72:73], 1.0
	s_delay_alu instid0(VALU_DEP_1) | instskip(NEXT) | instid1(VALU_DEP_1)
	v_fma_f64 v[72:73], v[72:73], v[74:75], v[72:73]
	v_mul_f64_e32 v[74:75], v[76:77], v[72:73]
	s_delay_alu instid0(VALU_DEP_1) | instskip(SKIP_1) | instid1(VALU_DEP_1)
	v_fma_f64 v[68:69], -v[68:69], v[74:75], v[76:77]
	s_wait_alu 0xfffd
	v_div_fmas_f64 v[68:69], v[68:69], v[72:73], v[74:75]
	v_mul_f64_e32 v[74:75], s[0:1], v[8:9]
	s_mov_b32 s0, 0xb6813baf
	s_mov_b32 s1, 0xbf4f9182
	s_wait_alu 0xfffe
	v_mul_f64_e32 v[76:77], s[0:1], v[8:9]
	s_mov_b32 s1, 0x3fddeb85
	s_delay_alu instid0(VALU_DEP_3) | instskip(NEXT) | instid1(VALU_DEP_3)
	v_div_fixup_f64 v[64:65], v[68:69], v[64:65], 1.0
	v_mul_f64_e32 v[78:79], s[34:35], v[74:75]
	s_delay_alu instid0(VALU_DEP_3) | instskip(NEXT) | instid1(VALU_DEP_3)
	v_mul_f64_e32 v[80:81], s[34:35], v[76:77]
	v_mul_f64_e32 v[62:63], v[62:63], v[64:65]
	s_delay_alu instid0(VALU_DEP_3) | instskip(NEXT) | instid1(VALU_DEP_3)
	v_rndne_f64_e32 v[78:79], v[78:79]
	v_rndne_f64_e32 v[80:81], v[80:81]
	s_delay_alu instid0(VALU_DEP_3) | instskip(SKIP_2) | instid1(VALU_DEP_4)
	v_mul_f64_e32 v[64:65], s[62:63], v[62:63]
	v_cmp_nlt_f64_e32 vcc_lo, 0x40900000, v[62:63]
	v_cmp_ngt_f64_e64 s0, 0xc090cc00, v[62:63]
	v_fma_f64 v[84:85], v[80:81], s[36:37], v[76:77]
	s_delay_alu instid0(VALU_DEP_4) | instskip(NEXT) | instid1(VALU_DEP_1)
	v_rndne_f64_e32 v[64:65], v[64:65]
	v_fma_f64 v[68:69], v[64:65], s[68:69], v[62:63]
	v_cvt_i32_f64_e32 v0, v[64:65]
	s_delay_alu instid0(VALU_DEP_2) | instskip(NEXT) | instid1(VALU_DEP_1)
	v_fma_f64 v[68:69], v[64:65], s[66:67], v[68:69]
	v_mul_f64_e32 v[72:73], s[70:71], v[68:69]
	s_delay_alu instid0(VALU_DEP_1) | instskip(NEXT) | instid1(VALU_DEP_1)
	v_fma_f64 v[68:69], v[68:69], s[74:75], v[72:73]
	v_fma_f64 v[72:73], v[68:69], s[6:7], s[4:5]
	s_delay_alu instid0(VALU_DEP_1) | instskip(NEXT) | instid1(VALU_DEP_1)
	v_fma_f64 v[72:73], v[68:69], v[72:73], s[14:15]
	v_fma_f64 v[72:73], v[68:69], v[72:73], s[18:19]
	;; [unrolled: 3-line block ×5, first 2 shown]
	s_delay_alu instid0(VALU_DEP_1) | instskip(NEXT) | instid1(VALU_DEP_1)
	v_fma_f64 v[72:73], v[68:69], v[72:73], 1.0
	v_fma_f64 v[64:65], v[68:69], v[72:73], 1.0
	v_fma_f64 v[68:69], v[78:79], s[36:37], v[74:75]
	v_mul_f64_e32 v[72:73], s[34:35], v[82:83]
	s_delay_alu instid0(VALU_DEP_3) | instskip(NEXT) | instid1(VALU_DEP_3)
	v_ldexp_f64 v[64:65], v[64:65], v0
	v_fma_f64 v[68:69], v[78:79], s[38:39], v[68:69]
	s_delay_alu instid0(VALU_DEP_3)
	v_rndne_f64_e32 v[70:71], v[72:73]
	v_fma_f64 v[72:73], v[80:81], s[38:39], v[84:85]
	v_cvt_i32_f64_e32 v78, v[78:79]
	s_wait_alu 0xfffd
	v_cndmask_b32_e32 v0, 0x7ff00000, v65, vcc_lo
	v_fma_f64 v[62:63], v[68:69], s[6:7], s[4:5]
	v_fma_f64 v[65:66], v[70:71], s[36:37], v[82:83]
	;; [unrolled: 1-line block ×3, first 2 shown]
	s_and_b32 vcc_lo, s0, vcc_lo
	v_cndmask_b32_e64 v87, 0, v0, s0
	s_wait_alu 0xfffe
	v_cndmask_b32_e32 v86, 0, v64, vcc_lo
	v_lshl_add_u32 v0, s33, 2, v56
	s_mov_b32 s0, s78
	s_delay_alu instid0(VALU_DEP_2) | instskip(NEXT) | instid1(VALU_DEP_2)
	v_mul_f64_e32 v[54:55], v[54:55], v[86:87]
	v_lshlrev_b64_e32 v[56:57], 3, v[0:1]
	s_delay_alu instid0(VALU_DEP_1) | instskip(SKIP_1) | instid1(VALU_DEP_2)
	v_add_co_u32 v86, vcc_lo, s8, v56
	s_wait_alu 0xfffd
	v_add_co_ci_u32_e64 v87, null, s9, v57, vcc_lo
	v_cmp_nlt_f64_e32 vcc_lo, 0x40900000, v[74:75]
	v_fma_f64 v[62:63], v[68:69], v[62:63], s[14:15]
	v_fma_f64 v[64:65], v[70:71], s[38:39], v[65:66]
	;; [unrolled: 1-line block ×3, first 2 shown]
	v_cvt_i32_f64_e32 v70, v[70:71]
	v_mul_f64_e32 v[60:61], v[60:61], v[54:55]
	v_fma_f64 v[62:63], v[68:69], v[62:63], s[18:19]
	v_fma_f64 v[84:85], v[64:65], s[6:7], s[4:5]
	;; [unrolled: 1-line block ×3, first 2 shown]
	global_store_b64 v[58:59], v[60:61], off
	global_load_b64 v[58:59], v[86:87], off
	v_fma_f64 v[60:61], v[68:69], v[62:63], s[22:23]
	v_fma_f64 v[62:63], v[64:65], v[84:85], s[14:15]
	;; [unrolled: 1-line block ×3, first 2 shown]
	s_delay_alu instid0(VALU_DEP_3) | instskip(NEXT) | instid1(VALU_DEP_3)
	v_fma_f64 v[60:61], v[68:69], v[60:61], s[26:27]
	v_fma_f64 v[62:63], v[64:65], v[62:63], s[18:19]
	s_delay_alu instid0(VALU_DEP_3) | instskip(NEXT) | instid1(VALU_DEP_3)
	v_fma_f64 v[66:67], v[72:73], v[66:67], s[26:27]
	v_fma_f64 v[60:61], v[68:69], v[60:61], s[28:29]
	;; [unrolled: 3-line block ×7, first 2 shown]
	s_delay_alu instid0(VALU_DEP_3) | instskip(NEXT) | instid1(VALU_DEP_3)
	v_fma_f64 v[66:67], v[72:73], v[66:67], s[24:25]
	v_fma_f64 v[60:61], v[68:69], v[60:61], 1.0
	s_delay_alu instid0(VALU_DEP_3) | instskip(NEXT) | instid1(VALU_DEP_3)
	v_fma_f64 v[62:63], v[64:65], v[62:63], s[20:21]
	v_fma_f64 v[66:67], v[72:73], v[66:67], 1.0
	s_delay_alu instid0(VALU_DEP_3) | instskip(NEXT) | instid1(VALU_DEP_3)
	v_fma_f64 v[60:61], v[68:69], v[60:61], 1.0
	v_fma_f64 v[62:63], v[64:65], v[62:63], s[24:25]
	v_cvt_i32_f64_e32 v68, v[80:81]
	s_delay_alu instid0(VALU_DEP_4) | instskip(NEXT) | instid1(VALU_DEP_4)
	v_fma_f64 v[66:67], v[72:73], v[66:67], 1.0
	v_ldexp_f64 v[60:61], v[60:61], v78
	s_delay_alu instid0(VALU_DEP_4) | instskip(NEXT) | instid1(VALU_DEP_3)
	v_fma_f64 v[62:63], v[64:65], v[62:63], 1.0
	v_ldexp_f64 v[66:67], v[66:67], v68
	s_wait_loadcnt 0x0
	v_div_scale_f64 v[68:69], null, v[58:59], v[58:59], 1.0
	s_wait_alu 0xfffe
	s_delay_alu instid0(VALU_DEP_4)
	v_mul_f64_e32 v[60:61], s[0:1], v[60:61]
	v_cmp_ngt_f64_e64 s0, 0xc090cc00, v[74:75]
	v_fma_f64 v[62:63], v[64:65], v[62:63], 1.0
	v_mul_f64_e32 v[64:65], s[2:3], v[66:67]
	v_rcp_f64_e32 v[66:67], v[68:69]
	v_cmp_nlt_f64_e64 s1, 0x40900000, v[76:77]
	v_cmp_ngt_f64_e64 s2, 0xc090cc00, v[76:77]
	v_add_co_u32 v20, s3, s12, v20
	s_wait_alu 0xf1ff
	v_add_co_ci_u32_e64 v21, null, s13, v21, s3
	global_load_b64 v[20:21], v[20:21], off
	s_wait_alu 0xfffd
	v_cndmask_b32_e32 v72, 0x7ff00000, v61, vcc_lo
	s_and_b32 vcc_lo, s0, vcc_lo
	v_ldexp_f64 v[61:62], v[62:63], v70
	s_delay_alu instid0(VALU_DEP_2)
	v_cndmask_b32_e64 v73, 0, v72, s0
	s_wait_alu 0xfffe
	v_cndmask_b32_e32 v72, 0, v60, vcc_lo
	v_cmp_nlt_f64_e32 vcc_lo, 0x40900000, v[82:83]
	v_fma_f64 v[70:71], -v[68:69], v[66:67], 1.0
	v_cndmask_b32_e64 v63, 0x7ff00000, v65, s1
	v_cmp_ngt_f64_e64 s0, 0xc090cc00, v[82:83]
	s_and_b32 s1, s2, s1
	v_cndmask_b32_e64 v63, 0, v63, s2
	s_mov_b32 s2, 0xcf48b83b
	s_mov_b32 s3, 0xbf285898
	s_wait_alu 0xfffd
	v_cndmask_b32_e32 v60, 0x7ff00000, v62, vcc_lo
	s_wait_alu 0xfffe
	v_cndmask_b32_e64 v62, 0, v64, s1
	v_fma_f64 v[64:65], v[66:67], v[70:71], v[66:67]
	s_and_b32 vcc_lo, s0, vcc_lo
	v_cndmask_b32_e64 v67, 0, v60, s0
	s_delay_alu instid0(VALU_DEP_3) | instskip(SKIP_2) | instid1(VALU_DEP_1)
	v_add_f64_e32 v[62:63], v[72:73], v[62:63]
	s_wait_alu 0xfffe
	v_cndmask_b32_e32 v66, 0, v61, vcc_lo
	v_add_f64_e32 v[60:61], v[66:67], v[62:63]
	v_fma_f64 v[62:63], -v[68:69], v[64:65], 1.0
	v_div_scale_f64 v[66:67], vcc_lo, 1.0, v[58:59], 1.0
	s_delay_alu instid0(VALU_DEP_3) | instskip(NEXT) | instid1(VALU_DEP_3)
	v_max_num_f64_e32 v[60:61], 0x38100000, v[60:61]
	v_fma_f64 v[62:63], v[64:65], v[62:63], v[64:65]
	s_delay_alu instid0(VALU_DEP_2) | instskip(NEXT) | instid1(VALU_DEP_2)
	v_frexp_mant_f64_e32 v[64:65], v[60:61]
	v_mul_f64_e32 v[70:71], v[66:67], v[62:63]
	s_delay_alu instid0(VALU_DEP_2) | instskip(NEXT) | instid1(VALU_DEP_2)
	v_cmp_gt_f64_e64 s0, s[46:47], v[64:65]
	v_fma_f64 v[66:67], -v[68:69], v[70:71], v[66:67]
	s_wait_alu 0xf1ff
	s_delay_alu instid0(VALU_DEP_2) | instskip(SKIP_1) | instid1(VALU_DEP_2)
	v_cndmask_b32_e64 v72, 0, 1, s0
	s_wait_alu 0xfffd
	v_div_fmas_f64 v[62:63], v[66:67], v[62:63], v[70:71]
	s_delay_alu instid0(VALU_DEP_2) | instskip(NEXT) | instid1(VALU_DEP_2)
	v_ldexp_f64 v[64:65], v[64:65], v72
	v_div_fixup_f64 v[62:63], v[62:63], v[58:59], 1.0
	s_delay_alu instid0(VALU_DEP_2) | instskip(SKIP_1) | instid1(VALU_DEP_3)
	v_add_f64_e32 v[66:67], 1.0, v[64:65]
	v_add_f64_e32 v[78:79], -1.0, v[64:65]
	v_mul_f64_e32 v[62:63], v[6:7], v[62:63]
	s_delay_alu instid0(VALU_DEP_3) | instskip(SKIP_2) | instid1(VALU_DEP_2)
	v_rcp_f64_e32 v[68:69], v[66:67]
	v_add_f64_e32 v[80:81], -1.0, v[66:67]
	s_wait_loadcnt 0x0
	v_mul_f64_e32 v[72:73], v[20:21], v[62:63]
	v_fma_f64 v[20:21], v[20:21], v[62:63], 1.0
	s_delay_alu instid0(VALU_DEP_3) | instskip(NEXT) | instid1(TRANS32_DEP_1)
	v_add_f64_e64 v[64:65], v[64:65], -v[80:81]
	v_fma_f64 v[70:71], -v[66:67], v[68:69], 1.0
	s_delay_alu instid0(VALU_DEP_1) | instskip(SKIP_1) | instid1(VALU_DEP_2)
	v_fma_f64 v[68:69], v[70:71], v[68:69], v[68:69]
	v_max_num_f64_e32 v[70:71], 0x38100000, v[72:73]
	v_fma_f64 v[74:75], -v[66:67], v[68:69], 1.0
	s_delay_alu instid0(VALU_DEP_2) | instskip(NEXT) | instid1(VALU_DEP_2)
	v_frexp_mant_f64_e32 v[76:77], v[70:71]
	v_fma_f64 v[68:69], v[74:75], v[68:69], v[68:69]
	s_delay_alu instid0(VALU_DEP_2) | instskip(SKIP_2) | instid1(VALU_DEP_1)
	v_cmp_gt_f64_e32 vcc_lo, s[46:47], v[76:77]
	s_wait_alu 0xfffd
	v_cndmask_b32_e64 v74, 0, 1, vcc_lo
	v_ldexp_f64 v[74:75], v[76:77], v74
	s_delay_alu instid0(VALU_DEP_4) | instskip(NEXT) | instid1(VALU_DEP_2)
	v_mul_f64_e32 v[76:77], v[78:79], v[68:69]
	v_add_f64_e32 v[82:83], 1.0, v[74:75]
	s_delay_alu instid0(VALU_DEP_2) | instskip(NEXT) | instid1(VALU_DEP_2)
	v_mul_f64_e32 v[84:85], v[66:67], v[76:77]
	v_rcp_f64_e32 v[80:81], v[82:83]
	s_delay_alu instid0(VALU_DEP_1) | instskip(NEXT) | instid1(VALU_DEP_1)
	v_fma_f64 v[66:67], v[76:77], v[66:67], -v[84:85]
	v_fma_f64 v[64:65], v[76:77], v[64:65], v[66:67]
	s_delay_alu instid0(TRANS32_DEP_1) | instskip(NEXT) | instid1(VALU_DEP_2)
	v_fma_f64 v[66:67], -v[82:83], v[80:81], 1.0
	v_add_f64_e32 v[88:89], v[84:85], v[64:65]
	s_delay_alu instid0(VALU_DEP_2) | instskip(NEXT) | instid1(VALU_DEP_2)
	v_fma_f64 v[66:67], v[66:67], v[80:81], v[80:81]
	v_add_f64_e64 v[80:81], v[78:79], -v[88:89]
	s_delay_alu instid0(VALU_DEP_2) | instskip(SKIP_1) | instid1(VALU_DEP_3)
	v_fma_f64 v[90:91], -v[82:83], v[66:67], 1.0
	v_add_f64_e64 v[84:85], v[88:89], -v[84:85]
	v_add_f64_e64 v[78:79], v[78:79], -v[80:81]
	s_delay_alu instid0(VALU_DEP_3) | instskip(SKIP_1) | instid1(VALU_DEP_4)
	v_fma_f64 v[66:67], v[90:91], v[66:67], v[66:67]
	v_add_f64_e32 v[90:91], -1.0, v[74:75]
	v_add_f64_e64 v[64:65], v[84:85], -v[64:65]
	s_delay_alu instid0(VALU_DEP_4) | instskip(NEXT) | instid1(VALU_DEP_3)
	v_add_f64_e64 v[78:79], v[78:79], -v[88:89]
	v_mul_f64_e32 v[84:85], v[90:91], v[66:67]
	s_delay_alu instid0(VALU_DEP_2) | instskip(SKIP_1) | instid1(VALU_DEP_3)
	v_add_f64_e32 v[64:65], v[64:65], v[78:79]
	v_add_f64_e32 v[78:79], -1.0, v[82:83]
	v_mul_f64_e32 v[88:89], v[82:83], v[84:85]
	s_delay_alu instid0(VALU_DEP_3) | instskip(NEXT) | instid1(VALU_DEP_3)
	v_add_f64_e32 v[64:65], v[80:81], v[64:65]
	v_add_f64_e64 v[74:75], v[74:75], -v[78:79]
	s_delay_alu instid0(VALU_DEP_3) | instskip(NEXT) | instid1(VALU_DEP_3)
	v_fma_f64 v[78:79], v[84:85], v[82:83], -v[88:89]
	v_mul_f64_e32 v[64:65], v[68:69], v[64:65]
	s_delay_alu instid0(VALU_DEP_2) | instskip(NEXT) | instid1(VALU_DEP_2)
	v_fma_f64 v[74:75], v[84:85], v[74:75], v[78:79]
	v_add_f64_e32 v[78:79], v[76:77], v[64:65]
	s_delay_alu instid0(VALU_DEP_2) | instskip(NEXT) | instid1(VALU_DEP_2)
	v_add_f64_e32 v[68:69], v[88:89], v[74:75]
	v_add_f64_e64 v[76:77], v[78:79], -v[76:77]
	s_delay_alu instid0(VALU_DEP_2) | instskip(SKIP_2) | instid1(VALU_DEP_4)
	v_add_f64_e64 v[80:81], v[90:91], -v[68:69]
	v_add_f64_e64 v[82:83], v[68:69], -v[88:89]
	v_mul_f64_e32 v[88:89], v[78:79], v[78:79]
	v_add_f64_e64 v[64:65], v[64:65], -v[76:77]
	s_delay_alu instid0(VALU_DEP_4) | instskip(NEXT) | instid1(VALU_DEP_4)
	v_add_f64_e64 v[90:91], v[90:91], -v[80:81]
	v_add_f64_e64 v[74:75], v[82:83], -v[74:75]
	s_delay_alu instid0(VALU_DEP_4) | instskip(NEXT) | instid1(VALU_DEP_4)
	v_fma_f64 v[82:83], v[88:89], s[42:43], s[40:41]
	v_ldexp_f64 v[64:65], v[64:65], 1
	s_delay_alu instid0(VALU_DEP_4) | instskip(NEXT) | instid1(VALU_DEP_3)
	v_add_f64_e64 v[68:69], v[90:91], -v[68:69]
	v_fma_f64 v[82:83], v[88:89], v[82:83], s[44:45]
	s_delay_alu instid0(VALU_DEP_2) | instskip(NEXT) | instid1(VALU_DEP_2)
	v_add_f64_e32 v[68:69], v[74:75], v[68:69]
	v_fma_f64 v[74:75], v[88:89], v[82:83], s[50:51]
	s_delay_alu instid0(VALU_DEP_2) | instskip(SKIP_1) | instid1(VALU_DEP_3)
	v_add_f64_e32 v[68:69], v[80:81], v[68:69]
	v_mul_f64_e32 v[80:81], v[78:79], v[88:89]
	v_fma_f64 v[74:75], v[88:89], v[74:75], s[54:55]
	s_delay_alu instid0(VALU_DEP_3) | instskip(NEXT) | instid1(VALU_DEP_2)
	v_mul_f64_e32 v[66:67], v[66:67], v[68:69]
	v_fma_f64 v[68:69], v[88:89], v[74:75], s[52:53]
	s_delay_alu instid0(VALU_DEP_2) | instskip(NEXT) | instid1(VALU_DEP_2)
	v_add_f64_e32 v[74:75], v[84:85], v[66:67]
	v_fma_f64 v[68:69], v[88:89], v[68:69], s[56:57]
	v_ldexp_f64 v[88:89], v[78:79], 1
	s_delay_alu instid0(VALU_DEP_3) | instskip(SKIP_1) | instid1(VALU_DEP_4)
	v_mul_f64_e32 v[82:83], v[74:75], v[74:75]
	v_ldexp_f64 v[90:91], v[74:75], 1
	v_mul_f64_e32 v[68:69], v[80:81], v[68:69]
	s_delay_alu instid0(VALU_DEP_3) | instskip(NEXT) | instid1(VALU_DEP_2)
	v_fma_f64 v[80:81], v[82:83], s[42:43], s[40:41]
	v_add_f64_e32 v[78:79], v[88:89], v[68:69]
	s_delay_alu instid0(VALU_DEP_2) | instskip(NEXT) | instid1(VALU_DEP_2)
	v_fma_f64 v[80:81], v[82:83], v[80:81], s[44:45]
	v_add_f64_e64 v[76:77], v[78:79], -v[88:89]
	v_frexp_exp_i32_f64_e32 v88, v[60:61]
	s_delay_alu instid0(VALU_DEP_3) | instskip(NEXT) | instid1(VALU_DEP_3)
	v_fma_f64 v[80:81], v[82:83], v[80:81], s[50:51]
	v_add_f64_e64 v[68:69], v[68:69], -v[76:77]
	s_delay_alu instid0(VALU_DEP_3) | instskip(NEXT) | instid1(VALU_DEP_1)
	v_subrev_co_ci_u32_e64 v88, null, 0, v88, s0
	v_cvt_f64_i32_e32 v[88:89], v88
	s_delay_alu instid0(VALU_DEP_4) | instskip(SKIP_3) | instid1(VALU_DEP_4)
	v_fma_f64 v[76:77], v[82:83], v[80:81], s[54:55]
	v_mul_f64_e32 v[80:81], v[74:75], v[82:83]
	v_add_f64_e32 v[64:65], v[64:65], v[68:69]
	v_add_f64_e64 v[74:75], v[74:75], -v[84:85]
	v_fma_f64 v[68:69], v[82:83], v[76:77], s[52:53]
	s_delay_alu instid0(VALU_DEP_3) | instskip(NEXT) | instid1(VALU_DEP_3)
	v_add_f64_e32 v[76:77], v[78:79], v[64:65]
	v_add_f64_e64 v[66:67], v[66:67], -v[74:75]
	s_delay_alu instid0(VALU_DEP_3) | instskip(NEXT) | instid1(VALU_DEP_3)
	v_fma_f64 v[68:69], v[82:83], v[68:69], s[56:57]
	v_add_f64_e64 v[78:79], v[76:77], -v[78:79]
	v_mul_f64_e32 v[82:83], s[30:31], v[76:77]
	s_delay_alu instid0(VALU_DEP_4) | instskip(NEXT) | instid1(VALU_DEP_4)
	v_ldexp_f64 v[66:67], v[66:67], 1
	v_mul_f64_e32 v[68:69], v[80:81], v[68:69]
	v_mul_f64_e32 v[80:81], s[48:49], v[88:89]
	v_add_f64_e64 v[64:65], v[64:65], -v[78:79]
	v_fma_f64 v[78:79], v[76:77], s[30:31], -v[82:83]
	s_delay_alu instid0(VALU_DEP_4) | instskip(NEXT) | instid1(VALU_DEP_2)
	v_add_f64_e32 v[84:85], v[90:91], v[68:69]
	v_fma_f64 v[64:65], v[64:65], s[30:31], v[78:79]
	v_fma_f64 v[78:79], v[88:89], s[48:49], -v[80:81]
	s_delay_alu instid0(VALU_DEP_3) | instskip(SKIP_1) | instid1(VALU_DEP_4)
	v_add_f64_e64 v[74:75], v[84:85], -v[90:91]
	v_frexp_exp_i32_f64_e32 v90, v[70:71]
	v_fma_f64 v[64:65], v[76:77], s[60:61], v[64:65]
	s_delay_alu instid0(VALU_DEP_4) | instskip(NEXT) | instid1(VALU_DEP_4)
	v_fma_f64 v[78:79], v[88:89], s[58:59], v[78:79]
	v_add_f64_e64 v[68:69], v[68:69], -v[74:75]
	s_delay_alu instid0(VALU_DEP_4) | instskip(NEXT) | instid1(VALU_DEP_4)
	v_subrev_co_ci_u32_e64 v88, null, 0, v90, vcc_lo
	v_add_f64_e32 v[76:77], v[82:83], v[64:65]
	s_delay_alu instid0(VALU_DEP_4) | instskip(SKIP_1) | instid1(VALU_DEP_4)
	v_add_f64_e32 v[74:75], v[80:81], v[78:79]
	v_cmp_neq_f64_e32 vcc_lo, 0x7ff00000, v[60:61]
	v_cvt_f64_i32_e32 v[88:89], v88
	v_add_f64_e32 v[66:67], v[66:67], v[68:69]
	s_delay_alu instid0(VALU_DEP_4) | instskip(SKIP_1) | instid1(VALU_DEP_4)
	v_add_f64_e64 v[68:69], v[74:75], -v[80:81]
	v_add_f64_e64 v[80:81], v[76:77], -v[82:83]
	v_mul_f64_e32 v[82:83], s[48:49], v[88:89]
	s_delay_alu instid0(VALU_DEP_4) | instskip(NEXT) | instid1(VALU_DEP_4)
	v_add_f64_e32 v[90:91], v[84:85], v[66:67]
	v_add_f64_e64 v[68:69], v[78:79], -v[68:69]
	s_delay_alu instid0(VALU_DEP_4) | instskip(NEXT) | instid1(VALU_DEP_4)
	v_add_f64_e64 v[64:65], v[64:65], -v[80:81]
	v_fma_f64 v[78:79], v[88:89], s[48:49], -v[82:83]
	s_delay_alu instid0(VALU_DEP_4) | instskip(SKIP_1) | instid1(VALU_DEP_3)
	v_add_f64_e64 v[80:81], v[90:91], -v[84:85]
	v_mul_f64_e32 v[84:85], s[30:31], v[90:91]
	v_fma_f64 v[78:79], v[88:89], s[58:59], v[78:79]
	v_add_f64_e32 v[88:89], v[74:75], v[76:77]
	s_delay_alu instid0(VALU_DEP_4) | instskip(NEXT) | instid1(VALU_DEP_4)
	v_add_f64_e64 v[66:67], v[66:67], -v[80:81]
	v_fma_f64 v[80:81], v[90:91], s[30:31], -v[84:85]
	s_delay_alu instid0(VALU_DEP_1) | instskip(NEXT) | instid1(VALU_DEP_4)
	v_fma_f64 v[66:67], v[66:67], s[30:31], v[80:81]
	v_add_f64_e64 v[80:81], v[88:89], -v[74:75]
	s_delay_alu instid0(VALU_DEP_2) | instskip(NEXT) | instid1(VALU_DEP_2)
	v_fma_f64 v[66:67], v[90:91], s[60:61], v[66:67]
	v_add_f64_e64 v[90:91], v[88:89], -v[80:81]
	v_add_f64_e64 v[76:77], v[76:77], -v[80:81]
	v_add_f64_e32 v[80:81], v[82:83], v[78:79]
	s_delay_alu instid0(VALU_DEP_3) | instskip(SKIP_1) | instid1(VALU_DEP_3)
	v_add_f64_e64 v[74:75], v[74:75], -v[90:91]
	v_add_f64_e32 v[90:91], v[84:85], v[66:67]
	v_add_f64_e64 v[82:83], v[80:81], -v[82:83]
	s_delay_alu instid0(VALU_DEP_3) | instskip(NEXT) | instid1(VALU_DEP_3)
	v_add_f64_e32 v[74:75], v[76:77], v[74:75]
	v_add_f64_e32 v[76:77], v[80:81], v[90:91]
	s_delay_alu instid0(VALU_DEP_3) | instskip(SKIP_1) | instid1(VALU_DEP_3)
	v_add_f64_e64 v[78:79], v[78:79], -v[82:83]
	v_add_f64_e64 v[82:83], v[90:91], -v[84:85]
	;; [unrolled: 1-line block ×3, first 2 shown]
	s_delay_alu instid0(VALU_DEP_2) | instskip(NEXT) | instid1(VALU_DEP_2)
	v_add_f64_e64 v[66:67], v[66:67], -v[82:83]
	v_add_f64_e64 v[82:83], v[76:77], -v[84:85]
	;; [unrolled: 1-line block ×3, first 2 shown]
	v_add_f64_e32 v[90:91], v[68:69], v[64:65]
	s_delay_alu instid0(VALU_DEP_3) | instskip(NEXT) | instid1(VALU_DEP_2)
	v_add_f64_e64 v[80:81], v[80:81], -v[82:83]
	v_add_f64_e64 v[82:83], v[90:91], -v[68:69]
	v_add_f64_e32 v[74:75], v[90:91], v[74:75]
	s_delay_alu instid0(VALU_DEP_3) | instskip(SKIP_1) | instid1(VALU_DEP_4)
	v_add_f64_e32 v[80:81], v[84:85], v[80:81]
	v_add_f64_e32 v[84:85], v[78:79], v[66:67]
	v_add_f64_e64 v[90:91], v[90:91], -v[82:83]
	v_add_f64_e64 v[64:65], v[64:65], -v[82:83]
	v_add_f64_e32 v[82:83], v[88:89], v[74:75]
	s_delay_alu instid0(VALU_DEP_4) | instskip(NEXT) | instid1(VALU_DEP_4)
	v_add_f64_e32 v[80:81], v[84:85], v[80:81]
	v_add_f64_e64 v[68:69], v[68:69], -v[90:91]
	v_add_f64_e64 v[90:91], v[84:85], -v[78:79]
	s_delay_alu instid0(VALU_DEP_4) | instskip(NEXT) | instid1(VALU_DEP_3)
	v_add_f64_e64 v[88:89], v[82:83], -v[88:89]
	v_add_f64_e32 v[64:65], v[64:65], v[68:69]
	s_delay_alu instid0(VALU_DEP_3) | instskip(SKIP_1) | instid1(VALU_DEP_4)
	v_add_f64_e64 v[68:69], v[84:85], -v[90:91]
	v_add_f64_e32 v[84:85], v[76:77], v[80:81]
	v_add_f64_e64 v[74:75], v[74:75], -v[88:89]
	v_add_f64_e64 v[66:67], v[66:67], -v[90:91]
	s_delay_alu instid0(VALU_DEP_4) | instskip(NEXT) | instid1(VALU_DEP_4)
	v_add_f64_e64 v[68:69], v[78:79], -v[68:69]
	v_add_f64_e64 v[76:77], v[84:85], -v[76:77]
	s_delay_alu instid0(VALU_DEP_4) | instskip(NEXT) | instid1(VALU_DEP_3)
	v_add_f64_e32 v[64:65], v[64:65], v[74:75]
	v_add_f64_e32 v[66:67], v[66:67], v[68:69]
	s_delay_alu instid0(VALU_DEP_3) | instskip(NEXT) | instid1(VALU_DEP_3)
	v_add_f64_e64 v[68:69], v[80:81], -v[76:77]
	v_add_f64_e32 v[64:65], v[82:83], v[64:65]
	s_delay_alu instid0(VALU_DEP_2) | instskip(SKIP_1) | instid1(VALU_DEP_2)
	v_add_f64_e32 v[60:61], v[66:67], v[68:69]
	s_wait_alu 0xfffd
	v_cndmask_b32_e32 v65, 0x7ff00000, v65, vcc_lo
	s_delay_alu instid0(VALU_DEP_3) | instskip(SKIP_1) | instid1(VALU_DEP_2)
	v_cndmask_b32_e32 v64, 0, v64, vcc_lo
	v_cmp_neq_f64_e32 vcc_lo, 0x7ff00000, v[70:71]
	v_fma_f64 v[66:67], v[64:65], s[72:73], s[64:65]
	v_fma_f64 v[68:69], v[64:65], s[76:77], 0x3fe80000
	v_add_f64_e32 v[60:61], v[84:85], v[60:61]
	s_wait_alu 0xfffd
	s_delay_alu instid0(VALU_DEP_1) | instskip(NEXT) | instid1(VALU_DEP_2)
	v_cndmask_b32_e32 v61, 0x7ff00000, v61, vcc_lo
	v_cndmask_b32_e32 v60, 0, v60, vcc_lo
	v_div_scale_f64 v[80:81], vcc_lo, 1.0, v[20:21], 1.0
	s_delay_alu instid0(VALU_DEP_2) | instskip(SKIP_1) | instid1(VALU_DEP_2)
	v_add_f64_e64 v[60:61], v[60:61], -v[66:67]
	v_div_scale_f64 v[66:67], null, v[20:21], v[20:21], 1.0
	v_fma_f64 v[62:63], v[60:61], s[78:79], v[68:69]
	s_delay_alu instid0(VALU_DEP_2) | instskip(NEXT) | instid1(VALU_DEP_1)
	v_rcp_f64_e32 v[70:71], v[66:67]
	v_div_scale_f64 v[68:69], null, v[62:63], v[62:63], 1.0
	s_delay_alu instid0(TRANS32_DEP_1) | instskip(NEXT) | instid1(VALU_DEP_2)
	v_fma_f64 v[76:77], -v[66:67], v[70:71], 1.0
	v_rcp_f64_e32 v[74:75], v[68:69]
	s_delay_alu instid0(VALU_DEP_1) | instskip(NEXT) | instid1(TRANS32_DEP_1)
	v_fma_f64 v[70:71], v[70:71], v[76:77], v[70:71]
	v_fma_f64 v[78:79], -v[68:69], v[74:75], 1.0
	s_delay_alu instid0(VALU_DEP_2) | instskip(NEXT) | instid1(VALU_DEP_2)
	v_fma_f64 v[76:77], -v[66:67], v[70:71], 1.0
	v_fma_f64 v[74:75], v[74:75], v[78:79], v[74:75]
	s_delay_alu instid0(VALU_DEP_2) | instskip(SKIP_1) | instid1(VALU_DEP_3)
	v_fma_f64 v[70:71], v[70:71], v[76:77], v[70:71]
	v_div_scale_f64 v[76:77], s0, 1.0, v[62:63], 1.0
	v_fma_f64 v[78:79], -v[68:69], v[74:75], 1.0
	s_delay_alu instid0(VALU_DEP_1) | instskip(NEXT) | instid1(VALU_DEP_4)
	v_fma_f64 v[74:75], v[74:75], v[78:79], v[74:75]
	v_mul_f64_e32 v[78:79], v[80:81], v[70:71]
	s_delay_alu instid0(VALU_DEP_2) | instskip(NEXT) | instid1(VALU_DEP_2)
	v_mul_f64_e32 v[82:83], v[76:77], v[74:75]
	v_fma_f64 v[66:67], -v[66:67], v[78:79], v[80:81]
	s_delay_alu instid0(VALU_DEP_2) | instskip(SKIP_1) | instid1(VALU_DEP_2)
	v_fma_f64 v[68:69], -v[68:69], v[82:83], v[76:77]
	s_wait_alu 0xfffd
	v_div_fmas_f64 v[66:67], v[66:67], v[70:71], v[78:79]
	s_mov_b32 vcc_lo, s0
	s_wait_alu 0xfffe
	s_delay_alu instid0(VALU_DEP_2) | instskip(NEXT) | instid1(VALU_DEP_2)
	v_div_fmas_f64 v[68:69], v[68:69], v[74:75], v[82:83]
	v_div_fixup_f64 v[20:21], v[66:67], v[20:21], 1.0
	s_delay_alu instid0(VALU_DEP_2) | instskip(NEXT) | instid1(VALU_DEP_2)
	v_div_fixup_f64 v[62:63], v[68:69], v[62:63], 1.0
	v_mul_f64_e32 v[20:21], v[72:73], v[20:21]
	s_delay_alu instid0(VALU_DEP_2) | instskip(NEXT) | instid1(VALU_DEP_1)
	v_mul_f64_e32 v[60:61], v[60:61], v[62:63]
	v_fma_f64 v[60:61], v[60:61], v[60:61], 1.0
	s_delay_alu instid0(VALU_DEP_1) | instskip(SKIP_1) | instid1(VALU_DEP_2)
	v_div_scale_f64 v[62:63], null, v[60:61], v[60:61], 1.0
	v_div_scale_f64 v[74:75], vcc_lo, 1.0, v[60:61], 1.0
	v_rcp_f64_e32 v[68:69], v[62:63]
	s_delay_alu instid0(TRANS32_DEP_1) | instskip(NEXT) | instid1(VALU_DEP_1)
	v_fma_f64 v[70:71], -v[62:63], v[68:69], 1.0
	v_fma_f64 v[68:69], v[68:69], v[70:71], v[68:69]
	s_delay_alu instid0(VALU_DEP_1) | instskip(NEXT) | instid1(VALU_DEP_1)
	v_fma_f64 v[70:71], -v[62:63], v[68:69], 1.0
	v_fma_f64 v[68:69], v[68:69], v[70:71], v[68:69]
	s_delay_alu instid0(VALU_DEP_1) | instskip(NEXT) | instid1(VALU_DEP_1)
	v_mul_f64_e32 v[70:71], v[74:75], v[68:69]
	v_fma_f64 v[62:63], -v[62:63], v[70:71], v[74:75]
	s_wait_alu 0xfffd
	s_delay_alu instid0(VALU_DEP_1) | instskip(NEXT) | instid1(VALU_DEP_1)
	v_div_fmas_f64 v[62:63], v[62:63], v[68:69], v[70:71]
	v_div_fixup_f64 v[60:61], v[62:63], v[60:61], 1.0
	s_delay_alu instid0(VALU_DEP_1) | instskip(NEXT) | instid1(VALU_DEP_1)
	v_mul_f64_e32 v[60:61], v[64:65], v[60:61]
	v_mul_f64_e32 v[62:63], s[62:63], v[60:61]
	v_cmp_nlt_f64_e32 vcc_lo, 0x40900000, v[60:61]
	v_cmp_ngt_f64_e64 s0, 0xc090cc00, v[60:61]
	s_delay_alu instid0(VALU_DEP_3) | instskip(NEXT) | instid1(VALU_DEP_1)
	v_rndne_f64_e32 v[62:63], v[62:63]
	v_fma_f64 v[64:65], v[62:63], s[68:69], v[60:61]
	v_cvt_i32_f64_e32 v70, v[62:63]
	s_delay_alu instid0(VALU_DEP_2) | instskip(NEXT) | instid1(VALU_DEP_1)
	v_fma_f64 v[64:65], v[62:63], s[66:67], v[64:65]
	v_mul_f64_e32 v[68:69], s[70:71], v[64:65]
	s_delay_alu instid0(VALU_DEP_1) | instskip(NEXT) | instid1(VALU_DEP_1)
	v_fma_f64 v[64:65], v[64:65], s[74:75], v[68:69]
	v_fma_f64 v[68:69], v[64:65], s[6:7], s[4:5]
	s_delay_alu instid0(VALU_DEP_1) | instskip(NEXT) | instid1(VALU_DEP_1)
	v_fma_f64 v[68:69], v[64:65], v[68:69], s[14:15]
	v_fma_f64 v[68:69], v[64:65], v[68:69], s[18:19]
	;; [unrolled: 3-line block ×5, first 2 shown]
	s_delay_alu instid0(VALU_DEP_1) | instskip(NEXT) | instid1(VALU_DEP_1)
	v_fma_f64 v[68:69], v[64:65], v[68:69], 1.0
	v_fma_f64 v[62:63], v[64:65], v[68:69], 1.0
	s_delay_alu instid0(VALU_DEP_1) | instskip(SKIP_1) | instid1(VALU_DEP_1)
	v_ldexp_f64 v[62:63], v[62:63], v70
	s_wait_alu 0xfffd
	v_cndmask_b32_e32 v63, 0x7ff00000, v63, vcc_lo
	s_and_b32 vcc_lo, s0, vcc_lo
	s_wait_alu 0xfffe
	s_delay_alu instid0(VALU_DEP_2) | instskip(NEXT) | instid1(VALU_DEP_2)
	v_cndmask_b32_e32 v60, 0, v62, vcc_lo
	v_cndmask_b32_e64 v61, 0, v63, s0
	v_mad_co_u64_u32 v[62:63], null, s33, 21, v[0:1]
	v_mov_b32_e32 v63, v1
	s_mov_b32 s0, 0x1068f29
	s_delay_alu instid0(VALU_DEP_3) | instskip(SKIP_1) | instid1(VALU_DEP_3)
	v_mul_f64_e32 v[20:21], v[20:21], v[60:61]
	s_mov_b32 s1, 0xbfcdd089
	v_add_nc_u32_e32 v0, s33, v62
	s_delay_alu instid0(VALU_DEP_2) | instskip(SKIP_1) | instid1(VALU_DEP_1)
	v_mul_f64_e32 v[60:61], v[58:59], v[20:21]
	v_lshlrev_b64_e32 v[58:59], 3, v[62:63]
	v_add_co_u32 v63, vcc_lo, s8, v58
	s_wait_alu 0xfffd
	s_delay_alu instid0(VALU_DEP_2)
	v_add_co_ci_u32_e64 v64, null, s9, v59, vcc_lo
	v_add_co_u32 v10, vcc_lo, s12, v10
	s_wait_alu 0xfffd
	v_add_co_ci_u32_e64 v11, null, s13, v11, vcc_lo
	global_load_b64 v[10:11], v[10:11], off
	global_store_b64 v[86:87], v[60:61], off
	global_load_b64 v[60:61], v[63:64], off
	s_wait_loadcnt 0x0
	v_div_scale_f64 v[65:66], null, v[60:61], v[60:61], 1.0
	v_div_scale_f64 v[71:72], vcc_lo, 1.0, v[60:61], 1.0
	s_delay_alu instid0(VALU_DEP_2) | instskip(NEXT) | instid1(TRANS32_DEP_1)
	v_rcp_f64_e32 v[67:68], v[65:66]
	v_fma_f64 v[69:70], -v[65:66], v[67:68], 1.0
	s_delay_alu instid0(VALU_DEP_1) | instskip(NEXT) | instid1(VALU_DEP_1)
	v_fma_f64 v[67:68], v[67:68], v[69:70], v[67:68]
	v_fma_f64 v[69:70], -v[65:66], v[67:68], 1.0
	s_delay_alu instid0(VALU_DEP_1) | instskip(NEXT) | instid1(VALU_DEP_1)
	v_fma_f64 v[67:68], v[67:68], v[69:70], v[67:68]
	v_mul_f64_e32 v[69:70], v[71:72], v[67:68]
	s_delay_alu instid0(VALU_DEP_1) | instskip(SKIP_1) | instid1(VALU_DEP_1)
	v_fma_f64 v[65:66], -v[65:66], v[69:70], v[71:72]
	s_wait_alu 0xfffd
	v_div_fmas_f64 v[16:17], v[65:66], v[67:68], v[69:70]
	s_delay_alu instid0(VALU_DEP_1) | instskip(NEXT) | instid1(VALU_DEP_1)
	v_div_fixup_f64 v[14:15], v[16:17], v[60:61], 1.0
	v_mul_f64_e32 v[12:13], v[12:13], v[14:15]
	s_delay_alu instid0(VALU_DEP_1) | instskip(SKIP_1) | instid1(VALU_DEP_2)
	v_fma_f64 v[14:15], v[10:11], v[12:13], 1.0
	v_mul_f64_e32 v[10:11], v[10:11], v[12:13]
	v_div_scale_f64 v[16:17], null, v[14:15], v[14:15], 1.0
	v_div_scale_f64 v[69:70], vcc_lo, 1.0, v[14:15], 1.0
	s_delay_alu instid0(VALU_DEP_2) | instskip(NEXT) | instid1(TRANS32_DEP_1)
	v_rcp_f64_e32 v[65:66], v[16:17]
	v_fma_f64 v[67:68], -v[16:17], v[65:66], 1.0
	s_delay_alu instid0(VALU_DEP_1) | instskip(NEXT) | instid1(VALU_DEP_1)
	v_fma_f64 v[65:66], v[65:66], v[67:68], v[65:66]
	v_fma_f64 v[67:68], -v[16:17], v[65:66], 1.0
	s_delay_alu instid0(VALU_DEP_1) | instskip(NEXT) | instid1(VALU_DEP_1)
	v_fma_f64 v[65:66], v[65:66], v[67:68], v[65:66]
	v_mul_f64_e32 v[67:68], v[69:70], v[65:66]
	s_delay_alu instid0(VALU_DEP_1) | instskip(SKIP_1) | instid1(VALU_DEP_1)
	v_fma_f64 v[16:17], -v[16:17], v[67:68], v[69:70]
	s_wait_alu 0xfffd
	v_div_fmas_f64 v[16:17], v[16:17], v[65:66], v[67:68]
	s_delay_alu instid0(VALU_DEP_1)
	v_div_fixup_f64 v[12:13], v[16:17], v[14:15], 1.0
	v_mul_f64_e32 v[14:15], s[2:3], v[8:9]
	s_wait_alu 0xfffe
	v_mul_f64_e32 v[16:17], s[0:1], v[8:9]
	v_lshlrev_b64_e32 v[8:9], 3, v[0:1]
	s_mov_b32 s0, 0xac083127
	s_mov_b32 s1, 0x3fb45a1c
	;; [unrolled: 1-line block ×3, first 2 shown]
	s_wait_alu 0xfffe
	v_mul_f64_e32 v[18:19], s[0:1], v[18:19]
	s_mov_b32 s0, 0x67381d7e
	v_add_co_u32 v0, vcc_lo, s8, v8
	s_wait_alu 0xfffd
	v_add_co_ci_u32_e64 v1, null, s9, v9, vcc_lo
	v_add_co_u32 v4, vcc_lo, s10, v4
	s_wait_alu 0xfffd
	v_add_co_ci_u32_e64 v5, null, s11, v5, vcc_lo
	;; [unrolled: 3-line block ×3, first 2 shown]
	global_load_b64 v[77:78], v[4:5], off
	v_add_co_u32 v24, vcc_lo, s10, v24
	global_load_b64 v[2:3], v[2:3], off
	s_wait_alu 0xfffd
	v_add_co_ci_u32_e64 v25, null, s11, v25, vcc_lo
	s_mov_b32 s1, 0xbfef6944
	s_mov_b32 s3, 0x3fffb4a2
	v_mul_f64_e32 v[10:11], v[10:11], v[12:13]
	v_mul_f64_e32 v[12:13], s[34:35], v[14:15]
	;; [unrolled: 1-line block ×4, first 2 shown]
	s_delay_alu instid0(VALU_DEP_4) | instskip(NEXT) | instid1(VALU_DEP_4)
	v_mul_f64_e32 v[60:61], v[60:61], v[10:11]
	v_rndne_f64_e32 v[67:68], v[12:13]
	s_delay_alu instid0(VALU_DEP_3)
	v_rndne_f64_e32 v[69:70], v[69:70]
	global_store_b64 v[63:64], v[60:61], off
	global_load_b64 v[12:13], v[0:1], off
	v_rndne_f64_e32 v[60:61], v[65:66]
	v_fma_f64 v[62:63], v[67:68], s[36:37], v[14:15]
	v_fma_f64 v[75:76], v[69:70], s[36:37], v[18:19]
	s_delay_alu instid0(VALU_DEP_3) | instskip(NEXT) | instid1(VALU_DEP_3)
	v_fma_f64 v[64:65], v[60:61], s[36:37], v[16:17]
	v_fma_f64 v[62:63], v[67:68], s[38:39], v[62:63]
	v_cvt_i32_f64_e32 v68, v[67:68]
	s_delay_alu instid0(VALU_DEP_4) | instskip(NEXT) | instid1(VALU_DEP_4)
	v_fma_f64 v[75:76], v[69:70], s[38:39], v[75:76]
	v_fma_f64 v[64:65], v[60:61], s[38:39], v[64:65]
	s_delay_alu instid0(VALU_DEP_4) | instskip(NEXT) | instid1(VALU_DEP_3)
	v_fma_f64 v[71:72], v[62:63], s[6:7], s[4:5]
	v_fma_f64 v[79:80], v[75:76], s[6:7], s[4:5]
	s_delay_alu instid0(VALU_DEP_3) | instskip(NEXT) | instid1(VALU_DEP_3)
	v_fma_f64 v[73:74], v[64:65], s[6:7], s[4:5]
	v_fma_f64 v[71:72], v[62:63], v[71:72], s[14:15]
	s_delay_alu instid0(VALU_DEP_3) | instskip(NEXT) | instid1(VALU_DEP_3)
	;; [unrolled: 3-line block ×4, first 2 shown]
	v_fma_f64 v[73:74], v[64:65], v[73:74], s[18:19]
	v_fma_f64 v[71:72], v[62:63], v[71:72], s[22:23]
	s_delay_alu instid0(VALU_DEP_3) | instskip(SKIP_2) | instid1(VALU_DEP_4)
	v_fma_f64 v[79:80], v[75:76], v[79:80], s[22:23]
	s_wait_loadcnt 0x2
	v_mul_f64_e32 v[22:23], v[77:78], v[22:23]
	v_fma_f64 v[73:74], v[64:65], v[73:74], s[22:23]
	s_delay_alu instid0(VALU_DEP_4) | instskip(NEXT) | instid1(VALU_DEP_4)
	v_fma_f64 v[71:72], v[62:63], v[71:72], s[26:27]
	v_fma_f64 v[79:80], v[75:76], v[79:80], s[26:27]
	global_store_b64 v[4:5], v[22:23], off
	global_load_b64 v[4:5], v[24:25], off
	v_fma_f64 v[73:74], v[64:65], v[73:74], s[26:27]
	v_fma_f64 v[71:72], v[62:63], v[71:72], s[28:29]
	;; [unrolled: 1-line block ×3, first 2 shown]
	s_delay_alu instid0(VALU_DEP_3) | instskip(NEXT) | instid1(VALU_DEP_3)
	v_fma_f64 v[73:74], v[64:65], v[73:74], s[28:29]
	v_fma_f64 v[71:72], v[62:63], v[71:72], s[16:17]
	s_delay_alu instid0(VALU_DEP_3)
	v_fma_f64 v[79:80], v[75:76], v[79:80], s[16:17]
	s_wait_loadcnt 0x1
	v_div_scale_f64 v[81:82], null, v[12:13], v[12:13], 1.0
	v_div_scale_f64 v[22:23], vcc_lo, 1.0, v[12:13], 1.0
	v_fma_f64 v[73:74], v[64:65], v[73:74], s[16:17]
	v_fma_f64 v[71:72], v[62:63], v[71:72], s[20:21]
	;; [unrolled: 1-line block ×3, first 2 shown]
	v_rcp_f64_e32 v[83:84], v[81:82]
	s_delay_alu instid0(VALU_DEP_3) | instskip(NEXT) | instid1(VALU_DEP_3)
	v_fma_f64 v[73:74], v[64:65], v[73:74], s[20:21]
	v_fma_f64 v[71:72], v[62:63], v[71:72], s[24:25]
	s_delay_alu instid0(TRANS32_DEP_1) | instskip(NEXT) | instid1(VALU_DEP_3)
	v_fma_f64 v[85:86], -v[81:82], v[83:84], 1.0
	v_fma_f64 v[73:74], v[64:65], v[73:74], s[24:25]
	s_delay_alu instid0(VALU_DEP_3) | instskip(NEXT) | instid1(VALU_DEP_3)
	v_fma_f64 v[71:72], v[62:63], v[71:72], 1.0
	v_fma_f64 v[83:84], v[83:84], v[85:86], v[83:84]
	s_delay_alu instid0(VALU_DEP_3) | instskip(NEXT) | instid1(VALU_DEP_3)
	v_fma_f64 v[73:74], v[64:65], v[73:74], 1.0
	v_fma_f64 v[62:63], v[62:63], v[71:72], 1.0
	v_cvt_i32_f64_e32 v71, v[60:61]
	s_delay_alu instid0(VALU_DEP_4) | instskip(NEXT) | instid1(VALU_DEP_4)
	v_fma_f64 v[77:78], -v[81:82], v[83:84], 1.0
	v_fma_f64 v[60:61], v[64:65], v[73:74], 1.0
	v_fma_f64 v[64:65], v[75:76], v[79:80], s[24:25]
	v_ldexp_f64 v[62:63], v[62:63], v68
	v_cvt_i32_f64_e32 v68, v[69:70]
	v_fma_f64 v[66:67], v[83:84], v[77:78], v[83:84]
	v_ldexp_f64 v[60:61], v[60:61], v71
	v_fma_f64 v[64:65], v[75:76], v[64:65], 1.0
	s_wait_alu 0xfffe
	v_mul_f64_e32 v[62:63], s[0:1], v[62:63]
	v_cmp_nlt_f64_e64 s0, 0x40900000, v[14:15]
	v_cmp_ngt_f64_e64 s1, 0xc090cc00, v[14:15]
	v_mul_f64_e32 v[71:72], v[22:23], v[66:67]
	v_mul_f64_e32 v[60:61], s[2:3], v[60:61]
	v_fma_f64 v[64:65], v[75:76], v[64:65], 1.0
	v_cmp_nlt_f64_e64 s2, 0x40900000, v[16:17]
	v_cmp_ngt_f64_e64 s3, 0xc090cc00, v[16:17]
	s_wait_alu 0xf1ff
	v_cndmask_b32_e64 v63, 0xfff00000, v63, s0
	s_wait_loadcnt 0x0
	v_mul_f64_e32 v[4:5], v[4:5], v[26:27]
	v_fma_f64 v[22:23], -v[81:82], v[71:72], v[22:23]
	v_ldexp_f64 v[14:15], v[64:65], v68
	v_cndmask_b32_e64 v61, 0x7ff00000, v61, s2
	s_delay_alu instid0(VALU_DEP_1)
	v_cndmask_b32_e64 v61, 0, v61, s3
	global_store_b64 v[24:25], v[4:5], off
	s_wait_alu 0xfffd
	v_div_fmas_f64 v[16:17], v[22:23], v[66:67], v[71:72]
	s_and_b32 vcc_lo, s1, s0
	v_cndmask_b32_e64 v23, 0x80000000, v63, s1
	s_wait_alu 0xfffe
	v_cndmask_b32_e32 v22, 0, v62, vcc_lo
	v_cmp_nlt_f64_e32 vcc_lo, 0x40900000, v[18:19]
	v_cmp_ngt_f64_e64 s0, 0xc090cc00, v[18:19]
	s_and_b32 s1, s3, s2
	s_wait_alu 0xfffe
	v_cndmask_b32_e64 v60, 0, v60, s1
	v_add_co_u32 v28, s1, s10, v28
	s_wait_alu 0xf1ff
	v_add_co_ci_u32_e64 v29, null, s11, v29, s1
	s_delay_alu instid0(VALU_DEP_3)
	v_add_f64_e32 v[18:19], v[22:23], v[60:61]
	v_add_co_u32 v34, s1, s10, v34
	global_load_b64 v[4:5], v[28:29], off
	s_wait_alu 0xf1ff
	v_add_co_ci_u32_e64 v35, null, s11, v35, s1
	s_wait_alu 0xfffd
	v_cndmask_b32_e32 v62, 0x7ff00000, v15, vcc_lo
	s_and_b32 vcc_lo, s0, vcc_lo
	v_div_fixup_f64 v[15:16], v[16:17], v[12:13], 1.0
	s_wait_alu 0xfffe
	v_cndmask_b32_e32 v22, 0, v14, vcc_lo
	v_cndmask_b32_e64 v23, 0, v62, s0
	s_delay_alu instid0(VALU_DEP_1) | instskip(NEXT) | instid1(VALU_DEP_4)
	v_add_f64_e32 v[17:18], v[22:23], v[18:19]
	v_mul_f64_e32 v[6:7], v[6:7], v[15:16]
	s_delay_alu instid0(VALU_DEP_2) | instskip(NEXT) | instid1(VALU_DEP_2)
	v_max_num_f64_e32 v[14:15], 0x38100000, v[17:18]
	v_mul_f64_e32 v[16:17], v[2:3], v[6:7]
	v_fma_f64 v[2:3], v[2:3], v[6:7], 1.0
	s_delay_alu instid0(VALU_DEP_3) | instskip(NEXT) | instid1(VALU_DEP_3)
	v_frexp_mant_f64_e32 v[18:19], v[14:15]
	v_max_num_f64_e32 v[22:23], 0x38100000, v[16:17]
	s_delay_alu instid0(VALU_DEP_2) | instskip(SKIP_2) | instid1(VALU_DEP_1)
	v_cmp_gt_f64_e32 vcc_lo, s[46:47], v[18:19]
	s_wait_alu 0xfffd
	v_cndmask_b32_e64 v60, 0, 1, vcc_lo
	v_ldexp_f64 v[18:19], v[18:19], v60
	s_delay_alu instid0(VALU_DEP_4) | instskip(NEXT) | instid1(VALU_DEP_2)
	v_frexp_mant_f64_e32 v[60:61], v[22:23]
	v_add_f64_e32 v[26:27], 1.0, v[18:19]
	s_delay_alu instid0(VALU_DEP_2) | instskip(NEXT) | instid1(VALU_DEP_2)
	v_cmp_gt_f64_e64 s0, s[46:47], v[60:61]
	v_rcp_f64_e32 v[24:25], v[26:27]
	s_wait_alu 0xf1ff
	s_delay_alu instid0(VALU_DEP_1) | instskip(NEXT) | instid1(VALU_DEP_1)
	v_cndmask_b32_e64 v62, 0, 1, s0
	v_ldexp_f64 v[60:61], v[60:61], v62
	s_delay_alu instid0(TRANS32_DEP_1) | instskip(NEXT) | instid1(VALU_DEP_2)
	v_fma_f64 v[64:65], -v[26:27], v[24:25], 1.0
	v_add_f64_e32 v[62:63], 1.0, v[60:61]
	v_add_f64_e32 v[72:73], -1.0, v[60:61]
	s_wait_loadcnt 0x0
	v_mul_f64_e32 v[4:5], v[4:5], v[32:33]
	s_delay_alu instid0(VALU_DEP_4) | instskip(NEXT) | instid1(VALU_DEP_4)
	v_fma_f64 v[24:25], v[64:65], v[24:25], v[24:25]
	v_rcp_f64_e32 v[66:67], v[62:63]
	global_store_b64 v[28:29], v[4:5], off
	global_load_b64 v[4:5], v[34:35], off
	v_fma_f64 v[68:69], -v[26:27], v[24:25], 1.0
	v_fma_f64 v[64:65], -v[62:63], v[66:67], 1.0
	s_delay_alu instid0(VALU_DEP_2) | instskip(NEXT) | instid1(VALU_DEP_2)
	v_fma_f64 v[24:25], v[68:69], v[24:25], v[24:25]
	v_fma_f64 v[64:65], v[64:65], v[66:67], v[66:67]
	v_add_f64_e32 v[66:67], -1.0, v[18:19]
	s_delay_alu instid0(VALU_DEP_2) | instskip(NEXT) | instid1(VALU_DEP_2)
	v_fma_f64 v[68:69], -v[62:63], v[64:65], 1.0
	v_mul_f64_e32 v[70:71], v[66:67], v[24:25]
	s_delay_alu instid0(VALU_DEP_2) | instskip(SKIP_1) | instid1(VALU_DEP_3)
	v_fma_f64 v[64:65], v[68:69], v[64:65], v[64:65]
	v_add_f64_e32 v[68:69], -1.0, v[26:27]
	v_mul_f64_e32 v[74:75], v[26:27], v[70:71]
	s_delay_alu instid0(VALU_DEP_3) | instskip(NEXT) | instid1(VALU_DEP_3)
	v_mul_f64_e32 v[76:77], v[72:73], v[64:65]
	v_add_f64_e64 v[18:19], v[18:19], -v[68:69]
	s_delay_alu instid0(VALU_DEP_3) | instskip(SKIP_1) | instid1(VALU_DEP_4)
	v_fma_f64 v[26:27], v[70:71], v[26:27], -v[74:75]
	v_add_f64_e32 v[68:69], -1.0, v[62:63]
	v_mul_f64_e32 v[78:79], v[62:63], v[76:77]
	s_delay_alu instid0(VALU_DEP_3) | instskip(NEXT) | instid1(VALU_DEP_3)
	v_fma_f64 v[18:19], v[70:71], v[18:19], v[26:27]
	v_add_f64_e64 v[26:27], v[60:61], -v[68:69]
	s_delay_alu instid0(VALU_DEP_3) | instskip(NEXT) | instid1(VALU_DEP_3)
	v_fma_f64 v[32:33], v[76:77], v[62:63], -v[78:79]
	v_add_f64_e32 v[28:29], v[74:75], v[18:19]
	s_delay_alu instid0(VALU_DEP_2) | instskip(NEXT) | instid1(VALU_DEP_2)
	v_fma_f64 v[26:27], v[76:77], v[26:27], v[32:33]
	v_add_f64_e64 v[32:33], v[66:67], -v[28:29]
	v_add_f64_e64 v[62:63], v[28:29], -v[74:75]
	s_wait_loadcnt 0x0
	v_mul_f64_e32 v[4:5], v[4:5], v[38:39]
	v_add_co_u32 v38, s1, s10, v40
	s_wait_alu 0xf1ff
	v_add_co_ci_u32_e64 v39, null, s11, v41, s1
	v_add_f64_e32 v[60:61], v[78:79], v[26:27]
	v_add_f64_e64 v[66:67], v[66:67], -v[32:33]
	v_add_f64_e64 v[18:19], v[62:63], -v[18:19]
	global_store_b64 v[34:35], v[4:5], off
	global_load_b64 v[4:5], v[38:39], off
	v_add_f64_e64 v[68:69], v[72:73], -v[60:61]
	v_add_f64_e64 v[62:63], v[60:61], -v[78:79]
	;; [unrolled: 1-line block ×3, first 2 shown]
	s_delay_alu instid0(VALU_DEP_3) | instskip(NEXT) | instid1(VALU_DEP_3)
	v_add_f64_e64 v[66:67], v[72:73], -v[68:69]
	v_add_f64_e64 v[26:27], v[62:63], -v[26:27]
	s_delay_alu instid0(VALU_DEP_3) | instskip(NEXT) | instid1(VALU_DEP_3)
	v_add_f64_e32 v[18:19], v[18:19], v[28:29]
	v_add_f64_e64 v[28:29], v[66:67], -v[60:61]
	s_delay_alu instid0(VALU_DEP_2) | instskip(NEXT) | instid1(VALU_DEP_2)
	v_add_f64_e32 v[18:19], v[32:33], v[18:19]
	v_add_f64_e32 v[26:27], v[26:27], v[28:29]
	s_delay_alu instid0(VALU_DEP_2) | instskip(NEXT) | instid1(VALU_DEP_2)
	v_mul_f64_e32 v[18:19], v[24:25], v[18:19]
	v_add_f64_e32 v[24:25], v[68:69], v[26:27]
	s_delay_alu instid0(VALU_DEP_2) | instskip(NEXT) | instid1(VALU_DEP_2)
	v_add_f64_e32 v[26:27], v[70:71], v[18:19]
	v_mul_f64_e32 v[24:25], v[64:65], v[24:25]
	s_delay_alu instid0(VALU_DEP_2) | instskip(NEXT) | instid1(VALU_DEP_2)
	v_mul_f64_e32 v[28:29], v[26:27], v[26:27]
	v_add_f64_e32 v[32:33], v[76:77], v[24:25]
	s_delay_alu instid0(VALU_DEP_2) | instskip(SKIP_1) | instid1(VALU_DEP_3)
	v_fma_f64 v[40:41], v[28:29], s[42:43], s[40:41]
	v_mul_f64_e32 v[62:63], v[26:27], v[28:29]
	v_mul_f64_e32 v[34:35], v[32:33], v[32:33]
	v_ldexp_f64 v[64:65], v[32:33], 1
	s_delay_alu instid0(VALU_DEP_4) | instskip(NEXT) | instid1(VALU_DEP_3)
	v_fma_f64 v[40:41], v[28:29], v[40:41], s[44:45]
	v_fma_f64 v[60:61], v[34:35], s[42:43], s[40:41]
	s_wait_loadcnt 0x0
	v_mul_f64_e32 v[4:5], v[4:5], v[46:47]
	s_delay_alu instid0(VALU_DEP_3) | instskip(SKIP_1) | instid1(VALU_DEP_4)
	v_fma_f64 v[40:41], v[28:29], v[40:41], s[50:51]
	v_frexp_exp_i32_f64_e32 v46, v[22:23]
	v_fma_f64 v[60:61], v[34:35], v[60:61], s[44:45]
	global_store_b64 v[38:39], v[4:5], off
	v_fma_f64 v[40:41], v[28:29], v[40:41], s[54:55]
	v_fma_f64 v[60:61], v[34:35], v[60:61], s[50:51]
	s_delay_alu instid0(VALU_DEP_2) | instskip(NEXT) | instid1(VALU_DEP_2)
	v_fma_f64 v[40:41], v[28:29], v[40:41], s[52:53]
	v_fma_f64 v[60:61], v[34:35], v[60:61], s[54:55]
	s_delay_alu instid0(VALU_DEP_2) | instskip(NEXT) | instid1(VALU_DEP_2)
	v_fma_f64 v[28:29], v[28:29], v[40:41], s[56:57]
	v_fma_f64 v[40:41], v[34:35], v[60:61], s[52:53]
	v_ldexp_f64 v[60:61], v[26:27], 1
	s_delay_alu instid0(VALU_DEP_3)
	v_mul_f64_e32 v[28:29], v[62:63], v[28:29]
	v_mul_f64_e32 v[62:63], v[32:33], v[34:35]
	v_add_f64_e64 v[26:27], v[26:27], -v[70:71]
	v_add_f64_e64 v[32:33], v[32:33], -v[76:77]
	v_fma_f64 v[34:35], v[34:35], v[40:41], s[56:57]
	v_add_f64_e32 v[40:41], v[60:61], v[28:29]
	s_delay_alu instid0(VALU_DEP_4) | instskip(NEXT) | instid1(VALU_DEP_4)
	v_add_f64_e64 v[18:19], v[18:19], -v[26:27]
	v_add_f64_e64 v[24:25], v[24:25], -v[32:33]
	v_add_co_u32 v32, s1, s10, v48
	s_wait_alu 0xf1ff
	v_add_co_ci_u32_e64 v33, null, s11, v49, s1
	v_subrev_co_ci_u32_e64 v48, null, 0, v46, s0
	global_load_b64 v[4:5], v[32:33], off
	v_cvt_f64_i32_e32 v[48:49], v48
	v_mul_f64_e32 v[34:35], v[62:63], v[34:35]
	v_add_f64_e64 v[26:27], v[40:41], -v[60:61]
	v_ldexp_f64 v[18:19], v[18:19], 1
	v_ldexp_f64 v[24:25], v[24:25], 1
	s_delay_alu instid0(VALU_DEP_4) | instskip(NEXT) | instid1(VALU_DEP_4)
	v_add_f64_e32 v[60:61], v[64:65], v[34:35]
	v_add_f64_e64 v[26:27], v[28:29], -v[26:27]
	s_delay_alu instid0(VALU_DEP_2) | instskip(NEXT) | instid1(VALU_DEP_2)
	v_add_f64_e64 v[28:29], v[60:61], -v[64:65]
	v_add_f64_e32 v[18:19], v[18:19], v[26:27]
	s_delay_alu instid0(VALU_DEP_2) | instskip(SKIP_1) | instid1(VALU_DEP_3)
	v_add_f64_e64 v[26:27], v[34:35], -v[28:29]
	v_frexp_exp_i32_f64_e32 v34, v[14:15]
	v_add_f64_e32 v[28:29], v[40:41], v[18:19]
	s_delay_alu instid0(VALU_DEP_3) | instskip(NEXT) | instid1(VALU_DEP_3)
	v_add_f64_e32 v[24:25], v[24:25], v[26:27]
	v_subrev_co_ci_u32_e64 v26, null, 0, v34, vcc_lo
	s_delay_alu instid0(VALU_DEP_3) | instskip(SKIP_2) | instid1(VALU_DEP_4)
	v_add_f64_e64 v[34:35], v[28:29], -v[40:41]
	v_mul_f64_e32 v[38:39], s[30:31], v[28:29]
	v_add_co_u32 v50, vcc_lo, s10, v50
	v_cvt_f64_i32_e32 v[26:27], v26
	s_wait_alu 0xfffd
	v_add_co_ci_u32_e64 v51, null, s11, v51, vcc_lo
	v_cmp_neq_f64_e32 vcc_lo, 0x7ff00000, v[14:15]
	v_add_f64_e32 v[40:41], v[60:61], v[24:25]
	v_add_f64_e64 v[18:19], v[18:19], -v[34:35]
	v_fma_f64 v[34:35], v[28:29], s[30:31], -v[38:39]
	v_mul_f64_e32 v[46:47], s[48:49], v[26:27]
	s_delay_alu instid0(VALU_DEP_4) | instskip(SKIP_1) | instid1(VALU_DEP_4)
	v_add_f64_e64 v[60:61], v[40:41], -v[60:61]
	v_mul_f64_e32 v[62:63], s[30:31], v[40:41]
	v_fma_f64 v[18:19], v[18:19], s[30:31], v[34:35]
	v_mul_f64_e32 v[34:35], s[48:49], v[48:49]
	v_fma_f64 v[64:65], v[26:27], s[48:49], -v[46:47]
	v_add_f64_e64 v[24:25], v[24:25], -v[60:61]
	v_fma_f64 v[60:61], v[40:41], s[30:31], -v[62:63]
	v_fma_f64 v[18:19], v[28:29], s[60:61], v[18:19]
	v_fma_f64 v[28:29], v[48:49], s[48:49], -v[34:35]
	v_fma_f64 v[26:27], v[26:27], s[58:59], v[64:65]
	s_wait_loadcnt 0x0
	v_mul_f64_e32 v[4:5], v[4:5], v[42:43]
	v_fma_f64 v[24:25], v[24:25], s[30:31], v[60:61]
	v_add_f64_e32 v[64:65], v[38:39], v[18:19]
	v_fma_f64 v[28:29], v[48:49], s[58:59], v[28:29]
	v_add_f64_e32 v[60:61], v[46:47], v[26:27]
	global_store_b64 v[32:33], v[4:5], off
	global_load_b64 v[4:5], v[50:51], off
	v_fma_f64 v[24:25], v[40:41], s[60:61], v[24:25]
	v_add_f64_e64 v[32:33], v[64:65], -v[38:39]
	v_add_f64_e32 v[48:49], v[34:35], v[28:29]
	v_add_f64_e32 v[40:41], v[60:61], v[64:65]
	v_add_f64_e64 v[46:47], v[60:61], -v[46:47]
	v_add_f64_e32 v[66:67], v[62:63], v[24:25]
	v_add_f64_e64 v[18:19], v[18:19], -v[32:33]
	v_add_f64_e64 v[34:35], v[48:49], -v[34:35]
	v_add_f64_e64 v[42:43], v[40:41], -v[60:61]
	v_add_f64_e64 v[26:27], v[26:27], -v[46:47]
	v_add_f64_e32 v[68:69], v[48:49], v[66:67]
	s_delay_alu instid0(VALU_DEP_4) | instskip(NEXT) | instid1(VALU_DEP_4)
	v_add_f64_e64 v[28:29], v[28:29], -v[34:35]
	v_add_f64_e64 v[38:39], v[40:41], -v[42:43]
	v_add_f64_e64 v[32:33], v[64:65], -v[42:43]
	v_add_f64_e64 v[42:43], v[66:67], -v[62:63]
	v_add_f64_e64 v[70:71], v[68:69], -v[48:49]
	s_delay_alu instid0(VALU_DEP_4) | instskip(SKIP_1) | instid1(VALU_DEP_4)
	v_add_f64_e64 v[38:39], v[60:61], -v[38:39]
	v_add_f64_e32 v[60:61], v[26:27], v[18:19]
	v_add_f64_e64 v[24:25], v[24:25], -v[42:43]
	s_delay_alu instid0(VALU_DEP_4) | instskip(SKIP_3) | instid1(VALU_DEP_4)
	v_add_f64_e64 v[46:47], v[68:69], -v[70:71]
	v_add_f64_e64 v[34:35], v[66:67], -v[70:71]
	v_add_f64_e32 v[32:33], v[32:33], v[38:39]
	v_add_f64_e64 v[42:43], v[60:61], -v[26:27]
	v_add_f64_e64 v[38:39], v[48:49], -v[46:47]
	v_add_f64_e32 v[46:47], v[28:29], v[24:25]
	s_delay_alu instid0(VALU_DEP_4) | instskip(NEXT) | instid1(VALU_DEP_4)
	v_add_f64_e32 v[32:33], v[60:61], v[32:33]
	v_add_f64_e64 v[18:19], v[18:19], -v[42:43]
	s_delay_alu instid0(VALU_DEP_4) | instskip(SKIP_3) | instid1(VALU_DEP_4)
	v_add_f64_e32 v[34:35], v[34:35], v[38:39]
	v_add_f64_e64 v[38:39], v[60:61], -v[42:43]
	v_add_f64_e64 v[60:61], v[46:47], -v[28:29]
	v_add_f64_e32 v[48:49], v[40:41], v[32:33]
	v_add_f64_e32 v[34:35], v[46:47], v[34:35]
	s_delay_alu instid0(VALU_DEP_4) | instskip(NEXT) | instid1(VALU_DEP_4)
	v_add_f64_e64 v[26:27], v[26:27], -v[38:39]
	v_add_f64_e64 v[24:25], v[24:25], -v[60:61]
	s_delay_alu instid0(VALU_DEP_4) | instskip(SKIP_3) | instid1(VALU_DEP_4)
	v_add_f64_e64 v[38:39], v[48:49], -v[40:41]
	v_add_f64_e64 v[40:41], v[46:47], -v[60:61]
	v_add_f64_e32 v[42:43], v[68:69], v[34:35]
	v_add_f64_e32 v[18:19], v[18:19], v[26:27]
	v_add_f64_e64 v[26:27], v[32:33], -v[38:39]
	s_delay_alu instid0(VALU_DEP_4)
	v_add_f64_e64 v[28:29], v[28:29], -v[40:41]
	s_wait_loadcnt 0x0
	v_mul_f64_e32 v[4:5], v[4:5], v[36:37]
	v_add_co_u32 v40, s1, s10, v52
	s_wait_alu 0xf1ff
	v_add_co_ci_u32_e64 v41, null, s11, v53, s1
	v_add_f64_e64 v[32:33], v[42:43], -v[68:69]
	v_add_f64_e32 v[18:19], v[18:19], v[26:27]
	v_add_f64_e32 v[24:25], v[24:25], v[28:29]
	global_store_b64 v[50:51], v[4:5], off
	v_add_f64_e64 v[26:27], v[34:35], -v[32:33]
	v_add_f64_e32 v[18:19], v[48:49], v[18:19]
	s_delay_alu instid0(VALU_DEP_2) | instskip(SKIP_1) | instid1(VALU_DEP_2)
	v_add_f64_e32 v[14:15], v[24:25], v[26:27]
	s_wait_alu 0xfffd
	v_cndmask_b32_e32 v19, 0x7ff00000, v19, vcc_lo
	s_delay_alu instid0(VALU_DEP_3)
	v_cndmask_b32_e32 v18, 0, v18, vcc_lo
	v_cmp_neq_f64_e32 vcc_lo, 0x7ff00000, v[22:23]
	v_add_co_u32 v22, s0, s10, v44
	s_wait_alu 0xf1ff
	v_add_co_ci_u32_e64 v23, null, s11, v45, s0
	v_fma_f64 v[24:25], v[18:19], s[72:73], s[64:65]
	v_fma_f64 v[26:27], v[18:19], s[76:77], 0x3fe80000
	global_load_b64 v[4:5], v[22:23], off
	v_add_f64_e32 v[14:15], v[42:43], v[14:15]
	s_wait_alu 0xfffd
	s_delay_alu instid0(VALU_DEP_1) | instskip(NEXT) | instid1(VALU_DEP_2)
	v_cndmask_b32_e32 v15, 0x7ff00000, v15, vcc_lo
	v_cndmask_b32_e32 v14, 0, v14, vcc_lo
	v_div_scale_f64 v[38:39], vcc_lo, 1.0, v[2:3], 1.0
	s_delay_alu instid0(VALU_DEP_2) | instskip(SKIP_1) | instid1(VALU_DEP_2)
	v_add_f64_e64 v[14:15], v[14:15], -v[24:25]
	v_div_scale_f64 v[24:25], null, v[2:3], v[2:3], 1.0
	v_fma_f64 v[6:7], v[14:15], s[78:79], v[26:27]
	s_delay_alu instid0(VALU_DEP_2) | instskip(NEXT) | instid1(VALU_DEP_1)
	v_rcp_f64_e32 v[28:29], v[24:25]
	v_div_scale_f64 v[26:27], null, v[6:7], v[6:7], 1.0
	s_delay_alu instid0(TRANS32_DEP_1) | instskip(NEXT) | instid1(VALU_DEP_2)
	v_fma_f64 v[34:35], -v[24:25], v[28:29], 1.0
	v_rcp_f64_e32 v[32:33], v[26:27]
	s_delay_alu instid0(VALU_DEP_1) | instskip(NEXT) | instid1(TRANS32_DEP_1)
	v_fma_f64 v[28:29], v[28:29], v[34:35], v[28:29]
	v_fma_f64 v[36:37], -v[26:27], v[32:33], 1.0
	s_delay_alu instid0(VALU_DEP_2) | instskip(NEXT) | instid1(VALU_DEP_2)
	v_fma_f64 v[34:35], -v[24:25], v[28:29], 1.0
	v_fma_f64 v[32:33], v[32:33], v[36:37], v[32:33]
	s_delay_alu instid0(VALU_DEP_2) | instskip(SKIP_1) | instid1(VALU_DEP_3)
	v_fma_f64 v[28:29], v[28:29], v[34:35], v[28:29]
	v_div_scale_f64 v[34:35], s0, 1.0, v[6:7], 1.0
	v_fma_f64 v[36:37], -v[26:27], v[32:33], 1.0
	s_wait_loadcnt 0x0
	v_mul_f64_e32 v[4:5], v[4:5], v[30:31]
	s_delay_alu instid0(VALU_DEP_4) | instskip(NEXT) | instid1(VALU_DEP_3)
	v_mul_f64_e32 v[30:31], v[38:39], v[28:29]
	v_fma_f64 v[32:33], v[32:33], v[36:37], v[32:33]
	global_store_b64 v[22:23], v[4:5], off
	global_load_b64 v[4:5], v[40:41], off
	v_fma_f64 v[22:23], -v[24:25], v[30:31], v[38:39]
	v_mul_f64_e32 v[36:37], v[34:35], v[32:33]
	s_wait_alu 0xfffd
	s_delay_alu instid0(VALU_DEP_2) | instskip(SKIP_1) | instid1(VALU_DEP_2)
	v_div_fmas_f64 v[22:23], v[22:23], v[28:29], v[30:31]
	s_mov_b32 vcc_lo, s0
	v_fma_f64 v[24:25], -v[26:27], v[36:37], v[34:35]
	s_delay_alu instid0(VALU_DEP_2) | instskip(SKIP_1) | instid1(VALU_DEP_2)
	v_div_fixup_f64 v[2:3], v[22:23], v[2:3], 1.0
	s_wait_alu 0xfffe
	v_div_fmas_f64 v[24:25], v[24:25], v[32:33], v[36:37]
	s_delay_alu instid0(VALU_DEP_2) | instskip(NEXT) | instid1(VALU_DEP_2)
	v_mul_f64_e32 v[2:3], v[16:17], v[2:3]
	v_div_fixup_f64 v[6:7], v[24:25], v[6:7], 1.0
	s_delay_alu instid0(VALU_DEP_1) | instskip(NEXT) | instid1(VALU_DEP_1)
	v_mul_f64_e32 v[6:7], v[14:15], v[6:7]
	v_fma_f64 v[6:7], v[6:7], v[6:7], 1.0
	s_delay_alu instid0(VALU_DEP_1) | instskip(NEXT) | instid1(VALU_DEP_1)
	v_div_scale_f64 v[14:15], null, v[6:7], v[6:7], 1.0
	v_rcp_f64_e32 v[24:25], v[14:15]
	s_delay_alu instid0(TRANS32_DEP_1) | instskip(SKIP_2) | instid1(VALU_DEP_2)
	v_fma_f64 v[26:27], -v[14:15], v[24:25], 1.0
	s_wait_loadcnt 0x0
	v_mul_f64_e32 v[4:5], v[4:5], v[54:55]
	v_fma_f64 v[24:25], v[24:25], v[26:27], v[24:25]
	v_add_co_u32 v26, vcc_lo, s10, v56
	s_wait_alu 0xfffd
	v_add_co_ci_u32_e64 v27, null, s11, v57, vcc_lo
	global_store_b64 v[40:41], v[4:5], off
	v_div_scale_f64 v[30:31], vcc_lo, 1.0, v[6:7], 1.0
	global_load_b64 v[4:5], v[26:27], off
	v_fma_f64 v[28:29], -v[14:15], v[24:25], 1.0
	s_delay_alu instid0(VALU_DEP_1) | instskip(NEXT) | instid1(VALU_DEP_1)
	v_fma_f64 v[24:25], v[24:25], v[28:29], v[24:25]
	v_mul_f64_e32 v[28:29], v[30:31], v[24:25]
	s_delay_alu instid0(VALU_DEP_1) | instskip(SKIP_1) | instid1(VALU_DEP_1)
	v_fma_f64 v[14:15], -v[14:15], v[28:29], v[30:31]
	s_wait_alu 0xfffd
	v_div_fmas_f64 v[14:15], v[14:15], v[24:25], v[28:29]
	s_delay_alu instid0(VALU_DEP_1) | instskip(NEXT) | instid1(VALU_DEP_1)
	v_div_fixup_f64 v[6:7], v[14:15], v[6:7], 1.0
	v_mul_f64_e32 v[6:7], v[18:19], v[6:7]
	s_delay_alu instid0(VALU_DEP_1)
	v_mul_f64_e32 v[14:15], s[62:63], v[6:7]
	v_cmp_ngt_f64_e64 s0, 0xc090cc00, v[6:7]
	s_wait_loadcnt 0x0
	v_mul_f64_e32 v[4:5], v[4:5], v[20:21]
	v_add_co_u32 v20, vcc_lo, s10, v58
	s_wait_alu 0xfffd
	v_add_co_ci_u32_e64 v21, null, s11, v59, vcc_lo
	v_add_co_u32 v8, vcc_lo, s10, v8
	s_wait_alu 0xfffd
	v_add_co_ci_u32_e64 v9, null, s11, v9, vcc_lo
	v_cmp_nlt_f64_e32 vcc_lo, 0x40900000, v[6:7]
	v_rndne_f64_e32 v[14:15], v[14:15]
	global_store_b64 v[26:27], v[4:5], off
	global_load_b64 v[4:5], v[20:21], off
	v_fma_f64 v[18:19], v[14:15], s[68:69], v[6:7]
	s_delay_alu instid0(VALU_DEP_1) | instskip(SKIP_1) | instid1(VALU_DEP_2)
	v_fma_f64 v[18:19], v[14:15], s[66:67], v[18:19]
	v_cvt_i32_f64_e32 v14, v[14:15]
	v_mul_f64_e32 v[24:25], s[70:71], v[18:19]
	s_delay_alu instid0(VALU_DEP_1) | instskip(NEXT) | instid1(VALU_DEP_1)
	v_fma_f64 v[18:19], v[18:19], s[74:75], v[24:25]
	v_fma_f64 v[24:25], v[18:19], s[6:7], s[4:5]
	s_delay_alu instid0(VALU_DEP_1) | instskip(NEXT) | instid1(VALU_DEP_1)
	v_fma_f64 v[24:25], v[18:19], v[24:25], s[14:15]
	v_fma_f64 v[24:25], v[18:19], v[24:25], s[18:19]
	;; [unrolled: 3-line block ×3, first 2 shown]
	s_wait_loadcnt 0x0
	v_mul_f64_e32 v[4:5], v[4:5], v[10:11]
	s_delay_alu instid0(VALU_DEP_2) | instskip(SKIP_3) | instid1(VALU_DEP_1)
	v_fma_f64 v[10:11], v[18:19], v[24:25], s[28:29]
	global_store_b64 v[20:21], v[4:5], off
	global_load_b64 v[4:5], v[8:9], off
	v_fma_f64 v[10:11], v[18:19], v[10:11], s[16:17]
	v_fma_f64 v[10:11], v[18:19], v[10:11], s[20:21]
	s_delay_alu instid0(VALU_DEP_1) | instskip(NEXT) | instid1(VALU_DEP_1)
	v_fma_f64 v[10:11], v[18:19], v[10:11], s[24:25]
	v_fma_f64 v[10:11], v[18:19], v[10:11], 1.0
	s_delay_alu instid0(VALU_DEP_1) | instskip(NEXT) | instid1(VALU_DEP_1)
	v_fma_f64 v[10:11], v[18:19], v[10:11], 1.0
	v_ldexp_f64 v[10:11], v[10:11], v14
	s_wait_alu 0xfffd
	s_delay_alu instid0(VALU_DEP_1) | instskip(SKIP_2) | instid1(VALU_DEP_2)
	v_cndmask_b32_e32 v11, 0x7ff00000, v11, vcc_lo
	s_and_b32 vcc_lo, s0, vcc_lo
	s_wait_alu 0xfffe
	v_cndmask_b32_e32 v6, 0, v10, vcc_lo
	s_delay_alu instid0(VALU_DEP_2) | instskip(NEXT) | instid1(VALU_DEP_1)
	v_cndmask_b32_e64 v7, 0, v11, s0
	v_mul_f64_e32 v[2:3], v[2:3], v[6:7]
	s_delay_alu instid0(VALU_DEP_1)
	v_mul_f64_e32 v[6:7], v[12:13], v[2:3]
	s_wait_loadcnt 0x0
	v_mul_f64_e32 v[2:3], v[4:5], v[2:3]
	global_store_b64 v[0:1], v[6:7], off
	global_store_b64 v[8:9], v[2:3], off
	s_endpgm
	.section	.rodata,"a",@progbits
	.p2align	6, 0x0
	.amdhsa_kernel _Z11ratx_kernelIdEvPKT_S2_PS0_S3_S2_S0_
		.amdhsa_group_segment_fixed_size 0
		.amdhsa_private_segment_fixed_size 0
		.amdhsa_kernarg_size 304
		.amdhsa_user_sgpr_count 2
		.amdhsa_user_sgpr_dispatch_ptr 0
		.amdhsa_user_sgpr_queue_ptr 0
		.amdhsa_user_sgpr_kernarg_segment_ptr 1
		.amdhsa_user_sgpr_dispatch_id 0
		.amdhsa_user_sgpr_private_segment_size 0
		.amdhsa_wavefront_size32 1
		.amdhsa_uses_dynamic_stack 0
		.amdhsa_enable_private_segment 0
		.amdhsa_system_sgpr_workgroup_id_x 1
		.amdhsa_system_sgpr_workgroup_id_y 0
		.amdhsa_system_sgpr_workgroup_id_z 0
		.amdhsa_system_sgpr_workgroup_info 0
		.amdhsa_system_vgpr_workitem_id 0
		.amdhsa_next_free_vgpr 94
		.amdhsa_next_free_sgpr 80
		.amdhsa_reserve_vcc 1
		.amdhsa_float_round_mode_32 0
		.amdhsa_float_round_mode_16_64 0
		.amdhsa_float_denorm_mode_32 3
		.amdhsa_float_denorm_mode_16_64 3
		.amdhsa_fp16_overflow 0
		.amdhsa_workgroup_processor_mode 1
		.amdhsa_memory_ordered 1
		.amdhsa_forward_progress 1
		.amdhsa_inst_pref_size 255
		.amdhsa_round_robin_scheduling 0
		.amdhsa_exception_fp_ieee_invalid_op 0
		.amdhsa_exception_fp_denorm_src 0
		.amdhsa_exception_fp_ieee_div_zero 0
		.amdhsa_exception_fp_ieee_overflow 0
		.amdhsa_exception_fp_ieee_underflow 0
		.amdhsa_exception_fp_ieee_inexact 0
		.amdhsa_exception_int_div_zero 0
	.end_amdhsa_kernel
	.section	.text._Z11ratx_kernelIdEvPKT_S2_PS0_S3_S2_S0_,"axG",@progbits,_Z11ratx_kernelIdEvPKT_S2_PS0_S3_S2_S0_,comdat
.Lfunc_end39:
	.size	_Z11ratx_kernelIdEvPKT_S2_PS0_S3_S2_S0_, .Lfunc_end39-_Z11ratx_kernelIdEvPKT_S2_PS0_S3_S2_S0_
                                        ; -- End function
	.set _Z11ratx_kernelIdEvPKT_S2_PS0_S3_S2_S0_.num_vgpr, 94
	.set _Z11ratx_kernelIdEvPKT_S2_PS0_S3_S2_S0_.num_agpr, 0
	.set _Z11ratx_kernelIdEvPKT_S2_PS0_S3_S2_S0_.numbered_sgpr, 80
	.set _Z11ratx_kernelIdEvPKT_S2_PS0_S3_S2_S0_.num_named_barrier, 0
	.set _Z11ratx_kernelIdEvPKT_S2_PS0_S3_S2_S0_.private_seg_size, 0
	.set _Z11ratx_kernelIdEvPKT_S2_PS0_S3_S2_S0_.uses_vcc, 1
	.set _Z11ratx_kernelIdEvPKT_S2_PS0_S3_S2_S0_.uses_flat_scratch, 0
	.set _Z11ratx_kernelIdEvPKT_S2_PS0_S3_S2_S0_.has_dyn_sized_stack, 0
	.set _Z11ratx_kernelIdEvPKT_S2_PS0_S3_S2_S0_.has_recursion, 0
	.set _Z11ratx_kernelIdEvPKT_S2_PS0_S3_S2_S0_.has_indirect_call, 0
	.section	.AMDGPU.csdata,"",@progbits
; Kernel info:
; codeLenInByte = 34672
; TotalNumSgprs: 82
; NumVgprs: 94
; ScratchSize: 0
; MemoryBound: 0
; FloatMode: 240
; IeeeMode: 1
; LDSByteSize: 0 bytes/workgroup (compile time only)
; SGPRBlocks: 0
; VGPRBlocks: 11
; NumSGPRsForWavesPerEU: 82
; NumVGPRsForWavesPerEU: 94
; Occupancy: 16
; WaveLimiterHint : 0
; COMPUTE_PGM_RSRC2:SCRATCH_EN: 0
; COMPUTE_PGM_RSRC2:USER_SGPR: 2
; COMPUTE_PGM_RSRC2:TRAP_HANDLER: 0
; COMPUTE_PGM_RSRC2:TGID_X_EN: 1
; COMPUTE_PGM_RSRC2:TGID_Y_EN: 0
; COMPUTE_PGM_RSRC2:TGID_Z_EN: 0
; COMPUTE_PGM_RSRC2:TIDIG_COMP_CNT: 0
	.section	.text._Z12ratxb_kernelIdEvPKT_S2_PS0_S3_S2_S0_,"axG",@progbits,_Z12ratxb_kernelIdEvPKT_S2_PS0_S3_S2_S0_,comdat
	.protected	_Z12ratxb_kernelIdEvPKT_S2_PS0_S3_S2_S0_ ; -- Begin function _Z12ratxb_kernelIdEvPKT_S2_PS0_S3_S2_S0_
	.globl	_Z12ratxb_kernelIdEvPKT_S2_PS0_S3_S2_S0_
	.p2align	8
	.type	_Z12ratxb_kernelIdEvPKT_S2_PS0_S3_S2_S0_,@function
_Z12ratxb_kernelIdEvPKT_S2_PS0_S3_S2_S0_: ; @_Z12ratxb_kernelIdEvPKT_S2_PS0_S3_S2_S0_
; %bb.0:
	s_clause 0x3
	s_load_b256 s[4:11], s[0:1], 0x0
	s_load_b128 s[12:15], s[0:1], 0x20
	s_load_b32 s33, s[0:1], 0x30
	s_load_b32 s0, s[0:1], 0x3c
	s_mov_b32 s83, 0x3ff66666
	s_mov_b32 s82, 0x66666666
	;; [unrolled: 1-line block ×19, first 2 shown]
	s_wait_kmcnt 0x0
	s_and_b32 s0, s0, 0xffff
	s_mov_b32 s51, s53
	v_mad_co_u64_u32 v[2:3], null, ttmp9, s0, v[0:1]
	s_mul_i32 s33, s33, s0
	v_mov_b32_e32 v3, 0
	s_mov_b32 s0, 0x147ae148
	s_mov_b32 s1, 0xbfd147ae
	s_mul_i32 s84, s33, 5
	s_mov_b32 s34, 0x509f79ff
	v_lshlrev_b64_e32 v[0:1], 3, v[2:3]
	v_add_nc_u32_e32 v2, s33, v2
	s_mov_b32 s35, 0x3fd34413
	s_mov_b32 s36, 0xa994fd21
	;; [unrolled: 1-line block ×4, first 2 shown]
	v_add_co_u32 v4, vcc_lo, s4, v0
	s_delay_alu instid0(VALU_DEP_1)
	v_add_co_ci_u32_e64 v5, null, s5, v1, vcc_lo
	v_add_co_u32 v0, vcc_lo, s6, v0
	s_wait_alu 0xfffd
	v_add_co_ci_u32_e64 v1, null, s7, v1, vcc_lo
	global_load_b64 v[6:7], v[4:5], off
	v_lshlrev_b64_e32 v[4:5], 3, v[2:3]
	v_add_nc_u32_e32 v2, s33, v2
	global_load_b64 v[40:41], v[0:1], off
	s_mov_b32 s29, 0x3fdbcb7b
	s_mov_b32 s30, 0xbaaafad3
	;; [unrolled: 1-line block ×3, first 2 shown]
	v_add_co_u32 v4, vcc_lo, s6, v4
	s_wait_alu 0xfffd
	v_add_co_ci_u32_e64 v5, null, s7, v5, vcc_lo
	s_mov_b32 s56, 0x652b82fe
	s_mov_b32 s57, 0x3ff71547
	;; [unrolled: 1-line block ×3, first 2 shown]
	global_load_b64 v[12:13], v[4:5], off
	v_lshlrev_b64_e32 v[4:5], 3, v[2:3]
	v_add_nc_u32_e32 v2, s33, v2
	s_mov_b32 s55, 0xbfe62e42
	s_mov_b32 s58, 0x3b39803f
	;; [unrolled: 1-line block ×4, first 2 shown]
	v_add_co_u32 v4, vcc_lo, s6, v4
	s_wait_alu 0xfffd
	v_add_co_ci_u32_e64 v5, null, s7, v5, vcc_lo
	s_mov_b32 s4, 0x6a5dcb37
	s_mov_b32 s3, 0x3e928af3
	;; [unrolled: 1-line block ×3, first 2 shown]
	global_load_b64 v[4:5], v[4:5], off
	s_mov_b32 s16, 0x14761f6e
	s_mov_b32 s17, 0x3f2a01a0
	;; [unrolled: 1-line block ×32, first 2 shown]
	s_wait_loadcnt 0x2
	v_add_f64_e32 v[0:1], 0, v[40:41]
	s_wait_loadcnt 0x1
	s_delay_alu instid0(VALU_DEP_1) | instskip(SKIP_1) | instid1(VALU_DEP_1)
	v_add_f64_e32 v[0:1], v[0:1], v[12:13]
	s_wait_loadcnt 0x0
	v_add_f64_e32 v[0:1], v[0:1], v[4:5]
	v_lshlrev_b64_e32 v[4:5], 3, v[2:3]
	v_add_nc_u32_e32 v2, s33, v2
	s_delay_alu instid0(VALU_DEP_2) | instskip(SKIP_1) | instid1(VALU_DEP_3)
	v_add_co_u32 v4, vcc_lo, s6, v4
	s_wait_alu 0xfffd
	v_add_co_ci_u32_e64 v5, null, s7, v5, vcc_lo
	global_load_b64 v[42:43], v[4:5], off
	v_lshlrev_b64_e32 v[4:5], 3, v[2:3]
	v_add_nc_u32_e32 v2, s33, v2
	s_delay_alu instid0(VALU_DEP_2) | instskip(SKIP_1) | instid1(VALU_DEP_3)
	v_add_co_u32 v4, vcc_lo, s6, v4
	s_wait_alu 0xfffd
	v_add_co_ci_u32_e64 v5, null, s7, v5, vcc_lo
	global_load_b64 v[4:5], v[4:5], off
	s_wait_loadcnt 0x1
	v_add_f64_e32 v[0:1], v[0:1], v[42:43]
	s_wait_loadcnt 0x0
	s_delay_alu instid0(VALU_DEP_1) | instskip(SKIP_2) | instid1(VALU_DEP_2)
	v_add_f64_e32 v[0:1], v[0:1], v[4:5]
	v_lshlrev_b64_e32 v[4:5], 3, v[2:3]
	v_add_nc_u32_e32 v2, s33, v2
	v_add_co_u32 v4, vcc_lo, s6, v4
	s_wait_alu 0xfffd
	s_delay_alu instid0(VALU_DEP_3) | instskip(SKIP_3) | instid1(VALU_DEP_2)
	v_add_co_ci_u32_e64 v5, null, s7, v5, vcc_lo
	global_load_b64 v[44:45], v[4:5], off
	v_lshlrev_b64_e32 v[4:5], 3, v[2:3]
	v_add_nc_u32_e32 v2, s33, v2
	v_add_co_u32 v34, vcc_lo, s6, v4
	s_wait_alu 0xfffd
	s_delay_alu instid0(VALU_DEP_3)
	v_add_co_ci_u32_e64 v35, null, s7, v5, vcc_lo
	s_clause 0x1
	global_load_b64 v[4:5], v[34:35], off
	global_load_b64 v[34:35], v[34:35], off
	s_wait_loadcnt 0x2
	v_add_f64_e32 v[0:1], v[0:1], v[44:45]
	s_wait_loadcnt 0x1
	s_delay_alu instid0(VALU_DEP_1) | instskip(SKIP_2) | instid1(VALU_DEP_2)
	v_add_f64_e32 v[0:1], v[0:1], v[4:5]
	v_lshlrev_b64_e32 v[4:5], 3, v[2:3]
	v_add_nc_u32_e32 v2, s33, v2
	v_add_co_u32 v4, vcc_lo, s6, v4
	s_wait_alu 0xfffd
	s_delay_alu instid0(VALU_DEP_3)
	v_add_co_ci_u32_e64 v5, null, s7, v5, vcc_lo
	global_load_b64 v[4:5], v[4:5], off
	s_wait_loadcnt 0x0
	v_add_f64_e32 v[0:1], v[0:1], v[4:5]
	v_lshlrev_b64_e32 v[4:5], 3, v[2:3]
	v_add_nc_u32_e32 v2, s33, v2
	s_delay_alu instid0(VALU_DEP_2) | instskip(SKIP_1) | instid1(VALU_DEP_3)
	v_add_co_u32 v4, vcc_lo, s6, v4
	s_wait_alu 0xfffd
	v_add_co_ci_u32_e64 v5, null, s7, v5, vcc_lo
	s_delay_alu instid0(VALU_DEP_3) | instskip(SKIP_4) | instid1(VALU_DEP_1)
	v_lshlrev_b64_e32 v[46:47], 3, v[2:3]
	v_add_nc_u32_e32 v2, s33, v2
	global_load_b64 v[4:5], v[4:5], off
	v_lshlrev_b64_e32 v[50:51], 3, v[2:3]
	v_add_nc_u32_e32 v2, s33, v2
	v_lshlrev_b64_e32 v[52:53], 3, v[2:3]
	v_add_nc_u32_e32 v2, s33, v2
	s_delay_alu instid0(VALU_DEP_1) | instskip(SKIP_1) | instid1(VALU_DEP_1)
	v_lshlrev_b64_e32 v[24:25], 3, v[2:3]
	v_add_nc_u32_e32 v2, s33, v2
	v_lshlrev_b64_e32 v[22:23], 3, v[2:3]
	v_add_nc_u32_e32 v2, s33, v2
	s_delay_alu instid0(VALU_DEP_1) | instskip(SKIP_1) | instid1(VALU_DEP_1)
	v_lshlrev_b64_e32 v[20:21], 3, v[2:3]
	v_add_nc_u32_e32 v2, s33, v2
	v_lshlrev_b64_e32 v[18:19], 3, v[2:3]
	v_add_nc_u32_e32 v2, s33, v2
	s_wait_loadcnt 0x0
	v_add_f64_e32 v[0:1], v[0:1], v[4:5]
	v_add_co_u32 v4, vcc_lo, s6, v46
	s_wait_alu 0xfffd
	v_add_co_ci_u32_e64 v5, null, s7, v47, vcc_lo
	v_add_co_u32 v28, vcc_lo, s6, v50
	s_wait_alu 0xfffd
	v_add_co_ci_u32_e64 v29, null, s7, v51, vcc_lo
	s_clause 0x1
	global_load_b64 v[48:49], v[4:5], off
	global_load_b64 v[36:37], v[28:29], off
	v_add_co_u32 v4, vcc_lo, s6, v52
	s_wait_alu 0xfffd
	v_add_co_ci_u32_e64 v5, null, s7, v53, vcc_lo
	s_clause 0x1
	global_load_b64 v[28:29], v[28:29], off
	global_load_b64 v[38:39], v[4:5], off
	v_add_co_u32 v4, vcc_lo, s6, v24
	s_wait_alu 0xfffd
	v_add_co_ci_u32_e64 v5, null, s7, v25, vcc_lo
	v_add_co_u32 v26, vcc_lo, s6, v22
	s_wait_alu 0xfffd
	v_add_co_ci_u32_e64 v27, null, s7, v23, vcc_lo
	s_clause 0x2
	global_load_b64 v[4:5], v[4:5], off
	global_load_b64 v[54:55], v[26:27], off
	;; [unrolled: 1-line block ×3, first 2 shown]
	s_wait_loadcnt 0x6
	v_add_f64_e32 v[0:1], v[0:1], v[48:49]
	s_wait_loadcnt 0x5
	s_delay_alu instid0(VALU_DEP_1) | instskip(SKIP_1) | instid1(VALU_DEP_1)
	v_add_f64_e32 v[0:1], v[0:1], v[36:37]
	s_wait_loadcnt 0x3
	v_add_f64_e32 v[0:1], v[0:1], v[38:39]
	s_wait_loadcnt 0x2
	s_delay_alu instid0(VALU_DEP_1)
	v_add_f64_e32 v[0:1], v[0:1], v[4:5]
	v_add_co_u32 v4, vcc_lo, s6, v20
	s_wait_alu 0xfffd
	v_add_co_ci_u32_e64 v5, null, s7, v21, vcc_lo
	global_load_b64 v[56:57], v[4:5], off
	v_add_co_u32 v4, vcc_lo, s6, v18
	s_wait_alu 0xfffd
	v_add_co_ci_u32_e64 v5, null, s7, v19, vcc_lo
	global_load_b64 v[58:59], v[4:5], off
	v_lshlrev_b64_e32 v[4:5], 3, v[2:3]
	v_add_nc_u32_e32 v2, s33, v2
	s_delay_alu instid0(VALU_DEP_2) | instskip(SKIP_1) | instid1(VALU_DEP_3)
	v_add_co_u32 v4, vcc_lo, s6, v4
	s_wait_alu 0xfffd
	v_add_co_ci_u32_e64 v5, null, s7, v5, vcc_lo
	s_delay_alu instid0(VALU_DEP_3)
	v_lshlrev_b64_e32 v[16:17], 3, v[2:3]
	v_add_nc_u32_e32 v2, s33, v2
	global_load_b64 v[4:5], v[4:5], off
	v_lshlrev_b64_e32 v[14:15], 3, v[2:3]
	v_add_nc_u32_e32 v2, s33, v2
	s_wait_loadcnt 0x4
	v_add_f64_e32 v[0:1], v[0:1], v[54:55]
	s_delay_alu instid0(VALU_DEP_2) | instskip(SKIP_2) | instid1(VALU_DEP_3)
	v_lshlrev_b64_e32 v[8:9], 3, v[2:3]
	v_add_nc_u32_e32 v2, s33, v2
	s_wait_loadcnt 0x2
	v_add_f64_e32 v[0:1], v[0:1], v[56:57]
	s_wait_loadcnt 0x1
	s_delay_alu instid0(VALU_DEP_1) | instskip(SKIP_1) | instid1(VALU_DEP_1)
	v_add_f64_e32 v[0:1], v[0:1], v[58:59]
	s_wait_loadcnt 0x0
	v_add_f64_e32 v[0:1], v[0:1], v[4:5]
	v_add_co_u32 v4, vcc_lo, s6, v16
	s_wait_alu 0xfffd
	v_add_co_ci_u32_e64 v5, null, s7, v17, vcc_lo
	global_load_b64 v[4:5], v[4:5], off
	s_wait_loadcnt 0x0
	v_add_f64_e32 v[0:1], v[0:1], v[4:5]
	v_add_co_u32 v4, vcc_lo, s6, v14
	s_wait_alu 0xfffd
	v_add_co_ci_u32_e64 v5, null, s7, v15, vcc_lo
	v_add_co_u32 v30, vcc_lo, s6, v8
	s_wait_alu 0xfffd
	v_add_co_ci_u32_e64 v31, null, s7, v9, vcc_lo
	global_load_b64 v[4:5], v[4:5], off
	s_wait_loadcnt 0x0
	v_add_f64_e32 v[0:1], v[0:1], v[4:5]
	s_clause 0x1
	global_load_b64 v[4:5], v[30:31], off
	global_load_b64 v[30:31], v[30:31], off
	s_wait_loadcnt 0x1
	v_add_f64_e32 v[0:1], v[0:1], v[4:5]
	v_lshlrev_b64_e32 v[4:5], 3, v[2:3]
	v_add_nc_u32_e32 v2, s33, v2
	s_delay_alu instid0(VALU_DEP_2) | instskip(SKIP_1) | instid1(VALU_DEP_3)
	v_add_co_u32 v10, vcc_lo, s6, v4
	s_wait_alu 0xfffd
	v_add_co_ci_u32_e64 v11, null, s7, v5, vcc_lo
	global_load_b64 v[10:11], v[10:11], off
	s_wait_loadcnt 0x0
	v_add_f64_e32 v[0:1], v[0:1], v[10:11]
	v_lshlrev_b64_e32 v[10:11], 3, v[2:3]
	s_delay_alu instid0(VALU_DEP_1) | instskip(SKIP_1) | instid1(VALU_DEP_2)
	v_add_co_u32 v10, vcc_lo, s6, v10
	s_wait_alu 0xfffd
	v_add_co_ci_u32_e64 v11, null, s7, v11, vcc_lo
	global_load_b64 v[60:61], v[10:11], off
	s_wait_loadcnt 0x0
	v_add_f64_e32 v[32:33], v[0:1], v[60:61]
	v_mul_f64_e32 v[0:1], s[14:15], v[6:7]
	s_mov_b32 s14, 0x7c89e6b0
	s_mov_b32 s15, 0x3efa0199
	s_delay_alu instid0(VALU_DEP_2) | instskip(SKIP_4) | instid1(VALU_DEP_4)
	v_add_f64_e64 v[6:7], v[32:33], -v[40:41]
	v_add_f64_e32 v[66:67], v[32:33], v[40:41]
	v_fma_f64 v[68:69], v[40:41], s[82:83], v[32:33]
	v_add_f64_e64 v[70:71], v[32:33], -v[42:43]
	s_mov_b32 s83, 0x3fea6666
	v_add_f64_e64 v[6:7], v[6:7], -v[44:45]
	s_delay_alu instid0(VALU_DEP_3) | instskip(NEXT) | instid1(VALU_DEP_3)
	v_fma_f64 v[68:69], v[44:45], s[80:81], v[68:69]
	v_add_f64_e64 v[70:71], v[70:71], -v[44:45]
	s_mov_b32 s81, 0x4004cccc
	s_delay_alu instid0(VALU_DEP_3) | instskip(NEXT) | instid1(VALU_DEP_3)
	v_add_f64_e32 v[6:7], v[6:7], v[48:49]
	v_add_f64_e32 v[68:69], v[48:49], v[68:69]
	s_delay_alu instid0(VALU_DEP_3) | instskip(NEXT) | instid1(VALU_DEP_3)
	v_fma_f64 v[70:71], 0xbfd00000, v[36:37], v[70:71]
	v_add_f64_e64 v[6:7], v[6:7], -v[38:39]
	s_delay_alu instid0(VALU_DEP_3) | instskip(NEXT) | instid1(VALU_DEP_3)
	v_fma_f64 v[68:69], 0x3fe80000, v[36:37], v[68:69]
	v_fma_f64 v[70:71], v[38:39], 0.5, v[70:71]
	s_delay_alu instid0(VALU_DEP_3) | instskip(SKIP_1) | instid1(VALU_DEP_3)
	v_fma_f64 v[6:7], v[58:59], 2.0, v[6:7]
	s_wait_alu 0xfffe
	v_fma_f64 v[68:69], v[38:39], s[80:81], v[68:69]
	s_delay_alu instid0(VALU_DEP_3) | instskip(SKIP_1) | instid1(VALU_DEP_3)
	v_fma_f64 v[70:71], v[58:59], 0.5, v[70:71]
	s_mov_b32 s81, 0x3fdccccc
	v_fma_f64 v[6:7], v[54:55], 2.0, v[6:7]
	s_delay_alu instid0(VALU_DEP_3) | instskip(NEXT) | instid1(VALU_DEP_3)
	v_fma_f64 v[68:69], v[58:59], 2.0, v[68:69]
	v_add_f64_e64 v[60:61], v[70:71], -v[60:61]
	s_delay_alu instid0(VALU_DEP_3) | instskip(SKIP_3) | instid1(VALU_DEP_4)
	v_fma_f64 v[62:63], v[56:57], 2.0, v[6:7]
	v_fma_f64 v[6:7], v[40:41], s[0:1], v[32:33]
	s_mov_b32 s0, 0x33333333
	s_mov_b32 s1, 0x40053333
	v_fma_f64 v[68:69], v[54:55], 2.0, v[68:69]
	s_delay_alu instid0(VALU_DEP_4) | instskip(SKIP_1) | instid1(VALU_DEP_3)
	v_fma_f64 v[60:61], v[54:55], 2.0, v[60:61]
	s_wait_alu 0xfffe
	v_fma_f64 v[6:7], v[44:45], s[0:1], v[6:7]
	s_mov_b32 s0, 0x7cecf427
	s_mov_b32 s1, 0xbf43323d
	s_delay_alu instid0(VALU_DEP_3) | instskip(NEXT) | instid1(VALU_DEP_3)
	v_fma_f64 v[68:69], v[56:57], 2.0, v[68:69]
	v_fma_f64 v[60:61], v[56:57], 2.0, v[60:61]
	s_delay_alu instid0(VALU_DEP_3) | instskip(NEXT) | instid1(VALU_DEP_1)
	v_add_f64_e32 v[6:7], v[48:49], v[6:7]
	v_fma_f64 v[6:7], v[58:59], 2.0, v[6:7]
	s_delay_alu instid0(VALU_DEP_1) | instskip(NEXT) | instid1(VALU_DEP_1)
	v_fma_f64 v[6:7], v[54:55], 2.0, v[6:7]
	v_fma_f64 v[64:65], v[56:57], 2.0, v[6:7]
	v_fma_f64 v[6:7], 0x40140000, v[44:45], v[66:67]
	v_fma_f64 v[66:67], 0x40140000, v[42:43], v[66:67]
	s_delay_alu instid0(VALU_DEP_2) | instskip(NEXT) | instid1(VALU_DEP_2)
	v_add_f64_e32 v[6:7], v[48:49], v[6:7]
	v_fma_f64 v[66:67], 0x40140000, v[44:45], v[66:67]
	s_delay_alu instid0(VALU_DEP_2) | instskip(NEXT) | instid1(VALU_DEP_2)
	v_fma_f64 v[6:7], v[36:37], 0.5, v[6:7]
	v_add_f64_e32 v[48:49], v[48:49], v[66:67]
	s_delay_alu instid0(VALU_DEP_2) | instskip(NEXT) | instid1(VALU_DEP_2)
	v_add_f64_e32 v[6:7], v[38:39], v[6:7]
	v_fma_f64 v[48:49], v[36:37], 0.5, v[48:49]
	s_delay_alu instid0(VALU_DEP_2) | instskip(NEXT) | instid1(VALU_DEP_2)
	v_fma_f64 v[6:7], v[58:59], 2.0, v[6:7]
	v_fma_f64 v[48:49], 0x40040000, v[38:39], v[48:49]
	s_delay_alu instid0(VALU_DEP_2) | instskip(NEXT) | instid1(VALU_DEP_2)
	v_fma_f64 v[10:11], v[54:55], 2.0, v[6:7]
	v_fma_f64 v[48:49], v[58:59], 2.0, v[48:49]
	s_delay_alu instid0(VALU_DEP_2) | instskip(NEXT) | instid1(VALU_DEP_2)
	v_fma_f64 v[10:11], v[56:57], 2.0, v[10:11]
	v_fma_f64 v[48:49], v[54:55], 2.0, v[48:49]
	v_mad_co_u64_u32 v[54:55], null, 0xffffffef, s33, v[2:3]
	v_mov_b32_e32 v55, v3
	s_delay_alu instid0(VALU_DEP_2) | instskip(NEXT) | instid1(VALU_DEP_4)
	v_lshl_add_u32 v2, s33, 2, v54
	v_fma_f64 v[48:49], v[56:57], 2.0, v[48:49]
	s_delay_alu instid0(VALU_DEP_3) | instskip(NEXT) | instid1(VALU_DEP_1)
	v_lshlrev_b64_e32 v[55:56], 3, v[54:55]
	v_add_co_u32 v57, vcc_lo, s8, v55
	s_wait_alu 0xfffd
	s_delay_alu instid0(VALU_DEP_2) | instskip(SKIP_3) | instid1(VALU_DEP_1)
	v_add_co_ci_u32_e64 v58, null, s9, v56, vcc_lo
	global_load_b64 v[66:67], v[57:58], off
	s_wait_loadcnt 0x0
	v_mul_f64_e32 v[66:67], v[62:63], v[66:67]
	v_mul_f64_e32 v[66:67], v[66:67], v[12:13]
	s_delay_alu instid0(VALU_DEP_1)
	v_mul_f64_e32 v[66:67], v[12:13], v[66:67]
	global_store_b64 v[57:58], v[66:67], off
	v_add_co_u32 v57, vcc_lo, s10, v55
	s_wait_alu 0xfffd
	v_add_co_ci_u32_e64 v58, null, s11, v56, vcc_lo
	global_load_b64 v[66:67], v[57:58], off
	s_wait_loadcnt 0x0
	v_mul_f64_e32 v[62:63], v[62:63], v[66:67]
	s_delay_alu instid0(VALU_DEP_1) | instskip(SKIP_2) | instid1(VALU_DEP_1)
	v_mul_f64_e32 v[40:41], v[40:41], v[62:63]
	global_store_b64 v[57:58], v[40:41], off
	v_lshlrev_b64_e32 v[40:41], 3, v[2:3]
	v_add_co_u32 v57, vcc_lo, s8, v40
	s_wait_alu 0xfffd
	s_delay_alu instid0(VALU_DEP_2)
	v_add_co_ci_u32_e64 v58, null, s9, v41, vcc_lo
	v_add_co_u32 v54, vcc_lo, s6, v55
	s_wait_alu 0xfffd
	v_add_co_ci_u32_e64 v55, null, s7, v56, vcc_lo
	global_load_b64 v[62:63], v[57:58], off
	v_add_co_u32 v56, vcc_lo, s10, v40
	global_load_b64 v[54:55], v[54:55], off
	s_wait_loadcnt 0x1
	v_mul_f64_e32 v[62:63], v[64:65], v[62:63]
	s_delay_alu instid0(VALU_DEP_1) | instskip(SKIP_1) | instid1(VALU_DEP_1)
	v_mul_f64_e32 v[62:63], v[12:13], v[62:63]
	s_wait_loadcnt 0x0
	v_mul_f64_e32 v[62:63], v[54:55], v[62:63]
	global_store_b64 v[57:58], v[62:63], off
	s_wait_alu 0xfffd
	v_add_co_ci_u32_e64 v57, null, s11, v41, vcc_lo
	global_load_b64 v[58:59], v[56:57], off
	s_wait_loadcnt 0x0
	v_mul_f64_e32 v[58:59], v[64:65], v[58:59]
	s_delay_alu instid0(VALU_DEP_1) | instskip(SKIP_2) | instid1(VALU_DEP_1)
	v_mul_f64_e32 v[44:45], v[44:45], v[58:59]
	v_mad_co_u64_u32 v[58:59], null, s33, -6, v[2:3]
	v_mov_b32_e32 v59, v3
	v_lshlrev_b64_e32 v[62:63], 3, v[58:59]
	global_store_b64 v[56:57], v[44:45], off
	v_add_co_u32 v44, vcc_lo, s8, v46
	s_wait_alu 0xfffd
	v_add_co_ci_u32_e64 v45, null, s9, v47, vcc_lo
	v_add_co_u32 v62, vcc_lo, s6, v62
	s_wait_alu 0xfffd
	v_add_co_ci_u32_e64 v63, null, s7, v63, vcc_lo
	global_load_b64 v[56:57], v[44:45], off
	global_load_b64 v[62:63], v[62:63], off
	s_wait_loadcnt 0x1
	v_mul_f64_e32 v[56:57], v[10:11], v[56:57]
	s_wait_loadcnt 0x0
	s_delay_alu instid0(VALU_DEP_1) | instskip(NEXT) | instid1(VALU_DEP_1)
	v_mul_f64_e32 v[56:57], v[56:57], v[62:63]
	v_mul_f64_e32 v[56:57], v[12:13], v[56:57]
	global_store_b64 v[44:45], v[56:57], off
	v_add_co_u32 v44, vcc_lo, s10, v46
	s_wait_alu 0xfffd
	v_add_co_ci_u32_e64 v45, null, s11, v47, vcc_lo
	global_load_b64 v[46:47], v[44:45], off
	s_wait_loadcnt 0x0
	v_mul_f64_e32 v[46:47], v[10:11], v[46:47]
	s_delay_alu instid0(VALU_DEP_1)
	v_mul_f64_e32 v[46:47], v[54:55], v[46:47]
	global_store_b64 v[44:45], v[46:47], off
	v_add_co_u32 v44, vcc_lo, s8, v50
	s_wait_alu 0xfffd
	v_add_co_ci_u32_e64 v45, null, s9, v51, vcc_lo
	global_load_b64 v[46:47], v[44:45], off
	s_wait_loadcnt 0x0
	v_mul_f64_e32 v[46:47], v[68:69], v[46:47]
	s_delay_alu instid0(VALU_DEP_1) | instskip(NEXT) | instid1(VALU_DEP_1)
	v_mul_f64_e32 v[46:47], v[62:63], v[46:47]
	v_mul_f64_e32 v[46:47], v[62:63], v[46:47]
	global_store_b64 v[44:45], v[46:47], off
	v_add_co_u32 v44, vcc_lo, s10, v50
	s_wait_alu 0xfffd
	v_add_co_ci_u32_e64 v45, null, s11, v51, vcc_lo
	global_load_b64 v[46:47], v[44:45], off
	s_wait_loadcnt 0x0
	v_mul_f64_e32 v[46:47], v[68:69], v[46:47]
	s_delay_alu instid0(VALU_DEP_1)
	v_mul_f64_e32 v[46:47], v[42:43], v[46:47]
	global_store_b64 v[44:45], v[46:47], off
	v_add_co_u32 v44, vcc_lo, s8, v52
	s_wait_alu 0xfffd
	v_add_co_ci_u32_e64 v45, null, s9, v53, vcc_lo
	global_load_b64 v[46:47], v[44:45], off
	s_wait_loadcnt 0x0
	v_mul_f64_e32 v[46:47], v[60:61], v[46:47]
	s_delay_alu instid0(VALU_DEP_1) | instskip(NEXT) | instid1(VALU_DEP_1)
	v_mul_f64_e32 v[46:47], v[12:13], v[46:47]
	v_mul_f64_e32 v[42:43], v[42:43], v[46:47]
	global_store_b64 v[44:45], v[42:43], off
	v_add_co_u32 v42, vcc_lo, s10, v52
	s_wait_alu 0xfffd
	v_add_co_ci_u32_e64 v43, null, s11, v53, vcc_lo
	global_load_b64 v[44:45], v[42:43], off
	s_wait_loadcnt 0x0
	v_mul_f64_e32 v[44:45], v[60:61], v[44:45]
	s_delay_alu instid0(VALU_DEP_1) | instskip(SKIP_3) | instid1(VALU_DEP_1)
	v_mul_f64_e32 v[34:35], v[44:45], v[34:35]
	global_store_b64 v[42:43], v[34:35], off
	v_mad_co_u64_u32 v[34:35], null, s33, 26, v[58:59]
	v_mov_b32_e32 v35, v3
	v_lshlrev_b64_e32 v[42:43], 3, v[34:35]
	s_delay_alu instid0(VALU_DEP_1) | instskip(SKIP_1) | instid1(VALU_DEP_2)
	v_add_co_u32 v44, vcc_lo, s8, v42
	s_wait_alu 0xfffd
	v_add_co_ci_u32_e64 v45, null, s9, v43, vcc_lo
	global_load_b64 v[46:47], v[44:45], off
	s_wait_loadcnt 0x0
	v_mul_f64_e32 v[46:47], v[48:49], v[46:47]
	s_delay_alu instid0(VALU_DEP_1) | instskip(NEXT) | instid1(VALU_DEP_1)
	v_mul_f64_e32 v[35:36], v[36:37], v[46:47]
	v_mul_f64_e32 v[35:36], v[62:63], v[35:36]
	global_store_b64 v[44:45], v[35:36], off
	v_add_co_u32 v35, vcc_lo, s10, v42
	s_wait_alu 0xfffd
	v_add_co_ci_u32_e64 v36, null, s11, v43, vcc_lo
	global_load_b64 v[42:43], v[35:36], off
	s_wait_loadcnt 0x0
	v_mul_f64_e32 v[42:43], v[48:49], v[42:43]
	s_delay_alu instid0(VALU_DEP_1) | instskip(SKIP_3) | instid1(VALU_DEP_1)
	v_mul_f64_e32 v[37:38], v[38:39], v[42:43]
	global_store_b64 v[35:36], v[37:38], off
	v_mad_co_u64_u32 v[34:35], null, s33, 17, v[34:35]
	v_mov_b32_e32 v35, v3
	v_lshlrev_b64_e32 v[35:36], 3, v[34:35]
	s_delay_alu instid0(VALU_DEP_1) | instskip(SKIP_1) | instid1(VALU_DEP_2)
	v_add_co_u32 v37, vcc_lo, s8, v35
	s_wait_alu 0xfffd
	v_add_co_ci_u32_e64 v38, null, s9, v36, vcc_lo
	v_add_co_u32 v35, vcc_lo, s10, v35
	s_wait_alu 0xfffd
	v_add_co_ci_u32_e64 v36, null, s11, v36, vcc_lo
	global_load_b64 v[42:43], v[37:38], off
	s_wait_loadcnt 0x0
	v_mul_f64_e32 v[42:43], v[10:11], v[42:43]
	global_store_b64 v[37:38], v[42:43], off
	global_load_b64 v[37:38], v[35:36], off
	s_wait_loadcnt 0x0
	v_mul_f64_e32 v[37:38], v[10:11], v[37:38]
	s_delay_alu instid0(VALU_DEP_1) | instskip(NEXT) | instid1(VALU_DEP_1)
	v_mul_f64_e32 v[28:29], v[37:38], v[28:29]
	v_mul_f64_e32 v[12:13], v[28:29], v[12:13]
	global_store_b64 v[35:36], v[12:13], off
	v_mad_co_u64_u32 v[12:13], null, 0x4b, s33, v[34:35]
	v_mov_b32_e32 v13, v3
	s_delay_alu instid0(VALU_DEP_1) | instskip(SKIP_1) | instid1(VALU_DEP_2)
	v_lshlrev_b64_e32 v[28:29], 3, v[12:13]
	v_add_nc_u32_e32 v2, s84, v12
	v_add_co_u32 v34, vcc_lo, s8, v28
	s_wait_alu 0xfffd
	s_delay_alu instid0(VALU_DEP_3) | instskip(SKIP_3) | instid1(VALU_DEP_1)
	v_add_co_ci_u32_e64 v35, null, s9, v29, vcc_lo
	global_load_b64 v[36:37], v[34:35], off
	s_wait_loadcnt 0x0
	v_mul_f64_e32 v[36:37], v[32:33], v[36:37]
	v_mul_f64_e32 v[26:27], v[36:37], v[26:27]
	v_add_co_u32 v36, vcc_lo, s6, v40
	s_wait_alu 0xfffd
	v_add_co_ci_u32_e64 v37, null, s7, v41, vcc_lo
	s_mov_b32 s6, 0x623fde64
	s_mov_b32 s7, 0x3ec71dee
	global_load_b64 v[36:37], v[36:37], off
	s_wait_loadcnt 0x0
	v_mul_f64_e32 v[26:27], v[26:27], v[36:37]
	global_store_b64 v[34:35], v[26:27], off
	v_add_co_u32 v26, vcc_lo, s10, v28
	s_wait_alu 0xfffd
	v_add_co_ci_u32_e64 v27, null, s11, v29, vcc_lo
	v_add_co_u32 v24, vcc_lo, s12, v24
	s_wait_alu 0xfffd
	v_add_co_ci_u32_e64 v25, null, s13, v25, vcc_lo
	global_load_b64 v[28:29], v[26:27], off
	s_wait_loadcnt 0x0
	v_mul_f64_e32 v[28:29], v[32:33], v[28:29]
	s_delay_alu instid0(VALU_DEP_1)
	v_mul_f64_e32 v[28:29], v[28:29], v[30:31]
	global_load_b64 v[30:31], v[24:25], off
	v_lshlrev_b64_e32 v[24:25], 3, v[2:3]
	global_store_b64 v[26:27], v[28:29], off
	v_add_co_u32 v26, vcc_lo, s8, v24
	s_wait_alu 0xfffd
	v_add_co_ci_u32_e64 v27, null, s9, v25, vcc_lo
	global_load_b64 v[28:29], v[26:27], off
	s_wait_loadcnt 0x0
	v_div_scale_f64 v[12:13], null, v[28:29], v[28:29], 1.0
	s_delay_alu instid0(VALU_DEP_1) | instskip(NEXT) | instid1(TRANS32_DEP_1)
	v_rcp_f64_e32 v[32:33], v[12:13]
	v_fma_f64 v[34:35], -v[12:13], v[32:33], 1.0
	s_delay_alu instid0(VALU_DEP_1) | instskip(NEXT) | instid1(VALU_DEP_1)
	v_fma_f64 v[32:33], v[32:33], v[34:35], v[32:33]
	v_fma_f64 v[34:35], -v[12:13], v[32:33], 1.0
	s_delay_alu instid0(VALU_DEP_1) | instskip(SKIP_1) | instid1(VALU_DEP_1)
	v_fma_f64 v[32:33], v[32:33], v[34:35], v[32:33]
	v_div_scale_f64 v[34:35], vcc_lo, 1.0, v[28:29], 1.0
	v_mul_f64_e32 v[36:37], v[34:35], v[32:33]
	s_delay_alu instid0(VALU_DEP_1) | instskip(SKIP_1) | instid1(VALU_DEP_1)
	v_fma_f64 v[12:13], -v[12:13], v[36:37], v[34:35]
	s_wait_alu 0xfffd
	v_div_fmas_f64 v[12:13], v[12:13], v[32:33], v[36:37]
	s_delay_alu instid0(VALU_DEP_1) | instskip(NEXT) | instid1(VALU_DEP_1)
	v_div_fixup_f64 v[12:13], v[12:13], v[28:29], 1.0
	v_mul_f64_e32 v[12:13], v[10:11], v[12:13]
	s_delay_alu instid0(VALU_DEP_1) | instskip(SKIP_1) | instid1(VALU_DEP_1)
	v_mul_f64_e32 v[32:33], v[30:31], v[12:13]
	v_fma_f64 v[12:13], v[30:31], v[12:13], 1.0
	v_div_scale_f64 v[30:31], null, v[12:13], v[12:13], 1.0
	s_delay_alu instid0(VALU_DEP_1) | instskip(NEXT) | instid1(TRANS32_DEP_1)
	v_rcp_f64_e32 v[34:35], v[30:31]
	v_fma_f64 v[36:37], -v[30:31], v[34:35], 1.0
	s_delay_alu instid0(VALU_DEP_1) | instskip(NEXT) | instid1(VALU_DEP_1)
	v_fma_f64 v[34:35], v[34:35], v[36:37], v[34:35]
	v_fma_f64 v[36:37], -v[30:31], v[34:35], 1.0
	s_delay_alu instid0(VALU_DEP_1) | instskip(SKIP_1) | instid1(VALU_DEP_1)
	v_fma_f64 v[34:35], v[34:35], v[36:37], v[34:35]
	v_div_scale_f64 v[36:37], vcc_lo, 1.0, v[12:13], 1.0
	v_mul_f64_e32 v[38:39], v[36:37], v[34:35]
	s_delay_alu instid0(VALU_DEP_1) | instskip(SKIP_1) | instid1(VALU_DEP_1)
	v_fma_f64 v[30:31], -v[30:31], v[38:39], v[36:37]
	s_wait_alu 0xfffd
	v_div_fmas_f64 v[30:31], v[30:31], v[34:35], v[38:39]
	s_delay_alu instid0(VALU_DEP_1) | instskip(NEXT) | instid1(VALU_DEP_1)
	v_div_fixup_f64 v[12:13], v[30:31], v[12:13], 1.0
	v_mul_f64_e32 v[30:31], v[32:33], v[12:13]
	v_max_num_f64_e32 v[12:13], 0x38100000, v[32:33]
	s_delay_alu instid0(VALU_DEP_1) | instskip(SKIP_1) | instid1(VALU_DEP_2)
	v_frexp_mant_f64_e32 v[32:33], v[12:13]
	v_frexp_exp_i32_f64_e32 v34, v[12:13]
	v_cmp_gt_f64_e32 vcc_lo, s[52:53], v[32:33]
	s_wait_alu 0xfffd
	v_cndmask_b32_e64 v35, 0, 1, vcc_lo
	s_delay_alu instid0(VALU_DEP_3)
	v_subrev_co_ci_u32_e64 v46, null, 0, v34, vcc_lo
	v_cmp_neq_f64_e32 vcc_lo, 0x7ff00000, v[12:13]
	s_wait_alu 0xfffe
	v_mul_f64_e32 v[12:13], s[0:1], v[0:1]
	v_ldexp_f64 v[32:33], v[32:33], v35
	s_mov_b32 s0, 0xc6a7ef9e
	s_mov_b32 s1, 0x3fe5374b
	s_delay_alu instid0(VALU_DEP_1) | instskip(SKIP_1) | instid1(VALU_DEP_2)
	v_add_f64_e32 v[36:37], 1.0, v[32:33]
	v_add_f64_e32 v[34:35], -1.0, v[32:33]
	v_add_f64_e32 v[38:39], -1.0, v[36:37]
	s_delay_alu instid0(VALU_DEP_1) | instskip(SKIP_1) | instid1(TRANS32_DEP_1)
	v_add_f64_e64 v[32:33], v[32:33], -v[38:39]
	v_rcp_f64_e32 v[38:39], v[36:37]
	v_fma_f64 v[40:41], -v[36:37], v[38:39], 1.0
	s_delay_alu instid0(VALU_DEP_1) | instskip(NEXT) | instid1(VALU_DEP_1)
	v_fma_f64 v[38:39], v[40:41], v[38:39], v[38:39]
	v_fma_f64 v[40:41], -v[36:37], v[38:39], 1.0
	s_delay_alu instid0(VALU_DEP_1) | instskip(NEXT) | instid1(VALU_DEP_1)
	v_fma_f64 v[38:39], v[40:41], v[38:39], v[38:39]
	v_mul_f64_e32 v[40:41], v[34:35], v[38:39]
	s_delay_alu instid0(VALU_DEP_1) | instskip(NEXT) | instid1(VALU_DEP_1)
	v_mul_f64_e32 v[42:43], v[36:37], v[40:41]
	v_fma_f64 v[36:37], v[40:41], v[36:37], -v[42:43]
	s_delay_alu instid0(VALU_DEP_1) | instskip(NEXT) | instid1(VALU_DEP_1)
	v_fma_f64 v[32:33], v[40:41], v[32:33], v[36:37]
	v_add_f64_e32 v[36:37], v[42:43], v[32:33]
	s_delay_alu instid0(VALU_DEP_1) | instskip(SKIP_1) | instid1(VALU_DEP_2)
	v_add_f64_e64 v[44:45], v[34:35], -v[36:37]
	v_add_f64_e64 v[42:43], v[36:37], -v[42:43]
	;; [unrolled: 1-line block ×3, first 2 shown]
	s_delay_alu instid0(VALU_DEP_2) | instskip(NEXT) | instid1(VALU_DEP_2)
	v_add_f64_e64 v[32:33], v[42:43], -v[32:33]
	v_add_f64_e64 v[34:35], v[34:35], -v[36:37]
	s_delay_alu instid0(VALU_DEP_1) | instskip(NEXT) | instid1(VALU_DEP_1)
	v_add_f64_e32 v[32:33], v[32:33], v[34:35]
	v_add_f64_e32 v[32:33], v[44:45], v[32:33]
	s_delay_alu instid0(VALU_DEP_1) | instskip(NEXT) | instid1(VALU_DEP_1)
	v_mul_f64_e32 v[32:33], v[38:39], v[32:33]
	v_add_f64_e32 v[34:35], v[40:41], v[32:33]
	s_delay_alu instid0(VALU_DEP_1) | instskip(SKIP_1) | instid1(VALU_DEP_2)
	v_add_f64_e64 v[36:37], v[34:35], -v[40:41]
	v_ldexp_f64 v[40:41], v[34:35], 1
	v_add_f64_e64 v[32:33], v[32:33], -v[36:37]
	v_mul_f64_e32 v[36:37], v[34:35], v[34:35]
	s_delay_alu instid0(VALU_DEP_2) | instskip(NEXT) | instid1(VALU_DEP_2)
	v_ldexp_f64 v[32:33], v[32:33], 1
	v_fma_f64 v[38:39], v[36:37], s[40:41], s[38:39]
	v_mul_f64_e32 v[34:35], v[34:35], v[36:37]
	s_delay_alu instid0(VALU_DEP_2) | instskip(NEXT) | instid1(VALU_DEP_1)
	v_fma_f64 v[38:39], v[36:37], v[38:39], s[42:43]
	v_fma_f64 v[38:39], v[36:37], v[38:39], s[44:45]
	s_delay_alu instid0(VALU_DEP_1) | instskip(NEXT) | instid1(VALU_DEP_1)
	v_fma_f64 v[38:39], v[36:37], v[38:39], s[46:47]
	v_fma_f64 v[38:39], v[36:37], v[38:39], s[48:49]
	s_delay_alu instid0(VALU_DEP_1) | instskip(NEXT) | instid1(VALU_DEP_1)
	v_fma_f64 v[38:39], v[36:37], v[38:39], s[50:51]
	v_mul_f64_e32 v[34:35], v[34:35], v[38:39]
	s_delay_alu instid0(VALU_DEP_1) | instskip(NEXT) | instid1(VALU_DEP_1)
	v_add_f64_e32 v[36:37], v[40:41], v[34:35]
	v_add_f64_e64 v[38:39], v[36:37], -v[40:41]
	s_delay_alu instid0(VALU_DEP_1) | instskip(NEXT) | instid1(VALU_DEP_1)
	v_add_f64_e64 v[34:35], v[34:35], -v[38:39]
	v_add_f64_e32 v[32:33], v[32:33], v[34:35]
	s_delay_alu instid0(VALU_DEP_1) | instskip(NEXT) | instid1(VALU_DEP_1)
	v_add_f64_e32 v[34:35], v[36:37], v[32:33]
	v_add_f64_e64 v[36:37], v[34:35], -v[36:37]
	s_delay_alu instid0(VALU_DEP_1) | instskip(SKIP_1) | instid1(VALU_DEP_1)
	v_add_f64_e64 v[32:33], v[32:33], -v[36:37]
	v_cvt_f64_i32_e32 v[36:37], v46
	v_mul_f64_e32 v[38:39], s[34:35], v[36:37]
	s_delay_alu instid0(VALU_DEP_1) | instskip(NEXT) | instid1(VALU_DEP_1)
	v_fma_f64 v[40:41], v[36:37], s[34:35], -v[38:39]
	v_fma_f64 v[36:37], v[36:37], s[36:37], v[40:41]
	s_delay_alu instid0(VALU_DEP_1) | instskip(NEXT) | instid1(VALU_DEP_1)
	v_add_f64_e32 v[40:41], v[38:39], v[36:37]
	v_add_f64_e64 v[38:39], v[40:41], -v[38:39]
	s_delay_alu instid0(VALU_DEP_1) | instskip(SKIP_1) | instid1(VALU_DEP_1)
	v_add_f64_e64 v[36:37], v[36:37], -v[38:39]
	v_mul_f64_e32 v[38:39], s[28:29], v[34:35]
	v_fma_f64 v[42:43], v[34:35], s[28:29], -v[38:39]
	s_delay_alu instid0(VALU_DEP_1) | instskip(NEXT) | instid1(VALU_DEP_1)
	v_fma_f64 v[32:33], v[32:33], s[28:29], v[42:43]
	v_fma_f64 v[32:33], v[34:35], s[30:31], v[32:33]
	s_delay_alu instid0(VALU_DEP_1) | instskip(NEXT) | instid1(VALU_DEP_1)
	v_add_f64_e32 v[34:35], v[38:39], v[32:33]
	v_add_f64_e64 v[38:39], v[34:35], -v[38:39]
	s_delay_alu instid0(VALU_DEP_1) | instskip(SKIP_1) | instid1(VALU_DEP_1)
	v_add_f64_e64 v[32:33], v[32:33], -v[38:39]
	v_add_f64_e32 v[38:39], v[40:41], v[34:35]
	v_add_f64_e64 v[42:43], v[38:39], -v[40:41]
	s_delay_alu instid0(VALU_DEP_1) | instskip(SKIP_1) | instid1(VALU_DEP_2)
	v_add_f64_e64 v[44:45], v[38:39], -v[42:43]
	v_add_f64_e64 v[34:35], v[34:35], -v[42:43]
	;; [unrolled: 1-line block ×3, first 2 shown]
	s_delay_alu instid0(VALU_DEP_1) | instskip(SKIP_1) | instid1(VALU_DEP_1)
	v_add_f64_e32 v[34:35], v[34:35], v[40:41]
	v_add_f64_e32 v[40:41], v[36:37], v[32:33]
	v_add_f64_e64 v[42:43], v[40:41], -v[36:37]
	s_delay_alu instid0(VALU_DEP_3) | instskip(NEXT) | instid1(VALU_DEP_2)
	v_add_f64_e32 v[34:35], v[40:41], v[34:35]
	v_add_f64_e64 v[44:45], v[40:41], -v[42:43]
	v_add_f64_e64 v[32:33], v[32:33], -v[42:43]
	s_delay_alu instid0(VALU_DEP_2) | instskip(NEXT) | instid1(VALU_DEP_1)
	v_add_f64_e64 v[36:37], v[36:37], -v[44:45]
	v_add_f64_e32 v[32:33], v[32:33], v[36:37]
	v_add_f64_e32 v[36:37], v[38:39], v[34:35]
	s_delay_alu instid0(VALU_DEP_1) | instskip(NEXT) | instid1(VALU_DEP_1)
	v_add_f64_e64 v[38:39], v[36:37], -v[38:39]
	v_add_f64_e64 v[34:35], v[34:35], -v[38:39]
	s_delay_alu instid0(VALU_DEP_1) | instskip(SKIP_1) | instid1(VALU_DEP_2)
	v_add_f64_e32 v[32:33], v[32:33], v[34:35]
	v_mul_f64_e32 v[34:35], s[56:57], v[12:13]
	v_add_f64_e32 v[32:33], v[36:37], v[32:33]
	s_delay_alu instid0(VALU_DEP_2) | instskip(SKIP_1) | instid1(VALU_DEP_2)
	v_rndne_f64_e32 v[34:35], v[34:35]
	s_wait_alu 0xfffd
	v_cndmask_b32_e32 v33, 0x7ff00000, v33, vcc_lo
	s_delay_alu instid0(VALU_DEP_2) | instskip(NEXT) | instid1(VALU_DEP_4)
	v_fma_f64 v[36:37], v[34:35], s[54:55], v[12:13]
	v_cndmask_b32_e32 v32, 0, v32, vcc_lo
	v_cmp_nlt_f64_e32 vcc_lo, 0x40900000, v[12:13]
	s_delay_alu instid0(VALU_DEP_3) | instskip(SKIP_1) | instid1(VALU_DEP_2)
	v_fma_f64 v[36:37], v[34:35], s[58:59], v[36:37]
	v_cvt_i32_f64_e32 v34, v[34:35]
	v_fma_f64 v[38:39], v[36:37], s[4:5], s[2:3]
	s_delay_alu instid0(VALU_DEP_1) | instskip(NEXT) | instid1(VALU_DEP_1)
	v_fma_f64 v[38:39], v[36:37], v[38:39], s[6:7]
	v_fma_f64 v[38:39], v[36:37], v[38:39], s[14:15]
	s_delay_alu instid0(VALU_DEP_1) | instskip(NEXT) | instid1(VALU_DEP_1)
	v_fma_f64 v[38:39], v[36:37], v[38:39], s[16:17]
	;; [unrolled: 3-line block ×4, first 2 shown]
	v_fma_f64 v[38:39], v[36:37], v[38:39], s[26:27]
	s_delay_alu instid0(VALU_DEP_1) | instskip(NEXT) | instid1(VALU_DEP_1)
	v_fma_f64 v[38:39], v[36:37], v[38:39], 1.0
	v_fma_f64 v[36:37], v[36:37], v[38:39], 1.0
	s_delay_alu instid0(VALU_DEP_1) | instskip(SKIP_1) | instid1(VALU_DEP_1)
	v_ldexp_f64 v[34:35], v[36:37], v34
	s_wait_alu 0xfffe
	v_mul_f64_e32 v[34:35], s[0:1], v[34:35]
	v_cmp_ngt_f64_e64 s0, 0xc090cc00, v[12:13]
	s_wait_alu 0xfffd
	s_delay_alu instid0(VALU_DEP_2) | instskip(SKIP_3) | instid1(VALU_DEP_2)
	v_cndmask_b32_e32 v35, 0x7ff00000, v35, vcc_lo
	s_and_b32 vcc_lo, s0, vcc_lo
	s_wait_alu 0xfffe
	v_cndmask_b32_e32 v12, 0, v34, vcc_lo
	v_cndmask_b32_e64 v13, 0, v35, s0
	v_mul_f64_e32 v[34:35], s[78:79], v[0:1]
	s_mov_b32 s0, 0x72b020c5
	s_mov_b32 s1, 0x3fd59168
	;; [unrolled: 1-line block ×3, first 2 shown]
	s_delay_alu instid0(VALU_DEP_1) | instskip(SKIP_1) | instid1(VALU_DEP_2)
	v_mul_f64_e32 v[36:37], s[56:57], v[34:35]
	v_cmp_nlt_f64_e32 vcc_lo, 0x40900000, v[34:35]
	v_rndne_f64_e32 v[36:37], v[36:37]
	s_delay_alu instid0(VALU_DEP_1) | instskip(NEXT) | instid1(VALU_DEP_1)
	v_fma_f64 v[38:39], v[36:37], s[54:55], v[34:35]
	v_fma_f64 v[38:39], v[36:37], s[58:59], v[38:39]
	v_cvt_i32_f64_e32 v36, v[36:37]
	s_delay_alu instid0(VALU_DEP_2) | instskip(NEXT) | instid1(VALU_DEP_1)
	v_fma_f64 v[40:41], v[38:39], s[4:5], s[2:3]
	v_fma_f64 v[40:41], v[38:39], v[40:41], s[6:7]
	s_delay_alu instid0(VALU_DEP_1) | instskip(NEXT) | instid1(VALU_DEP_1)
	v_fma_f64 v[40:41], v[38:39], v[40:41], s[14:15]
	v_fma_f64 v[40:41], v[38:39], v[40:41], s[16:17]
	s_delay_alu instid0(VALU_DEP_1) | instskip(NEXT) | instid1(VALU_DEP_1)
	;; [unrolled: 3-line block ×4, first 2 shown]
	v_fma_f64 v[40:41], v[38:39], v[40:41], s[26:27]
	v_fma_f64 v[40:41], v[38:39], v[40:41], 1.0
	s_delay_alu instid0(VALU_DEP_1) | instskip(NEXT) | instid1(VALU_DEP_1)
	v_fma_f64 v[38:39], v[38:39], v[40:41], 1.0
	v_ldexp_f64 v[36:37], v[38:39], v36
	s_wait_alu 0xfffe
	s_delay_alu instid0(VALU_DEP_1) | instskip(SKIP_2) | instid1(VALU_DEP_2)
	v_mul_f64_e32 v[36:37], s[0:1], v[36:37]
	v_cmp_ngt_f64_e64 s0, 0xc090cc00, v[34:35]
	s_wait_alu 0xfffd
	v_cndmask_b32_e32 v37, 0x7ff00000, v37, vcc_lo
	s_and_b32 vcc_lo, s0, vcc_lo
	s_wait_alu 0xfffe
	v_cndmask_b32_e32 v34, 0, v36, vcc_lo
	s_delay_alu instid0(VALU_DEP_2) | instskip(NEXT) | instid1(VALU_DEP_1)
	v_cndmask_b32_e64 v35, 0, v37, s0
	v_add_f64_e32 v[34:35], v[12:13], v[34:35]
	v_div_scale_f64 v[12:13], null, v[0:1], v[0:1], 1.0
	s_delay_alu instid0(VALU_DEP_1) | instskip(NEXT) | instid1(TRANS32_DEP_1)
	v_rcp_f64_e32 v[36:37], v[12:13]
	v_fma_f64 v[38:39], -v[12:13], v[36:37], 1.0
	s_delay_alu instid0(VALU_DEP_1) | instskip(NEXT) | instid1(VALU_DEP_1)
	v_fma_f64 v[36:37], v[36:37], v[38:39], v[36:37]
	v_fma_f64 v[38:39], -v[12:13], v[36:37], 1.0
	s_delay_alu instid0(VALU_DEP_1) | instskip(SKIP_1) | instid1(VALU_DEP_1)
	v_fma_f64 v[36:37], v[36:37], v[38:39], v[36:37]
	v_div_scale_f64 v[38:39], vcc_lo, 1.0, v[0:1], 1.0
	v_mul_f64_e32 v[40:41], v[38:39], v[36:37]
	s_delay_alu instid0(VALU_DEP_1) | instskip(SKIP_1) | instid1(VALU_DEP_1)
	v_fma_f64 v[12:13], -v[12:13], v[40:41], v[38:39]
	s_wait_alu 0xfffd
	v_div_fmas_f64 v[12:13], v[12:13], v[36:37], v[40:41]
	s_delay_alu instid0(VALU_DEP_1) | instskip(NEXT) | instid1(VALU_DEP_1)
	v_div_fixup_f64 v[12:13], v[12:13], v[0:1], 1.0
	v_mul_f64_e32 v[36:37], 0xc0b02300, v[12:13]
	s_delay_alu instid0(VALU_DEP_1) | instskip(SKIP_2) | instid1(VALU_DEP_3)
	v_mul_f64_e32 v[38:39], s[56:57], v[36:37]
	v_cmp_nlt_f64_e32 vcc_lo, 0x40900000, v[36:37]
	v_cmp_ngt_f64_e64 s0, 0xc090cc00, v[36:37]
	v_rndne_f64_e32 v[38:39], v[38:39]
	s_delay_alu instid0(VALU_DEP_1) | instskip(NEXT) | instid1(VALU_DEP_1)
	v_fma_f64 v[40:41], v[38:39], s[54:55], v[36:37]
	v_fma_f64 v[40:41], v[38:39], s[58:59], v[40:41]
	v_cvt_i32_f64_e32 v38, v[38:39]
	s_delay_alu instid0(VALU_DEP_2) | instskip(NEXT) | instid1(VALU_DEP_1)
	v_fma_f64 v[42:43], v[40:41], s[4:5], s[2:3]
	v_fma_f64 v[42:43], v[40:41], v[42:43], s[6:7]
	s_delay_alu instid0(VALU_DEP_1) | instskip(NEXT) | instid1(VALU_DEP_1)
	v_fma_f64 v[42:43], v[40:41], v[42:43], s[14:15]
	v_fma_f64 v[42:43], v[40:41], v[42:43], s[16:17]
	s_delay_alu instid0(VALU_DEP_1) | instskip(NEXT) | instid1(VALU_DEP_1)
	;; [unrolled: 3-line block ×4, first 2 shown]
	v_fma_f64 v[42:43], v[40:41], v[42:43], s[26:27]
	v_fma_f64 v[42:43], v[40:41], v[42:43], 1.0
	s_delay_alu instid0(VALU_DEP_1) | instskip(NEXT) | instid1(VALU_DEP_1)
	v_fma_f64 v[40:41], v[40:41], v[42:43], 1.0
	v_ldexp_f64 v[38:39], v[40:41], v38
	s_wait_alu 0xfffd
	s_delay_alu instid0(VALU_DEP_1) | instskip(SKIP_2) | instid1(VALU_DEP_2)
	v_cndmask_b32_e32 v39, 0x7ff00000, v39, vcc_lo
	s_and_b32 vcc_lo, s0, vcc_lo
	s_wait_alu 0xfffe
	v_cndmask_b32_e32 v36, 0, v38, vcc_lo
	s_delay_alu instid0(VALU_DEP_2) | instskip(NEXT) | instid1(VALU_DEP_1)
	v_cndmask_b32_e64 v37, 0, v39, s0
	v_add_f64_e32 v[34:35], v[36:37], v[34:35]
	s_delay_alu instid0(VALU_DEP_1) | instskip(NEXT) | instid1(VALU_DEP_1)
	v_max_num_f64_e32 v[34:35], 0x38100000, v[34:35]
	v_frexp_mant_f64_e32 v[36:37], v[34:35]
	v_frexp_exp_i32_f64_e32 v38, v[34:35]
	s_delay_alu instid0(VALU_DEP_2) | instskip(SKIP_2) | instid1(VALU_DEP_3)
	v_cmp_gt_f64_e32 vcc_lo, s[52:53], v[36:37]
	s_wait_alu 0xfffd
	v_cndmask_b32_e64 v39, 0, 1, vcc_lo
	v_subrev_co_ci_u32_e64 v50, null, 0, v38, vcc_lo
	v_cmp_neq_f64_e32 vcc_lo, 0x7ff00000, v[34:35]
	s_delay_alu instid0(VALU_DEP_3) | instskip(NEXT) | instid1(VALU_DEP_1)
	v_ldexp_f64 v[36:37], v[36:37], v39
	v_add_f64_e32 v[40:41], 1.0, v[36:37]
	v_add_f64_e32 v[38:39], -1.0, v[36:37]
	s_delay_alu instid0(VALU_DEP_2) | instskip(NEXT) | instid1(VALU_DEP_1)
	v_add_f64_e32 v[42:43], -1.0, v[40:41]
	v_add_f64_e64 v[36:37], v[36:37], -v[42:43]
	v_rcp_f64_e32 v[42:43], v[40:41]
	s_delay_alu instid0(TRANS32_DEP_1) | instskip(NEXT) | instid1(VALU_DEP_1)
	v_fma_f64 v[44:45], -v[40:41], v[42:43], 1.0
	v_fma_f64 v[42:43], v[44:45], v[42:43], v[42:43]
	s_delay_alu instid0(VALU_DEP_1) | instskip(NEXT) | instid1(VALU_DEP_1)
	v_fma_f64 v[44:45], -v[40:41], v[42:43], 1.0
	v_fma_f64 v[42:43], v[44:45], v[42:43], v[42:43]
	s_delay_alu instid0(VALU_DEP_1) | instskip(NEXT) | instid1(VALU_DEP_1)
	v_mul_f64_e32 v[44:45], v[38:39], v[42:43]
	v_mul_f64_e32 v[46:47], v[40:41], v[44:45]
	s_delay_alu instid0(VALU_DEP_1) | instskip(NEXT) | instid1(VALU_DEP_1)
	v_fma_f64 v[40:41], v[44:45], v[40:41], -v[46:47]
	v_fma_f64 v[36:37], v[44:45], v[36:37], v[40:41]
	s_delay_alu instid0(VALU_DEP_1) | instskip(NEXT) | instid1(VALU_DEP_1)
	v_add_f64_e32 v[40:41], v[46:47], v[36:37]
	v_add_f64_e64 v[48:49], v[38:39], -v[40:41]
	v_add_f64_e64 v[46:47], v[40:41], -v[46:47]
	s_delay_alu instid0(VALU_DEP_2) | instskip(NEXT) | instid1(VALU_DEP_2)
	v_add_f64_e64 v[38:39], v[38:39], -v[48:49]
	v_add_f64_e64 v[36:37], v[46:47], -v[36:37]
	s_delay_alu instid0(VALU_DEP_2) | instskip(NEXT) | instid1(VALU_DEP_1)
	v_add_f64_e64 v[38:39], v[38:39], -v[40:41]
	v_add_f64_e32 v[36:37], v[36:37], v[38:39]
	s_delay_alu instid0(VALU_DEP_1) | instskip(NEXT) | instid1(VALU_DEP_1)
	v_add_f64_e32 v[36:37], v[48:49], v[36:37]
	v_mul_f64_e32 v[36:37], v[42:43], v[36:37]
	s_delay_alu instid0(VALU_DEP_1) | instskip(NEXT) | instid1(VALU_DEP_1)
	v_add_f64_e32 v[38:39], v[44:45], v[36:37]
	v_add_f64_e64 v[40:41], v[38:39], -v[44:45]
	v_ldexp_f64 v[44:45], v[38:39], 1
	s_delay_alu instid0(VALU_DEP_2) | instskip(SKIP_1) | instid1(VALU_DEP_2)
	v_add_f64_e64 v[36:37], v[36:37], -v[40:41]
	v_mul_f64_e32 v[40:41], v[38:39], v[38:39]
	v_ldexp_f64 v[36:37], v[36:37], 1
	s_delay_alu instid0(VALU_DEP_2) | instskip(SKIP_1) | instid1(VALU_DEP_2)
	v_fma_f64 v[42:43], v[40:41], s[40:41], s[38:39]
	v_mul_f64_e32 v[38:39], v[38:39], v[40:41]
	v_fma_f64 v[42:43], v[40:41], v[42:43], s[42:43]
	s_delay_alu instid0(VALU_DEP_1) | instskip(NEXT) | instid1(VALU_DEP_1)
	v_fma_f64 v[42:43], v[40:41], v[42:43], s[44:45]
	v_fma_f64 v[42:43], v[40:41], v[42:43], s[46:47]
	s_delay_alu instid0(VALU_DEP_1) | instskip(NEXT) | instid1(VALU_DEP_1)
	v_fma_f64 v[42:43], v[40:41], v[42:43], s[48:49]
	v_fma_f64 v[42:43], v[40:41], v[42:43], s[50:51]
	s_delay_alu instid0(VALU_DEP_1) | instskip(NEXT) | instid1(VALU_DEP_1)
	v_mul_f64_e32 v[38:39], v[38:39], v[42:43]
	v_add_f64_e32 v[40:41], v[44:45], v[38:39]
	s_delay_alu instid0(VALU_DEP_1) | instskip(NEXT) | instid1(VALU_DEP_1)
	v_add_f64_e64 v[42:43], v[40:41], -v[44:45]
	v_add_f64_e64 v[38:39], v[38:39], -v[42:43]
	s_delay_alu instid0(VALU_DEP_1) | instskip(NEXT) | instid1(VALU_DEP_1)
	v_add_f64_e32 v[36:37], v[36:37], v[38:39]
	v_add_f64_e32 v[38:39], v[40:41], v[36:37]
	s_delay_alu instid0(VALU_DEP_1) | instskip(NEXT) | instid1(VALU_DEP_1)
	v_add_f64_e64 v[40:41], v[38:39], -v[40:41]
	v_add_f64_e64 v[36:37], v[36:37], -v[40:41]
	v_cvt_f64_i32_e32 v[40:41], v50
	s_delay_alu instid0(VALU_DEP_1) | instskip(NEXT) | instid1(VALU_DEP_1)
	v_mul_f64_e32 v[42:43], s[34:35], v[40:41]
	v_fma_f64 v[44:45], v[40:41], s[34:35], -v[42:43]
	s_delay_alu instid0(VALU_DEP_1) | instskip(NEXT) | instid1(VALU_DEP_1)
	v_fma_f64 v[40:41], v[40:41], s[36:37], v[44:45]
	v_add_f64_e32 v[44:45], v[42:43], v[40:41]
	s_delay_alu instid0(VALU_DEP_1) | instskip(NEXT) | instid1(VALU_DEP_1)
	v_add_f64_e64 v[42:43], v[44:45], -v[42:43]
	v_add_f64_e64 v[40:41], v[40:41], -v[42:43]
	v_mul_f64_e32 v[42:43], s[28:29], v[38:39]
	s_delay_alu instid0(VALU_DEP_1) | instskip(NEXT) | instid1(VALU_DEP_1)
	v_fma_f64 v[46:47], v[38:39], s[28:29], -v[42:43]
	v_fma_f64 v[36:37], v[36:37], s[28:29], v[46:47]
	s_delay_alu instid0(VALU_DEP_1) | instskip(NEXT) | instid1(VALU_DEP_1)
	v_fma_f64 v[36:37], v[38:39], s[30:31], v[36:37]
	v_add_f64_e32 v[38:39], v[42:43], v[36:37]
	s_delay_alu instid0(VALU_DEP_1) | instskip(NEXT) | instid1(VALU_DEP_1)
	v_add_f64_e64 v[42:43], v[38:39], -v[42:43]
	v_add_f64_e64 v[36:37], v[36:37], -v[42:43]
	v_add_f64_e32 v[42:43], v[44:45], v[38:39]
	s_delay_alu instid0(VALU_DEP_1) | instskip(NEXT) | instid1(VALU_DEP_1)
	v_add_f64_e64 v[46:47], v[42:43], -v[44:45]
	v_add_f64_e64 v[48:49], v[42:43], -v[46:47]
	;; [unrolled: 1-line block ×3, first 2 shown]
	s_delay_alu instid0(VALU_DEP_2) | instskip(NEXT) | instid1(VALU_DEP_1)
	v_add_f64_e64 v[44:45], v[44:45], -v[48:49]
	v_add_f64_e32 v[38:39], v[38:39], v[44:45]
	v_add_f64_e32 v[44:45], v[40:41], v[36:37]
	s_delay_alu instid0(VALU_DEP_1) | instskip(NEXT) | instid1(VALU_DEP_3)
	v_add_f64_e64 v[46:47], v[44:45], -v[40:41]
	v_add_f64_e32 v[38:39], v[44:45], v[38:39]
	s_delay_alu instid0(VALU_DEP_2) | instskip(SKIP_1) | instid1(VALU_DEP_2)
	v_add_f64_e64 v[48:49], v[44:45], -v[46:47]
	v_add_f64_e64 v[36:37], v[36:37], -v[46:47]
	;; [unrolled: 1-line block ×3, first 2 shown]
	s_delay_alu instid0(VALU_DEP_1) | instskip(SKIP_1) | instid1(VALU_DEP_1)
	v_add_f64_e32 v[36:37], v[36:37], v[40:41]
	v_add_f64_e32 v[40:41], v[42:43], v[38:39]
	v_add_f64_e64 v[42:43], v[40:41], -v[42:43]
	s_delay_alu instid0(VALU_DEP_1) | instskip(NEXT) | instid1(VALU_DEP_1)
	v_add_f64_e64 v[38:39], v[38:39], -v[42:43]
	v_add_f64_e32 v[36:37], v[36:37], v[38:39]
	s_delay_alu instid0(VALU_DEP_1) | instskip(SKIP_1) | instid1(VALU_DEP_1)
	v_add_f64_e32 v[36:37], v[40:41], v[36:37]
	s_wait_alu 0xfffd
	v_cndmask_b32_e32 v35, 0x7ff00000, v37, vcc_lo
	s_delay_alu instid0(VALU_DEP_2) | instskip(NEXT) | instid1(VALU_DEP_1)
	v_cndmask_b32_e32 v34, 0, v36, vcc_lo
	v_fma_f64 v[38:39], v[34:35], s[72:73], s[70:71]
	v_fma_f64 v[36:37], v[34:35], s[62:63], 0x3fe80000
	s_delay_alu instid0(VALU_DEP_2) | instskip(NEXT) | instid1(VALU_DEP_1)
	v_add_f64_e64 v[32:33], v[32:33], -v[38:39]
	v_fma_f64 v[36:37], v[32:33], s[76:77], v[36:37]
	s_delay_alu instid0(VALU_DEP_1) | instskip(NEXT) | instid1(VALU_DEP_1)
	v_div_scale_f64 v[38:39], null, v[36:37], v[36:37], 1.0
	v_rcp_f64_e32 v[40:41], v[38:39]
	s_delay_alu instid0(TRANS32_DEP_1) | instskip(NEXT) | instid1(VALU_DEP_1)
	v_fma_f64 v[42:43], -v[38:39], v[40:41], 1.0
	v_fma_f64 v[40:41], v[40:41], v[42:43], v[40:41]
	s_delay_alu instid0(VALU_DEP_1) | instskip(NEXT) | instid1(VALU_DEP_1)
	v_fma_f64 v[42:43], -v[38:39], v[40:41], 1.0
	v_fma_f64 v[40:41], v[40:41], v[42:43], v[40:41]
	v_div_scale_f64 v[42:43], vcc_lo, 1.0, v[36:37], 1.0
	s_delay_alu instid0(VALU_DEP_1) | instskip(NEXT) | instid1(VALU_DEP_1)
	v_mul_f64_e32 v[44:45], v[42:43], v[40:41]
	v_fma_f64 v[38:39], -v[38:39], v[44:45], v[42:43]
	s_wait_alu 0xfffd
	s_delay_alu instid0(VALU_DEP_1) | instskip(NEXT) | instid1(VALU_DEP_1)
	v_div_fmas_f64 v[38:39], v[38:39], v[40:41], v[44:45]
	v_div_fixup_f64 v[36:37], v[38:39], v[36:37], 1.0
	s_delay_alu instid0(VALU_DEP_1) | instskip(NEXT) | instid1(VALU_DEP_1)
	v_mul_f64_e32 v[32:33], v[32:33], v[36:37]
	v_fma_f64 v[32:33], v[32:33], v[32:33], 1.0
	s_delay_alu instid0(VALU_DEP_1) | instskip(NEXT) | instid1(VALU_DEP_1)
	v_div_scale_f64 v[36:37], null, v[32:33], v[32:33], 1.0
	v_rcp_f64_e32 v[38:39], v[36:37]
	s_delay_alu instid0(TRANS32_DEP_1) | instskip(NEXT) | instid1(VALU_DEP_1)
	v_fma_f64 v[40:41], -v[36:37], v[38:39], 1.0
	v_fma_f64 v[38:39], v[38:39], v[40:41], v[38:39]
	s_delay_alu instid0(VALU_DEP_1) | instskip(NEXT) | instid1(VALU_DEP_1)
	v_fma_f64 v[40:41], -v[36:37], v[38:39], 1.0
	v_fma_f64 v[38:39], v[38:39], v[40:41], v[38:39]
	v_div_scale_f64 v[40:41], vcc_lo, 1.0, v[32:33], 1.0
	s_delay_alu instid0(VALU_DEP_1) | instskip(NEXT) | instid1(VALU_DEP_1)
	v_mul_f64_e32 v[42:43], v[40:41], v[38:39]
	v_fma_f64 v[36:37], -v[36:37], v[42:43], v[40:41]
	s_wait_alu 0xfffd
	s_delay_alu instid0(VALU_DEP_1) | instskip(NEXT) | instid1(VALU_DEP_1)
	v_div_fmas_f64 v[36:37], v[36:37], v[38:39], v[42:43]
	v_div_fixup_f64 v[32:33], v[36:37], v[32:33], 1.0
	s_delay_alu instid0(VALU_DEP_1) | instskip(NEXT) | instid1(VALU_DEP_1)
	v_mul_f64_e32 v[32:33], v[34:35], v[32:33]
	v_mul_f64_e32 v[34:35], s[60:61], v[32:33]
	v_cmp_nlt_f64_e32 vcc_lo, 0x40900000, v[32:33]
	v_cmp_ngt_f64_e64 s0, 0xc090cc00, v[32:33]
	s_delay_alu instid0(VALU_DEP_3) | instskip(NEXT) | instid1(VALU_DEP_1)
	v_rndne_f64_e32 v[34:35], v[34:35]
	v_fma_f64 v[36:37], v[34:35], s[66:67], v[32:33]
	s_delay_alu instid0(VALU_DEP_1) | instskip(SKIP_1) | instid1(VALU_DEP_2)
	v_fma_f64 v[36:37], v[34:35], s[64:65], v[36:37]
	v_cvt_i32_f64_e32 v34, v[34:35]
	v_mul_f64_e32 v[38:39], s[68:69], v[36:37]
	s_delay_alu instid0(VALU_DEP_1) | instskip(NEXT) | instid1(VALU_DEP_1)
	v_fma_f64 v[36:37], v[36:37], s[74:75], v[38:39]
	v_fma_f64 v[38:39], v[36:37], s[4:5], s[2:3]
	s_delay_alu instid0(VALU_DEP_1) | instskip(NEXT) | instid1(VALU_DEP_1)
	v_fma_f64 v[38:39], v[36:37], v[38:39], s[6:7]
	v_fma_f64 v[38:39], v[36:37], v[38:39], s[14:15]
	;; [unrolled: 3-line block ×5, first 2 shown]
	s_delay_alu instid0(VALU_DEP_1) | instskip(NEXT) | instid1(VALU_DEP_1)
	v_fma_f64 v[38:39], v[36:37], v[38:39], 1.0
	v_fma_f64 v[36:37], v[36:37], v[38:39], 1.0
	s_delay_alu instid0(VALU_DEP_1) | instskip(SKIP_1) | instid1(VALU_DEP_1)
	v_ldexp_f64 v[34:35], v[36:37], v34
	s_wait_alu 0xfffd
	v_cndmask_b32_e32 v35, 0x7ff00000, v35, vcc_lo
	s_and_b32 vcc_lo, s0, vcc_lo
	s_wait_alu 0xfffe
	s_delay_alu instid0(VALU_DEP_2)
	v_cndmask_b32_e32 v32, 0, v34, vcc_lo
	v_add_co_u32 v24, vcc_lo, s10, v24
	v_cndmask_b32_e64 v33, 0, v35, s0
	s_wait_alu 0xfffd
	v_add_co_ci_u32_e64 v25, null, s11, v25, vcc_lo
	v_add_co_u32 v22, vcc_lo, s12, v22
	s_delay_alu instid0(VALU_DEP_3)
	v_mul_f64_e32 v[30:31], v[30:31], v[32:33]
	s_wait_alu 0xfffd
	v_add_co_ci_u32_e64 v23, null, s13, v23, vcc_lo
	s_mov_b32 s0, 0xd9232955
	s_mov_b32 s1, 0xbf73bd60
	v_mul_f64_e32 v[28:29], v[28:29], v[30:31]
	global_store_b64 v[26:27], v[28:29], off
	global_load_b64 v[26:27], v[24:25], off
	s_wait_loadcnt 0x0
	v_mul_f64_e32 v[26:27], v[26:27], v[30:31]
	global_load_b64 v[29:30], v[22:23], off
	v_mad_co_u64_u32 v[22:23], null, s33, 6, v[2:3]
	v_mov_b32_e32 v23, v3
	global_store_b64 v[24:25], v[26:27], off
	v_lshlrev_b64_e32 v[23:24], 3, v[22:23]
	s_delay_alu instid0(VALU_DEP_1) | instskip(SKIP_1) | instid1(VALU_DEP_2)
	v_add_co_u32 v25, vcc_lo, s8, v23
	s_wait_alu 0xfffd
	v_add_co_ci_u32_e64 v26, null, s9, v24, vcc_lo
	global_load_b64 v[27:28], v[25:26], off
	s_wait_loadcnt 0x0
	v_div_scale_f64 v[31:32], null, v[27:28], v[27:28], 1.0
	s_delay_alu instid0(VALU_DEP_1) | instskip(NEXT) | instid1(TRANS32_DEP_1)
	v_rcp_f64_e32 v[33:34], v[31:32]
	v_fma_f64 v[35:36], -v[31:32], v[33:34], 1.0
	s_delay_alu instid0(VALU_DEP_1) | instskip(NEXT) | instid1(VALU_DEP_1)
	v_fma_f64 v[33:34], v[33:34], v[35:36], v[33:34]
	v_fma_f64 v[35:36], -v[31:32], v[33:34], 1.0
	s_delay_alu instid0(VALU_DEP_1) | instskip(SKIP_1) | instid1(VALU_DEP_1)
	v_fma_f64 v[33:34], v[33:34], v[35:36], v[33:34]
	v_div_scale_f64 v[35:36], vcc_lo, 1.0, v[27:28], 1.0
	v_mul_f64_e32 v[37:38], v[35:36], v[33:34]
	s_delay_alu instid0(VALU_DEP_1) | instskip(SKIP_1) | instid1(VALU_DEP_1)
	v_fma_f64 v[31:32], -v[31:32], v[37:38], v[35:36]
	s_wait_alu 0xfffd
	v_div_fmas_f64 v[31:32], v[31:32], v[33:34], v[37:38]
	s_delay_alu instid0(VALU_DEP_1) | instskip(NEXT) | instid1(VALU_DEP_1)
	v_div_fixup_f64 v[31:32], v[31:32], v[27:28], 1.0
	v_mul_f64_e32 v[31:32], v[10:11], v[31:32]
	s_delay_alu instid0(VALU_DEP_1) | instskip(SKIP_1) | instid1(VALU_DEP_1)
	v_mul_f64_e32 v[33:34], v[29:30], v[31:32]
	v_fma_f64 v[29:30], v[29:30], v[31:32], 1.0
	v_div_scale_f64 v[31:32], null, v[29:30], v[29:30], 1.0
	s_delay_alu instid0(VALU_DEP_1) | instskip(NEXT) | instid1(TRANS32_DEP_1)
	v_rcp_f64_e32 v[35:36], v[31:32]
	v_fma_f64 v[37:38], -v[31:32], v[35:36], 1.0
	s_delay_alu instid0(VALU_DEP_1) | instskip(NEXT) | instid1(VALU_DEP_1)
	v_fma_f64 v[35:36], v[35:36], v[37:38], v[35:36]
	v_fma_f64 v[37:38], -v[31:32], v[35:36], 1.0
	s_delay_alu instid0(VALU_DEP_1) | instskip(SKIP_1) | instid1(VALU_DEP_1)
	v_fma_f64 v[35:36], v[35:36], v[37:38], v[35:36]
	v_div_scale_f64 v[37:38], vcc_lo, 1.0, v[29:30], 1.0
	v_mul_f64_e32 v[39:40], v[37:38], v[35:36]
	s_delay_alu instid0(VALU_DEP_1) | instskip(SKIP_1) | instid1(VALU_DEP_1)
	v_fma_f64 v[31:32], -v[31:32], v[39:40], v[37:38]
	s_wait_alu 0xfffd
	v_div_fmas_f64 v[31:32], v[31:32], v[35:36], v[39:40]
	s_delay_alu instid0(VALU_DEP_1) | instskip(SKIP_1) | instid1(VALU_DEP_2)
	v_div_fixup_f64 v[29:30], v[31:32], v[29:30], 1.0
	v_max_num_f64_e32 v[31:32], 0x38100000, v[33:34]
	v_mul_f64_e32 v[29:30], v[33:34], v[29:30]
	s_delay_alu instid0(VALU_DEP_2) | instskip(SKIP_1) | instid1(VALU_DEP_2)
	v_frexp_mant_f64_e32 v[33:34], v[31:32]
	v_frexp_exp_i32_f64_e32 v2, v[31:32]
	v_cmp_gt_f64_e32 vcc_lo, s[52:53], v[33:34]
	s_wait_alu 0xfffd
	v_cndmask_b32_e64 v35, 0, 1, vcc_lo
	s_delay_alu instid0(VALU_DEP_3) | instskip(SKIP_1) | instid1(VALU_DEP_3)
	v_subrev_co_ci_u32_e64 v2, null, 0, v2, vcc_lo
	v_cmp_neq_f64_e32 vcc_lo, 0x7ff00000, v[31:32]
	v_ldexp_f64 v[33:34], v[33:34], v35
	s_delay_alu instid0(VALU_DEP_1) | instskip(SKIP_1) | instid1(VALU_DEP_2)
	v_add_f64_e32 v[37:38], 1.0, v[33:34]
	v_add_f64_e32 v[35:36], -1.0, v[33:34]
	v_add_f64_e32 v[39:40], -1.0, v[37:38]
	s_delay_alu instid0(VALU_DEP_1) | instskip(SKIP_1) | instid1(TRANS32_DEP_1)
	v_add_f64_e64 v[33:34], v[33:34], -v[39:40]
	v_rcp_f64_e32 v[39:40], v[37:38]
	v_fma_f64 v[41:42], -v[37:38], v[39:40], 1.0
	s_delay_alu instid0(VALU_DEP_1) | instskip(NEXT) | instid1(VALU_DEP_1)
	v_fma_f64 v[39:40], v[41:42], v[39:40], v[39:40]
	v_fma_f64 v[41:42], -v[37:38], v[39:40], 1.0
	s_delay_alu instid0(VALU_DEP_1) | instskip(NEXT) | instid1(VALU_DEP_1)
	v_fma_f64 v[39:40], v[41:42], v[39:40], v[39:40]
	v_mul_f64_e32 v[41:42], v[35:36], v[39:40]
	s_delay_alu instid0(VALU_DEP_1) | instskip(NEXT) | instid1(VALU_DEP_1)
	v_mul_f64_e32 v[43:44], v[37:38], v[41:42]
	v_fma_f64 v[37:38], v[41:42], v[37:38], -v[43:44]
	s_delay_alu instid0(VALU_DEP_1) | instskip(NEXT) | instid1(VALU_DEP_1)
	v_fma_f64 v[33:34], v[41:42], v[33:34], v[37:38]
	v_add_f64_e32 v[37:38], v[43:44], v[33:34]
	s_delay_alu instid0(VALU_DEP_1) | instskip(SKIP_1) | instid1(VALU_DEP_2)
	v_add_f64_e64 v[45:46], v[35:36], -v[37:38]
	v_add_f64_e64 v[43:44], v[37:38], -v[43:44]
	;; [unrolled: 1-line block ×3, first 2 shown]
	s_delay_alu instid0(VALU_DEP_2) | instskip(NEXT) | instid1(VALU_DEP_2)
	v_add_f64_e64 v[33:34], v[43:44], -v[33:34]
	v_add_f64_e64 v[35:36], v[35:36], -v[37:38]
	s_delay_alu instid0(VALU_DEP_1) | instskip(NEXT) | instid1(VALU_DEP_1)
	v_add_f64_e32 v[33:34], v[33:34], v[35:36]
	v_add_f64_e32 v[33:34], v[45:46], v[33:34]
	s_delay_alu instid0(VALU_DEP_1) | instskip(NEXT) | instid1(VALU_DEP_1)
	v_mul_f64_e32 v[33:34], v[39:40], v[33:34]
	v_add_f64_e32 v[35:36], v[41:42], v[33:34]
	s_delay_alu instid0(VALU_DEP_1) | instskip(SKIP_1) | instid1(VALU_DEP_2)
	v_add_f64_e64 v[37:38], v[35:36], -v[41:42]
	v_ldexp_f64 v[41:42], v[35:36], 1
	v_add_f64_e64 v[33:34], v[33:34], -v[37:38]
	v_mul_f64_e32 v[37:38], v[35:36], v[35:36]
	s_delay_alu instid0(VALU_DEP_2) | instskip(NEXT) | instid1(VALU_DEP_2)
	v_ldexp_f64 v[33:34], v[33:34], 1
	v_fma_f64 v[39:40], v[37:38], s[40:41], s[38:39]
	v_mul_f64_e32 v[35:36], v[35:36], v[37:38]
	s_delay_alu instid0(VALU_DEP_2) | instskip(NEXT) | instid1(VALU_DEP_1)
	v_fma_f64 v[39:40], v[37:38], v[39:40], s[42:43]
	v_fma_f64 v[39:40], v[37:38], v[39:40], s[44:45]
	s_delay_alu instid0(VALU_DEP_1) | instskip(NEXT) | instid1(VALU_DEP_1)
	v_fma_f64 v[39:40], v[37:38], v[39:40], s[46:47]
	v_fma_f64 v[39:40], v[37:38], v[39:40], s[48:49]
	s_delay_alu instid0(VALU_DEP_1) | instskip(NEXT) | instid1(VALU_DEP_1)
	v_fma_f64 v[39:40], v[37:38], v[39:40], s[50:51]
	v_mul_f64_e32 v[35:36], v[35:36], v[39:40]
	s_delay_alu instid0(VALU_DEP_1) | instskip(NEXT) | instid1(VALU_DEP_1)
	v_add_f64_e32 v[37:38], v[41:42], v[35:36]
	v_add_f64_e64 v[39:40], v[37:38], -v[41:42]
	s_delay_alu instid0(VALU_DEP_1) | instskip(NEXT) | instid1(VALU_DEP_1)
	v_add_f64_e64 v[35:36], v[35:36], -v[39:40]
	v_add_f64_e32 v[33:34], v[33:34], v[35:36]
	s_delay_alu instid0(VALU_DEP_1) | instskip(NEXT) | instid1(VALU_DEP_1)
	v_add_f64_e32 v[35:36], v[37:38], v[33:34]
	v_add_f64_e64 v[37:38], v[35:36], -v[37:38]
	s_delay_alu instid0(VALU_DEP_1) | instskip(SKIP_1) | instid1(VALU_DEP_1)
	v_add_f64_e64 v[33:34], v[33:34], -v[37:38]
	v_cvt_f64_i32_e32 v[37:38], v2
	v_mul_f64_e32 v[39:40], s[34:35], v[37:38]
	s_delay_alu instid0(VALU_DEP_1) | instskip(NEXT) | instid1(VALU_DEP_1)
	v_fma_f64 v[41:42], v[37:38], s[34:35], -v[39:40]
	v_fma_f64 v[37:38], v[37:38], s[36:37], v[41:42]
	s_delay_alu instid0(VALU_DEP_1) | instskip(NEXT) | instid1(VALU_DEP_1)
	v_add_f64_e32 v[41:42], v[39:40], v[37:38]
	v_add_f64_e64 v[39:40], v[41:42], -v[39:40]
	s_delay_alu instid0(VALU_DEP_1) | instskip(SKIP_1) | instid1(VALU_DEP_1)
	v_add_f64_e64 v[37:38], v[37:38], -v[39:40]
	v_mul_f64_e32 v[39:40], s[28:29], v[35:36]
	v_fma_f64 v[43:44], v[35:36], s[28:29], -v[39:40]
	s_delay_alu instid0(VALU_DEP_1) | instskip(NEXT) | instid1(VALU_DEP_1)
	v_fma_f64 v[33:34], v[33:34], s[28:29], v[43:44]
	v_fma_f64 v[33:34], v[35:36], s[30:31], v[33:34]
	s_delay_alu instid0(VALU_DEP_1) | instskip(NEXT) | instid1(VALU_DEP_1)
	v_add_f64_e32 v[35:36], v[39:40], v[33:34]
	v_add_f64_e64 v[39:40], v[35:36], -v[39:40]
	s_delay_alu instid0(VALU_DEP_1) | instskip(SKIP_1) | instid1(VALU_DEP_1)
	v_add_f64_e64 v[33:34], v[33:34], -v[39:40]
	v_add_f64_e32 v[39:40], v[41:42], v[35:36]
	v_add_f64_e64 v[43:44], v[39:40], -v[41:42]
	s_delay_alu instid0(VALU_DEP_1) | instskip(SKIP_1) | instid1(VALU_DEP_2)
	v_add_f64_e64 v[45:46], v[39:40], -v[43:44]
	v_add_f64_e64 v[35:36], v[35:36], -v[43:44]
	;; [unrolled: 1-line block ×3, first 2 shown]
	s_delay_alu instid0(VALU_DEP_1) | instskip(SKIP_1) | instid1(VALU_DEP_1)
	v_add_f64_e32 v[35:36], v[35:36], v[41:42]
	v_add_f64_e32 v[41:42], v[37:38], v[33:34]
	v_add_f64_e64 v[43:44], v[41:42], -v[37:38]
	s_delay_alu instid0(VALU_DEP_3) | instskip(NEXT) | instid1(VALU_DEP_2)
	v_add_f64_e32 v[35:36], v[41:42], v[35:36]
	v_add_f64_e64 v[45:46], v[41:42], -v[43:44]
	v_add_f64_e64 v[33:34], v[33:34], -v[43:44]
	s_delay_alu instid0(VALU_DEP_2) | instskip(NEXT) | instid1(VALU_DEP_1)
	v_add_f64_e64 v[37:38], v[37:38], -v[45:46]
	v_add_f64_e32 v[33:34], v[33:34], v[37:38]
	v_add_f64_e32 v[37:38], v[39:40], v[35:36]
	s_delay_alu instid0(VALU_DEP_1) | instskip(NEXT) | instid1(VALU_DEP_1)
	v_add_f64_e64 v[39:40], v[37:38], -v[39:40]
	v_add_f64_e64 v[35:36], v[35:36], -v[39:40]
	s_delay_alu instid0(VALU_DEP_1) | instskip(NEXT) | instid1(VALU_DEP_1)
	v_add_f64_e32 v[33:34], v[33:34], v[35:36]
	v_add_f64_e32 v[33:34], v[37:38], v[33:34]
	s_wait_alu 0xfffd
	s_delay_alu instid0(VALU_DEP_1) | instskip(NEXT) | instid1(VALU_DEP_2)
	v_cndmask_b32_e32 v32, 0x7ff00000, v34, vcc_lo
	v_cndmask_b32_e32 v31, 0, v33, vcc_lo
	s_wait_alu 0xfffe
	v_mul_f64_e32 v[33:34], s[0:1], v[0:1]
	s_mov_b32 s0, 0x8b439581
	s_mov_b32 s1, 0x3fcbe76c
	s_delay_alu instid0(VALU_DEP_1) | instskip(SKIP_1) | instid1(VALU_DEP_2)
	v_mul_f64_e32 v[35:36], s[56:57], v[33:34]
	v_cmp_nlt_f64_e32 vcc_lo, 0x40900000, v[33:34]
	v_rndne_f64_e32 v[35:36], v[35:36]
	s_delay_alu instid0(VALU_DEP_1) | instskip(SKIP_1) | instid1(VALU_DEP_2)
	v_fma_f64 v[37:38], v[35:36], s[54:55], v[33:34]
	v_cvt_i32_f64_e32 v2, v[35:36]
	v_fma_f64 v[37:38], v[35:36], s[58:59], v[37:38]
	s_delay_alu instid0(VALU_DEP_1) | instskip(NEXT) | instid1(VALU_DEP_1)
	v_fma_f64 v[39:40], v[37:38], s[4:5], s[2:3]
	v_fma_f64 v[39:40], v[37:38], v[39:40], s[6:7]
	s_delay_alu instid0(VALU_DEP_1) | instskip(NEXT) | instid1(VALU_DEP_1)
	v_fma_f64 v[39:40], v[37:38], v[39:40], s[14:15]
	;; [unrolled: 3-line block ×5, first 2 shown]
	v_fma_f64 v[39:40], v[37:38], v[39:40], 1.0
	s_delay_alu instid0(VALU_DEP_1) | instskip(NEXT) | instid1(VALU_DEP_1)
	v_fma_f64 v[37:38], v[37:38], v[39:40], 1.0
	v_ldexp_f64 v[35:36], v[37:38], v2
	s_wait_alu 0xfffe
	s_delay_alu instid0(VALU_DEP_1) | instskip(SKIP_2) | instid1(VALU_DEP_2)
	v_mul_f64_e32 v[35:36], s[0:1], v[35:36]
	v_cmp_ngt_f64_e64 s0, 0xc090cc00, v[33:34]
	s_wait_alu 0xfffd
	v_cndmask_b32_e32 v2, 0x7ff00000, v36, vcc_lo
	s_and_b32 vcc_lo, s0, vcc_lo
	s_wait_alu 0xfffe
	v_cndmask_b32_e32 v33, 0, v35, vcc_lo
	s_delay_alu instid0(VALU_DEP_2)
	v_cndmask_b32_e64 v34, 0, v2, s0
	s_mov_b32 s0, 0x60b57f60
	s_mov_b32 s1, 0xbf389c1e
	s_wait_alu 0xfffe
	v_mul_f64_e32 v[35:36], s[0:1], v[0:1]
	s_mov_b32 s0, 0xdd2f1aa0
	s_mov_b32 s1, 0x3fe90624
	s_delay_alu instid0(VALU_DEP_1) | instskip(SKIP_1) | instid1(VALU_DEP_2)
	v_mul_f64_e32 v[37:38], s[56:57], v[35:36]
	v_cmp_nlt_f64_e32 vcc_lo, 0x40900000, v[35:36]
	v_rndne_f64_e32 v[37:38], v[37:38]
	s_delay_alu instid0(VALU_DEP_1) | instskip(SKIP_1) | instid1(VALU_DEP_2)
	v_fma_f64 v[39:40], v[37:38], s[54:55], v[35:36]
	v_cvt_i32_f64_e32 v2, v[37:38]
	v_fma_f64 v[39:40], v[37:38], s[58:59], v[39:40]
	s_delay_alu instid0(VALU_DEP_1) | instskip(NEXT) | instid1(VALU_DEP_1)
	v_fma_f64 v[41:42], v[39:40], s[4:5], s[2:3]
	v_fma_f64 v[41:42], v[39:40], v[41:42], s[6:7]
	s_delay_alu instid0(VALU_DEP_1) | instskip(NEXT) | instid1(VALU_DEP_1)
	v_fma_f64 v[41:42], v[39:40], v[41:42], s[14:15]
	;; [unrolled: 3-line block ×5, first 2 shown]
	v_fma_f64 v[41:42], v[39:40], v[41:42], 1.0
	s_delay_alu instid0(VALU_DEP_1) | instskip(NEXT) | instid1(VALU_DEP_1)
	v_fma_f64 v[39:40], v[39:40], v[41:42], 1.0
	v_ldexp_f64 v[37:38], v[39:40], v2
	s_wait_alu 0xfffe
	s_delay_alu instid0(VALU_DEP_1) | instskip(SKIP_2) | instid1(VALU_DEP_2)
	v_mul_f64_e32 v[37:38], s[0:1], v[37:38]
	v_cmp_ngt_f64_e64 s0, 0xc090cc00, v[35:36]
	s_wait_alu 0xfffd
	v_cndmask_b32_e32 v2, 0x7ff00000, v38, vcc_lo
	s_and_b32 vcc_lo, s0, vcc_lo
	s_wait_alu 0xfffe
	v_cndmask_b32_e32 v35, 0, v37, vcc_lo
	s_delay_alu instid0(VALU_DEP_2) | instskip(NEXT) | instid1(VALU_DEP_1)
	v_cndmask_b32_e64 v36, 0, v2, s0
	v_add_f64_e32 v[33:34], v[33:34], v[35:36]
	v_mul_f64_e32 v[35:36], 0xc0b7cf00, v[12:13]
	s_delay_alu instid0(VALU_DEP_1) | instskip(SKIP_2) | instid1(VALU_DEP_3)
	v_mul_f64_e32 v[37:38], s[56:57], v[35:36]
	v_cmp_nlt_f64_e32 vcc_lo, 0x40900000, v[35:36]
	v_cmp_ngt_f64_e64 s0, 0xc090cc00, v[35:36]
	v_rndne_f64_e32 v[37:38], v[37:38]
	s_delay_alu instid0(VALU_DEP_1) | instskip(SKIP_1) | instid1(VALU_DEP_2)
	v_fma_f64 v[39:40], v[37:38], s[54:55], v[35:36]
	v_cvt_i32_f64_e32 v2, v[37:38]
	v_fma_f64 v[39:40], v[37:38], s[58:59], v[39:40]
	s_delay_alu instid0(VALU_DEP_1) | instskip(NEXT) | instid1(VALU_DEP_1)
	v_fma_f64 v[41:42], v[39:40], s[4:5], s[2:3]
	v_fma_f64 v[41:42], v[39:40], v[41:42], s[6:7]
	s_delay_alu instid0(VALU_DEP_1) | instskip(NEXT) | instid1(VALU_DEP_1)
	v_fma_f64 v[41:42], v[39:40], v[41:42], s[14:15]
	;; [unrolled: 3-line block ×5, first 2 shown]
	v_fma_f64 v[41:42], v[39:40], v[41:42], 1.0
	s_delay_alu instid0(VALU_DEP_1) | instskip(NEXT) | instid1(VALU_DEP_1)
	v_fma_f64 v[39:40], v[39:40], v[41:42], 1.0
	v_ldexp_f64 v[37:38], v[39:40], v2
	s_wait_alu 0xfffd
	s_delay_alu instid0(VALU_DEP_1) | instskip(SKIP_2) | instid1(VALU_DEP_2)
	v_cndmask_b32_e32 v2, 0x7ff00000, v38, vcc_lo
	s_and_b32 vcc_lo, s0, vcc_lo
	s_wait_alu 0xfffe
	v_cndmask_b32_e32 v35, 0, v37, vcc_lo
	s_delay_alu instid0(VALU_DEP_2) | instskip(NEXT) | instid1(VALU_DEP_1)
	v_cndmask_b32_e64 v36, 0, v2, s0
	v_add_f64_e32 v[33:34], v[35:36], v[33:34]
	s_delay_alu instid0(VALU_DEP_1) | instskip(NEXT) | instid1(VALU_DEP_1)
	v_max_num_f64_e32 v[33:34], 0x38100000, v[33:34]
	v_frexp_mant_f64_e32 v[35:36], v[33:34]
	v_frexp_exp_i32_f64_e32 v2, v[33:34]
	s_delay_alu instid0(VALU_DEP_2) | instskip(SKIP_2) | instid1(VALU_DEP_3)
	v_cmp_gt_f64_e32 vcc_lo, s[52:53], v[35:36]
	s_wait_alu 0xfffd
	v_cndmask_b32_e64 v37, 0, 1, vcc_lo
	v_subrev_co_ci_u32_e64 v2, null, 0, v2, vcc_lo
	v_cmp_neq_f64_e32 vcc_lo, 0x7ff00000, v[33:34]
	s_delay_alu instid0(VALU_DEP_3) | instskip(NEXT) | instid1(VALU_DEP_1)
	v_ldexp_f64 v[35:36], v[35:36], v37
	v_add_f64_e32 v[39:40], 1.0, v[35:36]
	v_add_f64_e32 v[37:38], -1.0, v[35:36]
	s_delay_alu instid0(VALU_DEP_2) | instskip(NEXT) | instid1(VALU_DEP_1)
	v_add_f64_e32 v[41:42], -1.0, v[39:40]
	v_add_f64_e64 v[35:36], v[35:36], -v[41:42]
	v_rcp_f64_e32 v[41:42], v[39:40]
	s_delay_alu instid0(TRANS32_DEP_1) | instskip(NEXT) | instid1(VALU_DEP_1)
	v_fma_f64 v[43:44], -v[39:40], v[41:42], 1.0
	v_fma_f64 v[41:42], v[43:44], v[41:42], v[41:42]
	s_delay_alu instid0(VALU_DEP_1) | instskip(NEXT) | instid1(VALU_DEP_1)
	v_fma_f64 v[43:44], -v[39:40], v[41:42], 1.0
	v_fma_f64 v[41:42], v[43:44], v[41:42], v[41:42]
	s_delay_alu instid0(VALU_DEP_1) | instskip(NEXT) | instid1(VALU_DEP_1)
	v_mul_f64_e32 v[43:44], v[37:38], v[41:42]
	v_mul_f64_e32 v[45:46], v[39:40], v[43:44]
	s_delay_alu instid0(VALU_DEP_1) | instskip(NEXT) | instid1(VALU_DEP_1)
	v_fma_f64 v[39:40], v[43:44], v[39:40], -v[45:46]
	v_fma_f64 v[35:36], v[43:44], v[35:36], v[39:40]
	s_delay_alu instid0(VALU_DEP_1) | instskip(NEXT) | instid1(VALU_DEP_1)
	v_add_f64_e32 v[39:40], v[45:46], v[35:36]
	v_add_f64_e64 v[47:48], v[37:38], -v[39:40]
	v_add_f64_e64 v[45:46], v[39:40], -v[45:46]
	s_delay_alu instid0(VALU_DEP_2) | instskip(NEXT) | instid1(VALU_DEP_2)
	v_add_f64_e64 v[37:38], v[37:38], -v[47:48]
	v_add_f64_e64 v[35:36], v[45:46], -v[35:36]
	s_delay_alu instid0(VALU_DEP_2) | instskip(NEXT) | instid1(VALU_DEP_1)
	v_add_f64_e64 v[37:38], v[37:38], -v[39:40]
	v_add_f64_e32 v[35:36], v[35:36], v[37:38]
	s_delay_alu instid0(VALU_DEP_1) | instskip(NEXT) | instid1(VALU_DEP_1)
	v_add_f64_e32 v[35:36], v[47:48], v[35:36]
	v_mul_f64_e32 v[35:36], v[41:42], v[35:36]
	s_delay_alu instid0(VALU_DEP_1) | instskip(NEXT) | instid1(VALU_DEP_1)
	v_add_f64_e32 v[37:38], v[43:44], v[35:36]
	v_add_f64_e64 v[39:40], v[37:38], -v[43:44]
	v_ldexp_f64 v[43:44], v[37:38], 1
	s_delay_alu instid0(VALU_DEP_2) | instskip(SKIP_1) | instid1(VALU_DEP_2)
	v_add_f64_e64 v[35:36], v[35:36], -v[39:40]
	v_mul_f64_e32 v[39:40], v[37:38], v[37:38]
	v_ldexp_f64 v[35:36], v[35:36], 1
	s_delay_alu instid0(VALU_DEP_2) | instskip(SKIP_1) | instid1(VALU_DEP_2)
	v_fma_f64 v[41:42], v[39:40], s[40:41], s[38:39]
	v_mul_f64_e32 v[37:38], v[37:38], v[39:40]
	v_fma_f64 v[41:42], v[39:40], v[41:42], s[42:43]
	s_delay_alu instid0(VALU_DEP_1) | instskip(NEXT) | instid1(VALU_DEP_1)
	v_fma_f64 v[41:42], v[39:40], v[41:42], s[44:45]
	v_fma_f64 v[41:42], v[39:40], v[41:42], s[46:47]
	s_delay_alu instid0(VALU_DEP_1) | instskip(NEXT) | instid1(VALU_DEP_1)
	v_fma_f64 v[41:42], v[39:40], v[41:42], s[48:49]
	v_fma_f64 v[41:42], v[39:40], v[41:42], s[50:51]
	s_delay_alu instid0(VALU_DEP_1) | instskip(NEXT) | instid1(VALU_DEP_1)
	v_mul_f64_e32 v[37:38], v[37:38], v[41:42]
	v_add_f64_e32 v[39:40], v[43:44], v[37:38]
	s_delay_alu instid0(VALU_DEP_1) | instskip(NEXT) | instid1(VALU_DEP_1)
	v_add_f64_e64 v[41:42], v[39:40], -v[43:44]
	v_add_f64_e64 v[37:38], v[37:38], -v[41:42]
	s_delay_alu instid0(VALU_DEP_1) | instskip(NEXT) | instid1(VALU_DEP_1)
	v_add_f64_e32 v[35:36], v[35:36], v[37:38]
	v_add_f64_e32 v[37:38], v[39:40], v[35:36]
	s_delay_alu instid0(VALU_DEP_1) | instskip(NEXT) | instid1(VALU_DEP_1)
	v_add_f64_e64 v[39:40], v[37:38], -v[39:40]
	v_add_f64_e64 v[35:36], v[35:36], -v[39:40]
	v_cvt_f64_i32_e32 v[39:40], v2
	s_delay_alu instid0(VALU_DEP_1) | instskip(NEXT) | instid1(VALU_DEP_1)
	v_mul_f64_e32 v[41:42], s[34:35], v[39:40]
	v_fma_f64 v[43:44], v[39:40], s[34:35], -v[41:42]
	s_delay_alu instid0(VALU_DEP_1) | instskip(NEXT) | instid1(VALU_DEP_1)
	v_fma_f64 v[39:40], v[39:40], s[36:37], v[43:44]
	v_add_f64_e32 v[43:44], v[41:42], v[39:40]
	s_delay_alu instid0(VALU_DEP_1) | instskip(NEXT) | instid1(VALU_DEP_1)
	v_add_f64_e64 v[41:42], v[43:44], -v[41:42]
	v_add_f64_e64 v[39:40], v[39:40], -v[41:42]
	v_mul_f64_e32 v[41:42], s[28:29], v[37:38]
	s_delay_alu instid0(VALU_DEP_1) | instskip(NEXT) | instid1(VALU_DEP_1)
	v_fma_f64 v[45:46], v[37:38], s[28:29], -v[41:42]
	v_fma_f64 v[35:36], v[35:36], s[28:29], v[45:46]
	s_delay_alu instid0(VALU_DEP_1) | instskip(NEXT) | instid1(VALU_DEP_1)
	v_fma_f64 v[35:36], v[37:38], s[30:31], v[35:36]
	v_add_f64_e32 v[37:38], v[41:42], v[35:36]
	s_delay_alu instid0(VALU_DEP_1) | instskip(NEXT) | instid1(VALU_DEP_1)
	v_add_f64_e64 v[41:42], v[37:38], -v[41:42]
	v_add_f64_e64 v[35:36], v[35:36], -v[41:42]
	v_add_f64_e32 v[41:42], v[43:44], v[37:38]
	s_delay_alu instid0(VALU_DEP_1) | instskip(NEXT) | instid1(VALU_DEP_1)
	v_add_f64_e64 v[45:46], v[41:42], -v[43:44]
	v_add_f64_e64 v[47:48], v[41:42], -v[45:46]
	;; [unrolled: 1-line block ×3, first 2 shown]
	s_delay_alu instid0(VALU_DEP_2) | instskip(NEXT) | instid1(VALU_DEP_1)
	v_add_f64_e64 v[43:44], v[43:44], -v[47:48]
	v_add_f64_e32 v[37:38], v[37:38], v[43:44]
	v_add_f64_e32 v[43:44], v[39:40], v[35:36]
	s_delay_alu instid0(VALU_DEP_1) | instskip(NEXT) | instid1(VALU_DEP_3)
	v_add_f64_e64 v[45:46], v[43:44], -v[39:40]
	v_add_f64_e32 v[37:38], v[43:44], v[37:38]
	s_delay_alu instid0(VALU_DEP_2) | instskip(SKIP_1) | instid1(VALU_DEP_2)
	v_add_f64_e64 v[47:48], v[43:44], -v[45:46]
	v_add_f64_e64 v[35:36], v[35:36], -v[45:46]
	;; [unrolled: 1-line block ×3, first 2 shown]
	s_delay_alu instid0(VALU_DEP_1) | instskip(SKIP_1) | instid1(VALU_DEP_1)
	v_add_f64_e32 v[35:36], v[35:36], v[39:40]
	v_add_f64_e32 v[39:40], v[41:42], v[37:38]
	v_add_f64_e64 v[41:42], v[39:40], -v[41:42]
	s_delay_alu instid0(VALU_DEP_1) | instskip(NEXT) | instid1(VALU_DEP_1)
	v_add_f64_e64 v[37:38], v[37:38], -v[41:42]
	v_add_f64_e32 v[35:36], v[35:36], v[37:38]
	s_delay_alu instid0(VALU_DEP_1) | instskip(SKIP_1) | instid1(VALU_DEP_1)
	v_add_f64_e32 v[35:36], v[39:40], v[35:36]
	s_wait_alu 0xfffd
	v_cndmask_b32_e32 v34, 0x7ff00000, v36, vcc_lo
	s_delay_alu instid0(VALU_DEP_2) | instskip(NEXT) | instid1(VALU_DEP_1)
	v_cndmask_b32_e32 v33, 0, v35, vcc_lo
	v_fma_f64 v[37:38], v[33:34], s[72:73], s[70:71]
	v_fma_f64 v[35:36], v[33:34], s[62:63], 0x3fe80000
	s_delay_alu instid0(VALU_DEP_2) | instskip(NEXT) | instid1(VALU_DEP_1)
	v_add_f64_e64 v[31:32], v[31:32], -v[37:38]
	v_fma_f64 v[35:36], v[31:32], s[76:77], v[35:36]
	s_delay_alu instid0(VALU_DEP_1) | instskip(NEXT) | instid1(VALU_DEP_1)
	v_div_scale_f64 v[37:38], null, v[35:36], v[35:36], 1.0
	v_rcp_f64_e32 v[39:40], v[37:38]
	s_delay_alu instid0(TRANS32_DEP_1) | instskip(NEXT) | instid1(VALU_DEP_1)
	v_fma_f64 v[41:42], -v[37:38], v[39:40], 1.0
	v_fma_f64 v[39:40], v[39:40], v[41:42], v[39:40]
	s_delay_alu instid0(VALU_DEP_1) | instskip(NEXT) | instid1(VALU_DEP_1)
	v_fma_f64 v[41:42], -v[37:38], v[39:40], 1.0
	v_fma_f64 v[39:40], v[39:40], v[41:42], v[39:40]
	v_div_scale_f64 v[41:42], vcc_lo, 1.0, v[35:36], 1.0
	s_delay_alu instid0(VALU_DEP_1) | instskip(NEXT) | instid1(VALU_DEP_1)
	v_mul_f64_e32 v[43:44], v[41:42], v[39:40]
	v_fma_f64 v[37:38], -v[37:38], v[43:44], v[41:42]
	s_wait_alu 0xfffd
	s_delay_alu instid0(VALU_DEP_1) | instskip(NEXT) | instid1(VALU_DEP_1)
	v_div_fmas_f64 v[37:38], v[37:38], v[39:40], v[43:44]
	v_div_fixup_f64 v[35:36], v[37:38], v[35:36], 1.0
	s_delay_alu instid0(VALU_DEP_1) | instskip(NEXT) | instid1(VALU_DEP_1)
	v_mul_f64_e32 v[31:32], v[31:32], v[35:36]
	v_fma_f64 v[31:32], v[31:32], v[31:32], 1.0
	s_delay_alu instid0(VALU_DEP_1) | instskip(NEXT) | instid1(VALU_DEP_1)
	v_div_scale_f64 v[35:36], null, v[31:32], v[31:32], 1.0
	v_rcp_f64_e32 v[37:38], v[35:36]
	s_delay_alu instid0(TRANS32_DEP_1) | instskip(NEXT) | instid1(VALU_DEP_1)
	v_fma_f64 v[39:40], -v[35:36], v[37:38], 1.0
	v_fma_f64 v[37:38], v[37:38], v[39:40], v[37:38]
	s_delay_alu instid0(VALU_DEP_1) | instskip(NEXT) | instid1(VALU_DEP_1)
	v_fma_f64 v[39:40], -v[35:36], v[37:38], 1.0
	v_fma_f64 v[37:38], v[37:38], v[39:40], v[37:38]
	v_div_scale_f64 v[39:40], vcc_lo, 1.0, v[31:32], 1.0
	s_delay_alu instid0(VALU_DEP_1) | instskip(NEXT) | instid1(VALU_DEP_1)
	v_mul_f64_e32 v[41:42], v[39:40], v[37:38]
	v_fma_f64 v[35:36], -v[35:36], v[41:42], v[39:40]
	s_wait_alu 0xfffd
	s_delay_alu instid0(VALU_DEP_1) | instskip(NEXT) | instid1(VALU_DEP_1)
	v_div_fmas_f64 v[35:36], v[35:36], v[37:38], v[41:42]
	v_div_fixup_f64 v[31:32], v[35:36], v[31:32], 1.0
	s_delay_alu instid0(VALU_DEP_1) | instskip(NEXT) | instid1(VALU_DEP_1)
	v_mul_f64_e32 v[31:32], v[33:34], v[31:32]
	v_mul_f64_e32 v[33:34], s[60:61], v[31:32]
	v_cmp_nlt_f64_e32 vcc_lo, 0x40900000, v[31:32]
	v_cmp_ngt_f64_e64 s0, 0xc090cc00, v[31:32]
	s_delay_alu instid0(VALU_DEP_3) | instskip(NEXT) | instid1(VALU_DEP_1)
	v_rndne_f64_e32 v[33:34], v[33:34]
	v_fma_f64 v[35:36], v[33:34], s[66:67], v[31:32]
	v_cvt_i32_f64_e32 v2, v[33:34]
	s_delay_alu instid0(VALU_DEP_2) | instskip(NEXT) | instid1(VALU_DEP_1)
	v_fma_f64 v[35:36], v[33:34], s[64:65], v[35:36]
	v_mul_f64_e32 v[37:38], s[68:69], v[35:36]
	s_delay_alu instid0(VALU_DEP_1) | instskip(NEXT) | instid1(VALU_DEP_1)
	v_fma_f64 v[35:36], v[35:36], s[74:75], v[37:38]
	v_fma_f64 v[37:38], v[35:36], s[4:5], s[2:3]
	s_delay_alu instid0(VALU_DEP_1) | instskip(NEXT) | instid1(VALU_DEP_1)
	v_fma_f64 v[37:38], v[35:36], v[37:38], s[6:7]
	v_fma_f64 v[37:38], v[35:36], v[37:38], s[14:15]
	;; [unrolled: 3-line block ×5, first 2 shown]
	s_delay_alu instid0(VALU_DEP_1) | instskip(NEXT) | instid1(VALU_DEP_1)
	v_fma_f64 v[37:38], v[35:36], v[37:38], 1.0
	v_fma_f64 v[35:36], v[35:36], v[37:38], 1.0
	s_delay_alu instid0(VALU_DEP_1) | instskip(SKIP_1) | instid1(VALU_DEP_1)
	v_ldexp_f64 v[33:34], v[35:36], v2
	s_wait_alu 0xfffd
	v_cndmask_b32_e32 v2, 0x7ff00000, v34, vcc_lo
	s_and_b32 vcc_lo, s0, vcc_lo
	s_wait_alu 0xfffe
	s_delay_alu instid0(VALU_DEP_2)
	v_cndmask_b32_e32 v31, 0, v33, vcc_lo
	v_add_co_u32 v23, vcc_lo, s10, v23
	v_cndmask_b32_e64 v32, 0, v2, s0
	s_wait_alu 0xfffd
	v_add_co_ci_u32_e64 v24, null, s11, v24, vcc_lo
	v_add_co_u32 v20, vcc_lo, s12, v20
	s_delay_alu instid0(VALU_DEP_3)
	v_mul_f64_e32 v[29:30], v[29:30], v[31:32]
	s_wait_alu 0xfffd
	v_add_co_ci_u32_e64 v21, null, s13, v21, vcc_lo
	s_mov_b32 s0, 0x79fc1abc
	s_mov_b32 s1, 0xbf48715a
	v_mul_f64_e32 v[27:28], v[27:28], v[29:30]
	global_store_b64 v[25:26], v[27:28], off
	global_load_b64 v[25:26], v[23:24], off
	global_load_b64 v[27:28], v[20:21], off
	v_mad_co_u64_u32 v[20:21], null, s33, 13, v[22:23]
	v_mov_b32_e32 v21, v3
	s_delay_alu instid0(VALU_DEP_1)
	v_lshlrev_b64_e32 v[21:22], 3, v[20:21]
	s_wait_loadcnt 0x1
	v_mul_f64_e32 v[25:26], v[25:26], v[29:30]
	global_store_b64 v[23:24], v[25:26], off
	v_add_co_u32 v23, vcc_lo, s8, v21
	s_wait_alu 0xfffd
	v_add_co_ci_u32_e64 v24, null, s9, v22, vcc_lo
	global_load_b64 v[25:26], v[23:24], off
	s_wait_loadcnt 0x0
	v_div_scale_f64 v[29:30], null, v[25:26], v[25:26], 1.0
	s_delay_alu instid0(VALU_DEP_1) | instskip(NEXT) | instid1(TRANS32_DEP_1)
	v_rcp_f64_e32 v[31:32], v[29:30]
	v_fma_f64 v[33:34], -v[29:30], v[31:32], 1.0
	s_delay_alu instid0(VALU_DEP_1) | instskip(NEXT) | instid1(VALU_DEP_1)
	v_fma_f64 v[31:32], v[31:32], v[33:34], v[31:32]
	v_fma_f64 v[33:34], -v[29:30], v[31:32], 1.0
	s_delay_alu instid0(VALU_DEP_1) | instskip(SKIP_1) | instid1(VALU_DEP_1)
	v_fma_f64 v[31:32], v[31:32], v[33:34], v[31:32]
	v_div_scale_f64 v[33:34], vcc_lo, 1.0, v[25:26], 1.0
	v_mul_f64_e32 v[35:36], v[33:34], v[31:32]
	s_delay_alu instid0(VALU_DEP_1) | instskip(SKIP_1) | instid1(VALU_DEP_1)
	v_fma_f64 v[29:30], -v[29:30], v[35:36], v[33:34]
	s_wait_alu 0xfffd
	v_div_fmas_f64 v[29:30], v[29:30], v[31:32], v[35:36]
	s_delay_alu instid0(VALU_DEP_1) | instskip(NEXT) | instid1(VALU_DEP_1)
	v_div_fixup_f64 v[29:30], v[29:30], v[25:26], 1.0
	v_mul_f64_e32 v[29:30], v[10:11], v[29:30]
	s_delay_alu instid0(VALU_DEP_1) | instskip(SKIP_1) | instid1(VALU_DEP_1)
	v_mul_f64_e32 v[31:32], v[27:28], v[29:30]
	v_fma_f64 v[27:28], v[27:28], v[29:30], 1.0
	v_div_scale_f64 v[29:30], null, v[27:28], v[27:28], 1.0
	s_delay_alu instid0(VALU_DEP_1) | instskip(NEXT) | instid1(TRANS32_DEP_1)
	v_rcp_f64_e32 v[33:34], v[29:30]
	v_fma_f64 v[35:36], -v[29:30], v[33:34], 1.0
	s_delay_alu instid0(VALU_DEP_1) | instskip(NEXT) | instid1(VALU_DEP_1)
	v_fma_f64 v[33:34], v[33:34], v[35:36], v[33:34]
	v_fma_f64 v[35:36], -v[29:30], v[33:34], 1.0
	s_delay_alu instid0(VALU_DEP_1) | instskip(SKIP_1) | instid1(VALU_DEP_1)
	v_fma_f64 v[33:34], v[33:34], v[35:36], v[33:34]
	v_div_scale_f64 v[35:36], vcc_lo, 1.0, v[27:28], 1.0
	v_mul_f64_e32 v[37:38], v[35:36], v[33:34]
	s_delay_alu instid0(VALU_DEP_1) | instskip(SKIP_1) | instid1(VALU_DEP_1)
	v_fma_f64 v[29:30], -v[29:30], v[37:38], v[35:36]
	s_wait_alu 0xfffd
	v_div_fmas_f64 v[29:30], v[29:30], v[33:34], v[37:38]
	s_delay_alu instid0(VALU_DEP_1) | instskip(SKIP_1) | instid1(VALU_DEP_2)
	v_div_fixup_f64 v[27:28], v[29:30], v[27:28], 1.0
	v_max_num_f64_e32 v[29:30], 0x38100000, v[31:32]
	v_mul_f64_e32 v[27:28], v[31:32], v[27:28]
	s_delay_alu instid0(VALU_DEP_2) | instskip(SKIP_1) | instid1(VALU_DEP_2)
	v_frexp_mant_f64_e32 v[31:32], v[29:30]
	v_frexp_exp_i32_f64_e32 v2, v[29:30]
	v_cmp_gt_f64_e32 vcc_lo, s[52:53], v[31:32]
	s_wait_alu 0xfffd
	v_cndmask_b32_e64 v33, 0, 1, vcc_lo
	s_delay_alu instid0(VALU_DEP_3) | instskip(SKIP_1) | instid1(VALU_DEP_3)
	v_subrev_co_ci_u32_e64 v2, null, 0, v2, vcc_lo
	v_cmp_neq_f64_e32 vcc_lo, 0x7ff00000, v[29:30]
	v_ldexp_f64 v[31:32], v[31:32], v33
	s_delay_alu instid0(VALU_DEP_1) | instskip(SKIP_1) | instid1(VALU_DEP_2)
	v_add_f64_e32 v[35:36], 1.0, v[31:32]
	v_add_f64_e32 v[33:34], -1.0, v[31:32]
	v_add_f64_e32 v[37:38], -1.0, v[35:36]
	s_delay_alu instid0(VALU_DEP_1) | instskip(SKIP_1) | instid1(TRANS32_DEP_1)
	v_add_f64_e64 v[31:32], v[31:32], -v[37:38]
	v_rcp_f64_e32 v[37:38], v[35:36]
	v_fma_f64 v[39:40], -v[35:36], v[37:38], 1.0
	s_delay_alu instid0(VALU_DEP_1) | instskip(NEXT) | instid1(VALU_DEP_1)
	v_fma_f64 v[37:38], v[39:40], v[37:38], v[37:38]
	v_fma_f64 v[39:40], -v[35:36], v[37:38], 1.0
	s_delay_alu instid0(VALU_DEP_1) | instskip(NEXT) | instid1(VALU_DEP_1)
	v_fma_f64 v[37:38], v[39:40], v[37:38], v[37:38]
	v_mul_f64_e32 v[39:40], v[33:34], v[37:38]
	s_delay_alu instid0(VALU_DEP_1) | instskip(NEXT) | instid1(VALU_DEP_1)
	v_mul_f64_e32 v[41:42], v[35:36], v[39:40]
	v_fma_f64 v[35:36], v[39:40], v[35:36], -v[41:42]
	s_delay_alu instid0(VALU_DEP_1) | instskip(NEXT) | instid1(VALU_DEP_1)
	v_fma_f64 v[31:32], v[39:40], v[31:32], v[35:36]
	v_add_f64_e32 v[35:36], v[41:42], v[31:32]
	s_delay_alu instid0(VALU_DEP_1) | instskip(SKIP_1) | instid1(VALU_DEP_2)
	v_add_f64_e64 v[43:44], v[33:34], -v[35:36]
	v_add_f64_e64 v[41:42], v[35:36], -v[41:42]
	;; [unrolled: 1-line block ×3, first 2 shown]
	s_delay_alu instid0(VALU_DEP_2) | instskip(NEXT) | instid1(VALU_DEP_2)
	v_add_f64_e64 v[31:32], v[41:42], -v[31:32]
	v_add_f64_e64 v[33:34], v[33:34], -v[35:36]
	s_delay_alu instid0(VALU_DEP_1) | instskip(NEXT) | instid1(VALU_DEP_1)
	v_add_f64_e32 v[31:32], v[31:32], v[33:34]
	v_add_f64_e32 v[31:32], v[43:44], v[31:32]
	s_delay_alu instid0(VALU_DEP_1) | instskip(NEXT) | instid1(VALU_DEP_1)
	v_mul_f64_e32 v[31:32], v[37:38], v[31:32]
	v_add_f64_e32 v[33:34], v[39:40], v[31:32]
	s_delay_alu instid0(VALU_DEP_1) | instskip(SKIP_1) | instid1(VALU_DEP_2)
	v_add_f64_e64 v[35:36], v[33:34], -v[39:40]
	v_ldexp_f64 v[39:40], v[33:34], 1
	v_add_f64_e64 v[31:32], v[31:32], -v[35:36]
	v_mul_f64_e32 v[35:36], v[33:34], v[33:34]
	s_delay_alu instid0(VALU_DEP_2) | instskip(NEXT) | instid1(VALU_DEP_2)
	v_ldexp_f64 v[31:32], v[31:32], 1
	v_fma_f64 v[37:38], v[35:36], s[40:41], s[38:39]
	v_mul_f64_e32 v[33:34], v[33:34], v[35:36]
	s_delay_alu instid0(VALU_DEP_2) | instskip(NEXT) | instid1(VALU_DEP_1)
	v_fma_f64 v[37:38], v[35:36], v[37:38], s[42:43]
	v_fma_f64 v[37:38], v[35:36], v[37:38], s[44:45]
	s_delay_alu instid0(VALU_DEP_1) | instskip(NEXT) | instid1(VALU_DEP_1)
	v_fma_f64 v[37:38], v[35:36], v[37:38], s[46:47]
	v_fma_f64 v[37:38], v[35:36], v[37:38], s[48:49]
	s_delay_alu instid0(VALU_DEP_1) | instskip(NEXT) | instid1(VALU_DEP_1)
	v_fma_f64 v[37:38], v[35:36], v[37:38], s[50:51]
	v_mul_f64_e32 v[33:34], v[33:34], v[37:38]
	s_delay_alu instid0(VALU_DEP_1) | instskip(NEXT) | instid1(VALU_DEP_1)
	v_add_f64_e32 v[35:36], v[39:40], v[33:34]
	v_add_f64_e64 v[37:38], v[35:36], -v[39:40]
	s_delay_alu instid0(VALU_DEP_1) | instskip(NEXT) | instid1(VALU_DEP_1)
	v_add_f64_e64 v[33:34], v[33:34], -v[37:38]
	v_add_f64_e32 v[31:32], v[31:32], v[33:34]
	s_delay_alu instid0(VALU_DEP_1) | instskip(NEXT) | instid1(VALU_DEP_1)
	v_add_f64_e32 v[33:34], v[35:36], v[31:32]
	v_add_f64_e64 v[35:36], v[33:34], -v[35:36]
	s_delay_alu instid0(VALU_DEP_1) | instskip(SKIP_1) | instid1(VALU_DEP_1)
	v_add_f64_e64 v[31:32], v[31:32], -v[35:36]
	v_cvt_f64_i32_e32 v[35:36], v2
	v_mul_f64_e32 v[37:38], s[34:35], v[35:36]
	s_delay_alu instid0(VALU_DEP_1) | instskip(NEXT) | instid1(VALU_DEP_1)
	v_fma_f64 v[39:40], v[35:36], s[34:35], -v[37:38]
	v_fma_f64 v[35:36], v[35:36], s[36:37], v[39:40]
	s_delay_alu instid0(VALU_DEP_1) | instskip(NEXT) | instid1(VALU_DEP_1)
	v_add_f64_e32 v[39:40], v[37:38], v[35:36]
	v_add_f64_e64 v[37:38], v[39:40], -v[37:38]
	s_delay_alu instid0(VALU_DEP_1) | instskip(SKIP_1) | instid1(VALU_DEP_1)
	v_add_f64_e64 v[35:36], v[35:36], -v[37:38]
	v_mul_f64_e32 v[37:38], s[28:29], v[33:34]
	v_fma_f64 v[41:42], v[33:34], s[28:29], -v[37:38]
	s_delay_alu instid0(VALU_DEP_1) | instskip(NEXT) | instid1(VALU_DEP_1)
	v_fma_f64 v[31:32], v[31:32], s[28:29], v[41:42]
	v_fma_f64 v[31:32], v[33:34], s[30:31], v[31:32]
	s_delay_alu instid0(VALU_DEP_1) | instskip(NEXT) | instid1(VALU_DEP_1)
	v_add_f64_e32 v[33:34], v[37:38], v[31:32]
	v_add_f64_e64 v[37:38], v[33:34], -v[37:38]
	s_delay_alu instid0(VALU_DEP_1) | instskip(SKIP_1) | instid1(VALU_DEP_1)
	v_add_f64_e64 v[31:32], v[31:32], -v[37:38]
	v_add_f64_e32 v[37:38], v[39:40], v[33:34]
	v_add_f64_e64 v[41:42], v[37:38], -v[39:40]
	s_delay_alu instid0(VALU_DEP_1) | instskip(SKIP_1) | instid1(VALU_DEP_2)
	v_add_f64_e64 v[43:44], v[37:38], -v[41:42]
	v_add_f64_e64 v[33:34], v[33:34], -v[41:42]
	;; [unrolled: 1-line block ×3, first 2 shown]
	s_delay_alu instid0(VALU_DEP_1) | instskip(SKIP_1) | instid1(VALU_DEP_1)
	v_add_f64_e32 v[33:34], v[33:34], v[39:40]
	v_add_f64_e32 v[39:40], v[35:36], v[31:32]
	v_add_f64_e64 v[41:42], v[39:40], -v[35:36]
	s_delay_alu instid0(VALU_DEP_3) | instskip(NEXT) | instid1(VALU_DEP_2)
	v_add_f64_e32 v[33:34], v[39:40], v[33:34]
	v_add_f64_e64 v[43:44], v[39:40], -v[41:42]
	v_add_f64_e64 v[31:32], v[31:32], -v[41:42]
	s_delay_alu instid0(VALU_DEP_2) | instskip(NEXT) | instid1(VALU_DEP_1)
	v_add_f64_e64 v[35:36], v[35:36], -v[43:44]
	v_add_f64_e32 v[31:32], v[31:32], v[35:36]
	v_add_f64_e32 v[35:36], v[37:38], v[33:34]
	s_delay_alu instid0(VALU_DEP_1) | instskip(NEXT) | instid1(VALU_DEP_1)
	v_add_f64_e64 v[37:38], v[35:36], -v[37:38]
	v_add_f64_e64 v[33:34], v[33:34], -v[37:38]
	s_delay_alu instid0(VALU_DEP_1) | instskip(NEXT) | instid1(VALU_DEP_1)
	v_add_f64_e32 v[31:32], v[31:32], v[33:34]
	v_add_f64_e32 v[31:32], v[35:36], v[31:32]
	s_wait_alu 0xfffd
	s_delay_alu instid0(VALU_DEP_1) | instskip(NEXT) | instid1(VALU_DEP_2)
	v_cndmask_b32_e32 v30, 0x7ff00000, v32, vcc_lo
	v_cndmask_b32_e32 v29, 0, v31, vcc_lo
	s_wait_alu 0xfffe
	v_mul_f64_e32 v[31:32], s[0:1], v[0:1]
	s_delay_alu instid0(VALU_DEP_1) | instskip(SKIP_2) | instid1(VALU_DEP_3)
	v_mul_f64_e32 v[33:34], s[56:57], v[31:32]
	v_cmp_nlt_f64_e32 vcc_lo, 0x40900000, v[31:32]
	v_cmp_ngt_f64_e64 s0, 0xc090cc00, v[31:32]
	v_rndne_f64_e32 v[33:34], v[33:34]
	s_delay_alu instid0(VALU_DEP_1) | instskip(SKIP_1) | instid1(VALU_DEP_2)
	v_fma_f64 v[35:36], v[33:34], s[54:55], v[31:32]
	v_cvt_i32_f64_e32 v2, v[33:34]
	v_fma_f64 v[35:36], v[33:34], s[58:59], v[35:36]
	s_delay_alu instid0(VALU_DEP_1) | instskip(NEXT) | instid1(VALU_DEP_1)
	v_fma_f64 v[37:38], v[35:36], s[4:5], s[2:3]
	v_fma_f64 v[37:38], v[35:36], v[37:38], s[6:7]
	s_delay_alu instid0(VALU_DEP_1) | instskip(NEXT) | instid1(VALU_DEP_1)
	v_fma_f64 v[37:38], v[35:36], v[37:38], s[14:15]
	;; [unrolled: 3-line block ×5, first 2 shown]
	v_fma_f64 v[37:38], v[35:36], v[37:38], 1.0
	s_delay_alu instid0(VALU_DEP_1) | instskip(NEXT) | instid1(VALU_DEP_1)
	v_fma_f64 v[35:36], v[35:36], v[37:38], 1.0
	v_ldexp_f64 v[33:34], v[35:36], v2
	s_delay_alu instid0(VALU_DEP_1) | instskip(SKIP_2) | instid1(VALU_DEP_1)
	v_mul_f64_e32 v[33:34], s[82:83], v[33:34]
	s_mov_b32 s83, 0x3fc66666
	s_wait_alu 0xfffd
	v_cndmask_b32_e32 v2, 0x7ff00000, v34, vcc_lo
	s_and_b32 vcc_lo, s0, vcc_lo
	s_wait_alu 0xfffe
	s_delay_alu instid0(VALU_DEP_2) | instskip(NEXT) | instid1(VALU_DEP_2)
	v_cndmask_b32_e32 v31, 0, v33, vcc_lo
	v_cndmask_b32_e64 v32, 0, v2, s0
	s_mov_b32 s0, 0x9cbd821e
	s_mov_b32 s1, 0xbef179ec
	s_wait_alu 0xfffe
	v_mul_f64_e32 v[33:34], s[0:1], v[0:1]
	s_delay_alu instid0(VALU_DEP_1) | instskip(SKIP_2) | instid1(VALU_DEP_3)
	v_mul_f64_e32 v[35:36], s[56:57], v[33:34]
	v_cmp_nlt_f64_e32 vcc_lo, 0x40900000, v[33:34]
	v_cmp_ngt_f64_e64 s0, 0xc090cc00, v[33:34]
	v_rndne_f64_e32 v[35:36], v[35:36]
	s_delay_alu instid0(VALU_DEP_1) | instskip(SKIP_1) | instid1(VALU_DEP_2)
	v_fma_f64 v[37:38], v[35:36], s[54:55], v[33:34]
	v_cvt_i32_f64_e32 v2, v[35:36]
	v_fma_f64 v[37:38], v[35:36], s[58:59], v[37:38]
	s_delay_alu instid0(VALU_DEP_1) | instskip(NEXT) | instid1(VALU_DEP_1)
	v_fma_f64 v[39:40], v[37:38], s[4:5], s[2:3]
	v_fma_f64 v[39:40], v[37:38], v[39:40], s[6:7]
	s_delay_alu instid0(VALU_DEP_1) | instskip(NEXT) | instid1(VALU_DEP_1)
	v_fma_f64 v[39:40], v[37:38], v[39:40], s[14:15]
	;; [unrolled: 3-line block ×5, first 2 shown]
	v_fma_f64 v[39:40], v[37:38], v[39:40], 1.0
	s_delay_alu instid0(VALU_DEP_1) | instskip(NEXT) | instid1(VALU_DEP_1)
	v_fma_f64 v[37:38], v[37:38], v[39:40], 1.0
	v_ldexp_f64 v[35:36], v[37:38], v2
	s_delay_alu instid0(VALU_DEP_1) | instskip(SKIP_2) | instid1(VALU_DEP_1)
	v_mul_f64_e32 v[35:36], s[82:83], v[35:36]
	s_mov_b32 s83, 0xc0c3cde6
	s_wait_alu 0xfffd
	v_cndmask_b32_e32 v2, 0x7ff00000, v36, vcc_lo
	s_and_b32 vcc_lo, s0, vcc_lo
	s_wait_alu 0xfffe
	s_delay_alu instid0(VALU_DEP_2) | instskip(NEXT) | instid1(VALU_DEP_2)
	v_cndmask_b32_e32 v33, 0, v35, vcc_lo
	v_cndmask_b32_e64 v34, 0, v2, s0
	s_delay_alu instid0(VALU_DEP_1) | instskip(SKIP_1) | instid1(VALU_DEP_1)
	v_add_f64_e32 v[31:32], v[31:32], v[33:34]
	v_mul_f64_e32 v[33:34], s[82:83], v[12:13]
	v_mul_f64_e32 v[35:36], s[56:57], v[33:34]
	v_cmp_nlt_f64_e32 vcc_lo, 0x40900000, v[33:34]
	v_cmp_ngt_f64_e64 s0, 0xc090cc00, v[33:34]
	s_delay_alu instid0(VALU_DEP_3) | instskip(NEXT) | instid1(VALU_DEP_1)
	v_rndne_f64_e32 v[35:36], v[35:36]
	v_fma_f64 v[37:38], v[35:36], s[54:55], v[33:34]
	v_cvt_i32_f64_e32 v2, v[35:36]
	s_delay_alu instid0(VALU_DEP_2) | instskip(NEXT) | instid1(VALU_DEP_1)
	v_fma_f64 v[37:38], v[35:36], s[58:59], v[37:38]
	v_fma_f64 v[39:40], v[37:38], s[4:5], s[2:3]
	s_delay_alu instid0(VALU_DEP_1) | instskip(NEXT) | instid1(VALU_DEP_1)
	v_fma_f64 v[39:40], v[37:38], v[39:40], s[6:7]
	v_fma_f64 v[39:40], v[37:38], v[39:40], s[14:15]
	s_delay_alu instid0(VALU_DEP_1) | instskip(NEXT) | instid1(VALU_DEP_1)
	;; [unrolled: 3-line block ×5, first 2 shown]
	v_fma_f64 v[39:40], v[37:38], v[39:40], 1.0
	v_fma_f64 v[37:38], v[37:38], v[39:40], 1.0
	s_delay_alu instid0(VALU_DEP_1) | instskip(SKIP_1) | instid1(VALU_DEP_1)
	v_ldexp_f64 v[35:36], v[37:38], v2
	s_wait_alu 0xfffd
	v_cndmask_b32_e32 v2, 0x7ff00000, v36, vcc_lo
	s_and_b32 vcc_lo, s0, vcc_lo
	s_wait_alu 0xfffe
	s_delay_alu instid0(VALU_DEP_2) | instskip(NEXT) | instid1(VALU_DEP_2)
	v_cndmask_b32_e32 v33, 0, v35, vcc_lo
	v_cndmask_b32_e64 v34, 0, v2, s0
	s_delay_alu instid0(VALU_DEP_1) | instskip(NEXT) | instid1(VALU_DEP_1)
	v_add_f64_e32 v[31:32], v[33:34], v[31:32]
	v_max_num_f64_e32 v[31:32], 0x38100000, v[31:32]
	s_delay_alu instid0(VALU_DEP_1) | instskip(SKIP_1) | instid1(VALU_DEP_2)
	v_frexp_mant_f64_e32 v[33:34], v[31:32]
	v_frexp_exp_i32_f64_e32 v2, v[31:32]
	v_cmp_gt_f64_e32 vcc_lo, s[52:53], v[33:34]
	s_wait_alu 0xfffd
	v_cndmask_b32_e64 v35, 0, 1, vcc_lo
	s_delay_alu instid0(VALU_DEP_3) | instskip(SKIP_1) | instid1(VALU_DEP_3)
	v_subrev_co_ci_u32_e64 v2, null, 0, v2, vcc_lo
	v_cmp_neq_f64_e32 vcc_lo, 0x7ff00000, v[31:32]
	v_ldexp_f64 v[33:34], v[33:34], v35
	s_delay_alu instid0(VALU_DEP_1) | instskip(SKIP_1) | instid1(VALU_DEP_2)
	v_add_f64_e32 v[37:38], 1.0, v[33:34]
	v_add_f64_e32 v[35:36], -1.0, v[33:34]
	v_add_f64_e32 v[39:40], -1.0, v[37:38]
	s_delay_alu instid0(VALU_DEP_1) | instskip(SKIP_1) | instid1(TRANS32_DEP_1)
	v_add_f64_e64 v[33:34], v[33:34], -v[39:40]
	v_rcp_f64_e32 v[39:40], v[37:38]
	v_fma_f64 v[41:42], -v[37:38], v[39:40], 1.0
	s_delay_alu instid0(VALU_DEP_1) | instskip(NEXT) | instid1(VALU_DEP_1)
	v_fma_f64 v[39:40], v[41:42], v[39:40], v[39:40]
	v_fma_f64 v[41:42], -v[37:38], v[39:40], 1.0
	s_delay_alu instid0(VALU_DEP_1) | instskip(NEXT) | instid1(VALU_DEP_1)
	v_fma_f64 v[39:40], v[41:42], v[39:40], v[39:40]
	v_mul_f64_e32 v[41:42], v[35:36], v[39:40]
	s_delay_alu instid0(VALU_DEP_1) | instskip(NEXT) | instid1(VALU_DEP_1)
	v_mul_f64_e32 v[43:44], v[37:38], v[41:42]
	v_fma_f64 v[37:38], v[41:42], v[37:38], -v[43:44]
	s_delay_alu instid0(VALU_DEP_1) | instskip(NEXT) | instid1(VALU_DEP_1)
	v_fma_f64 v[33:34], v[41:42], v[33:34], v[37:38]
	v_add_f64_e32 v[37:38], v[43:44], v[33:34]
	s_delay_alu instid0(VALU_DEP_1) | instskip(SKIP_1) | instid1(VALU_DEP_2)
	v_add_f64_e64 v[45:46], v[35:36], -v[37:38]
	v_add_f64_e64 v[43:44], v[37:38], -v[43:44]
	;; [unrolled: 1-line block ×3, first 2 shown]
	s_delay_alu instid0(VALU_DEP_2) | instskip(NEXT) | instid1(VALU_DEP_2)
	v_add_f64_e64 v[33:34], v[43:44], -v[33:34]
	v_add_f64_e64 v[35:36], v[35:36], -v[37:38]
	s_delay_alu instid0(VALU_DEP_1) | instskip(NEXT) | instid1(VALU_DEP_1)
	v_add_f64_e32 v[33:34], v[33:34], v[35:36]
	v_add_f64_e32 v[33:34], v[45:46], v[33:34]
	s_delay_alu instid0(VALU_DEP_1) | instskip(NEXT) | instid1(VALU_DEP_1)
	v_mul_f64_e32 v[33:34], v[39:40], v[33:34]
	v_add_f64_e32 v[35:36], v[41:42], v[33:34]
	s_delay_alu instid0(VALU_DEP_1) | instskip(SKIP_1) | instid1(VALU_DEP_2)
	v_add_f64_e64 v[37:38], v[35:36], -v[41:42]
	v_ldexp_f64 v[41:42], v[35:36], 1
	v_add_f64_e64 v[33:34], v[33:34], -v[37:38]
	v_mul_f64_e32 v[37:38], v[35:36], v[35:36]
	s_delay_alu instid0(VALU_DEP_2) | instskip(NEXT) | instid1(VALU_DEP_2)
	v_ldexp_f64 v[33:34], v[33:34], 1
	v_fma_f64 v[39:40], v[37:38], s[40:41], s[38:39]
	v_mul_f64_e32 v[35:36], v[35:36], v[37:38]
	s_delay_alu instid0(VALU_DEP_2) | instskip(NEXT) | instid1(VALU_DEP_1)
	v_fma_f64 v[39:40], v[37:38], v[39:40], s[42:43]
	v_fma_f64 v[39:40], v[37:38], v[39:40], s[44:45]
	s_delay_alu instid0(VALU_DEP_1) | instskip(NEXT) | instid1(VALU_DEP_1)
	v_fma_f64 v[39:40], v[37:38], v[39:40], s[46:47]
	v_fma_f64 v[39:40], v[37:38], v[39:40], s[48:49]
	s_delay_alu instid0(VALU_DEP_1) | instskip(NEXT) | instid1(VALU_DEP_1)
	v_fma_f64 v[39:40], v[37:38], v[39:40], s[50:51]
	v_mul_f64_e32 v[35:36], v[35:36], v[39:40]
	s_delay_alu instid0(VALU_DEP_1) | instskip(NEXT) | instid1(VALU_DEP_1)
	v_add_f64_e32 v[37:38], v[41:42], v[35:36]
	v_add_f64_e64 v[39:40], v[37:38], -v[41:42]
	s_delay_alu instid0(VALU_DEP_1) | instskip(NEXT) | instid1(VALU_DEP_1)
	v_add_f64_e64 v[35:36], v[35:36], -v[39:40]
	v_add_f64_e32 v[33:34], v[33:34], v[35:36]
	s_delay_alu instid0(VALU_DEP_1) | instskip(NEXT) | instid1(VALU_DEP_1)
	v_add_f64_e32 v[35:36], v[37:38], v[33:34]
	v_add_f64_e64 v[37:38], v[35:36], -v[37:38]
	s_delay_alu instid0(VALU_DEP_1) | instskip(SKIP_1) | instid1(VALU_DEP_1)
	v_add_f64_e64 v[33:34], v[33:34], -v[37:38]
	v_cvt_f64_i32_e32 v[37:38], v2
	v_mul_f64_e32 v[39:40], s[34:35], v[37:38]
	s_delay_alu instid0(VALU_DEP_1) | instskip(NEXT) | instid1(VALU_DEP_1)
	v_fma_f64 v[41:42], v[37:38], s[34:35], -v[39:40]
	v_fma_f64 v[37:38], v[37:38], s[36:37], v[41:42]
	s_delay_alu instid0(VALU_DEP_1) | instskip(NEXT) | instid1(VALU_DEP_1)
	v_add_f64_e32 v[41:42], v[39:40], v[37:38]
	v_add_f64_e64 v[39:40], v[41:42], -v[39:40]
	s_delay_alu instid0(VALU_DEP_1) | instskip(SKIP_1) | instid1(VALU_DEP_1)
	v_add_f64_e64 v[37:38], v[37:38], -v[39:40]
	v_mul_f64_e32 v[39:40], s[28:29], v[35:36]
	v_fma_f64 v[43:44], v[35:36], s[28:29], -v[39:40]
	s_delay_alu instid0(VALU_DEP_1) | instskip(NEXT) | instid1(VALU_DEP_1)
	v_fma_f64 v[33:34], v[33:34], s[28:29], v[43:44]
	v_fma_f64 v[33:34], v[35:36], s[30:31], v[33:34]
	s_delay_alu instid0(VALU_DEP_1) | instskip(NEXT) | instid1(VALU_DEP_1)
	v_add_f64_e32 v[35:36], v[39:40], v[33:34]
	v_add_f64_e64 v[39:40], v[35:36], -v[39:40]
	s_delay_alu instid0(VALU_DEP_1) | instskip(SKIP_1) | instid1(VALU_DEP_1)
	v_add_f64_e64 v[33:34], v[33:34], -v[39:40]
	v_add_f64_e32 v[39:40], v[41:42], v[35:36]
	v_add_f64_e64 v[43:44], v[39:40], -v[41:42]
	s_delay_alu instid0(VALU_DEP_1) | instskip(SKIP_1) | instid1(VALU_DEP_2)
	v_add_f64_e64 v[45:46], v[39:40], -v[43:44]
	v_add_f64_e64 v[35:36], v[35:36], -v[43:44]
	v_add_f64_e64 v[41:42], v[41:42], -v[45:46]
	s_delay_alu instid0(VALU_DEP_1) | instskip(SKIP_1) | instid1(VALU_DEP_1)
	v_add_f64_e32 v[35:36], v[35:36], v[41:42]
	v_add_f64_e32 v[41:42], v[37:38], v[33:34]
	v_add_f64_e64 v[43:44], v[41:42], -v[37:38]
	s_delay_alu instid0(VALU_DEP_3) | instskip(NEXT) | instid1(VALU_DEP_2)
	v_add_f64_e32 v[35:36], v[41:42], v[35:36]
	v_add_f64_e64 v[45:46], v[41:42], -v[43:44]
	v_add_f64_e64 v[33:34], v[33:34], -v[43:44]
	s_delay_alu instid0(VALU_DEP_2) | instskip(NEXT) | instid1(VALU_DEP_1)
	v_add_f64_e64 v[37:38], v[37:38], -v[45:46]
	v_add_f64_e32 v[33:34], v[33:34], v[37:38]
	v_add_f64_e32 v[37:38], v[39:40], v[35:36]
	s_delay_alu instid0(VALU_DEP_1) | instskip(NEXT) | instid1(VALU_DEP_1)
	v_add_f64_e64 v[39:40], v[37:38], -v[39:40]
	v_add_f64_e64 v[35:36], v[35:36], -v[39:40]
	s_delay_alu instid0(VALU_DEP_1) | instskip(NEXT) | instid1(VALU_DEP_1)
	v_add_f64_e32 v[33:34], v[33:34], v[35:36]
	v_add_f64_e32 v[33:34], v[37:38], v[33:34]
	s_wait_alu 0xfffd
	s_delay_alu instid0(VALU_DEP_1) | instskip(NEXT) | instid1(VALU_DEP_2)
	v_cndmask_b32_e32 v32, 0x7ff00000, v34, vcc_lo
	v_cndmask_b32_e32 v31, 0, v33, vcc_lo
	s_delay_alu instid0(VALU_DEP_1) | instskip(SKIP_1) | instid1(VALU_DEP_2)
	v_fma_f64 v[35:36], v[31:32], s[72:73], s[70:71]
	v_fma_f64 v[33:34], v[31:32], s[62:63], 0x3fe80000
	v_add_f64_e64 v[29:30], v[29:30], -v[35:36]
	s_delay_alu instid0(VALU_DEP_1) | instskip(NEXT) | instid1(VALU_DEP_1)
	v_fma_f64 v[33:34], v[29:30], s[76:77], v[33:34]
	v_div_scale_f64 v[35:36], null, v[33:34], v[33:34], 1.0
	s_delay_alu instid0(VALU_DEP_1) | instskip(NEXT) | instid1(TRANS32_DEP_1)
	v_rcp_f64_e32 v[37:38], v[35:36]
	v_fma_f64 v[39:40], -v[35:36], v[37:38], 1.0
	s_delay_alu instid0(VALU_DEP_1) | instskip(NEXT) | instid1(VALU_DEP_1)
	v_fma_f64 v[37:38], v[37:38], v[39:40], v[37:38]
	v_fma_f64 v[39:40], -v[35:36], v[37:38], 1.0
	s_delay_alu instid0(VALU_DEP_1) | instskip(SKIP_1) | instid1(VALU_DEP_1)
	v_fma_f64 v[37:38], v[37:38], v[39:40], v[37:38]
	v_div_scale_f64 v[39:40], vcc_lo, 1.0, v[33:34], 1.0
	v_mul_f64_e32 v[41:42], v[39:40], v[37:38]
	s_delay_alu instid0(VALU_DEP_1) | instskip(SKIP_1) | instid1(VALU_DEP_1)
	v_fma_f64 v[35:36], -v[35:36], v[41:42], v[39:40]
	s_wait_alu 0xfffd
	v_div_fmas_f64 v[35:36], v[35:36], v[37:38], v[41:42]
	s_delay_alu instid0(VALU_DEP_1) | instskip(NEXT) | instid1(VALU_DEP_1)
	v_div_fixup_f64 v[33:34], v[35:36], v[33:34], 1.0
	v_mul_f64_e32 v[29:30], v[29:30], v[33:34]
	s_delay_alu instid0(VALU_DEP_1) | instskip(NEXT) | instid1(VALU_DEP_1)
	v_fma_f64 v[29:30], v[29:30], v[29:30], 1.0
	v_div_scale_f64 v[33:34], null, v[29:30], v[29:30], 1.0
	s_delay_alu instid0(VALU_DEP_1) | instskip(NEXT) | instid1(TRANS32_DEP_1)
	v_rcp_f64_e32 v[35:36], v[33:34]
	v_fma_f64 v[37:38], -v[33:34], v[35:36], 1.0
	s_delay_alu instid0(VALU_DEP_1) | instskip(NEXT) | instid1(VALU_DEP_1)
	v_fma_f64 v[35:36], v[35:36], v[37:38], v[35:36]
	v_fma_f64 v[37:38], -v[33:34], v[35:36], 1.0
	s_delay_alu instid0(VALU_DEP_1) | instskip(SKIP_1) | instid1(VALU_DEP_1)
	v_fma_f64 v[35:36], v[35:36], v[37:38], v[35:36]
	v_div_scale_f64 v[37:38], vcc_lo, 1.0, v[29:30], 1.0
	v_mul_f64_e32 v[39:40], v[37:38], v[35:36]
	s_delay_alu instid0(VALU_DEP_1) | instskip(SKIP_1) | instid1(VALU_DEP_1)
	v_fma_f64 v[33:34], -v[33:34], v[39:40], v[37:38]
	s_wait_alu 0xfffd
	v_div_fmas_f64 v[33:34], v[33:34], v[35:36], v[39:40]
	s_delay_alu instid0(VALU_DEP_1) | instskip(NEXT) | instid1(VALU_DEP_1)
	v_div_fixup_f64 v[29:30], v[33:34], v[29:30], 1.0
	v_mul_f64_e32 v[29:30], v[31:32], v[29:30]
	s_delay_alu instid0(VALU_DEP_1) | instskip(SKIP_2) | instid1(VALU_DEP_3)
	v_mul_f64_e32 v[31:32], s[60:61], v[29:30]
	v_cmp_nlt_f64_e32 vcc_lo, 0x40900000, v[29:30]
	v_cmp_ngt_f64_e64 s0, 0xc090cc00, v[29:30]
	v_rndne_f64_e32 v[31:32], v[31:32]
	s_delay_alu instid0(VALU_DEP_1) | instskip(SKIP_1) | instid1(VALU_DEP_2)
	v_fma_f64 v[33:34], v[31:32], s[66:67], v[29:30]
	v_cvt_i32_f64_e32 v2, v[31:32]
	v_fma_f64 v[33:34], v[31:32], s[64:65], v[33:34]
	s_delay_alu instid0(VALU_DEP_1) | instskip(NEXT) | instid1(VALU_DEP_1)
	v_mul_f64_e32 v[35:36], s[68:69], v[33:34]
	v_fma_f64 v[33:34], v[33:34], s[74:75], v[35:36]
	s_delay_alu instid0(VALU_DEP_1) | instskip(NEXT) | instid1(VALU_DEP_1)
	v_fma_f64 v[35:36], v[33:34], s[4:5], s[2:3]
	v_fma_f64 v[35:36], v[33:34], v[35:36], s[6:7]
	s_delay_alu instid0(VALU_DEP_1) | instskip(NEXT) | instid1(VALU_DEP_1)
	v_fma_f64 v[35:36], v[33:34], v[35:36], s[14:15]
	;; [unrolled: 3-line block ×5, first 2 shown]
	v_fma_f64 v[35:36], v[33:34], v[35:36], 1.0
	s_delay_alu instid0(VALU_DEP_1) | instskip(NEXT) | instid1(VALU_DEP_1)
	v_fma_f64 v[33:34], v[33:34], v[35:36], 1.0
	v_ldexp_f64 v[31:32], v[33:34], v2
	s_wait_alu 0xfffd
	s_delay_alu instid0(VALU_DEP_1) | instskip(SKIP_2) | instid1(VALU_DEP_2)
	v_cndmask_b32_e32 v2, 0x7ff00000, v32, vcc_lo
	s_and_b32 vcc_lo, s0, vcc_lo
	s_wait_alu 0xfffe
	v_cndmask_b32_e32 v29, 0, v31, vcc_lo
	v_add_co_u32 v21, vcc_lo, s10, v21
	v_cndmask_b32_e64 v30, 0, v2, s0
	s_wait_alu 0xfffd
	v_add_co_ci_u32_e64 v22, null, s11, v22, vcc_lo
	v_add_co_u32 v18, vcc_lo, s12, v18
	s_delay_alu instid0(VALU_DEP_3)
	v_mul_f64_e32 v[27:28], v[27:28], v[29:30]
	s_wait_alu 0xfffd
	v_add_co_ci_u32_e64 v19, null, s13, v19, vcc_lo
	s_mov_b32 s0, 0x6156683e
	s_mov_b32 s1, 0xbf1d7452
	v_mul_f64_e32 v[25:26], v[25:26], v[27:28]
	global_store_b64 v[23:24], v[25:26], off
	global_load_b64 v[23:24], v[21:22], off
	global_load_b64 v[25:26], v[18:19], off
	v_mad_co_u64_u32 v[18:19], null, s33, 3, v[20:21]
	v_mov_b32_e32 v19, v3
	s_delay_alu instid0(VALU_DEP_1)
	v_lshlrev_b64_e32 v[19:20], 3, v[18:19]
	s_wait_loadcnt 0x1
	v_mul_f64_e32 v[23:24], v[23:24], v[27:28]
	global_store_b64 v[21:22], v[23:24], off
	v_add_co_u32 v21, vcc_lo, s8, v19
	s_wait_alu 0xfffd
	v_add_co_ci_u32_e64 v22, null, s9, v20, vcc_lo
	global_load_b64 v[23:24], v[21:22], off
	s_wait_loadcnt 0x0
	v_div_scale_f64 v[27:28], null, v[23:24], v[23:24], 1.0
	s_delay_alu instid0(VALU_DEP_1) | instskip(NEXT) | instid1(TRANS32_DEP_1)
	v_rcp_f64_e32 v[29:30], v[27:28]
	v_fma_f64 v[31:32], -v[27:28], v[29:30], 1.0
	s_delay_alu instid0(VALU_DEP_1) | instskip(NEXT) | instid1(VALU_DEP_1)
	v_fma_f64 v[29:30], v[29:30], v[31:32], v[29:30]
	v_fma_f64 v[31:32], -v[27:28], v[29:30], 1.0
	s_delay_alu instid0(VALU_DEP_1) | instskip(SKIP_1) | instid1(VALU_DEP_1)
	v_fma_f64 v[29:30], v[29:30], v[31:32], v[29:30]
	v_div_scale_f64 v[31:32], vcc_lo, 1.0, v[23:24], 1.0
	v_mul_f64_e32 v[33:34], v[31:32], v[29:30]
	s_delay_alu instid0(VALU_DEP_1) | instskip(SKIP_1) | instid1(VALU_DEP_1)
	v_fma_f64 v[27:28], -v[27:28], v[33:34], v[31:32]
	s_wait_alu 0xfffd
	v_div_fmas_f64 v[27:28], v[27:28], v[29:30], v[33:34]
	s_delay_alu instid0(VALU_DEP_1) | instskip(NEXT) | instid1(VALU_DEP_1)
	v_div_fixup_f64 v[27:28], v[27:28], v[23:24], 1.0
	v_mul_f64_e32 v[27:28], v[10:11], v[27:28]
	s_delay_alu instid0(VALU_DEP_1) | instskip(SKIP_1) | instid1(VALU_DEP_1)
	v_mul_f64_e32 v[29:30], v[25:26], v[27:28]
	v_fma_f64 v[25:26], v[25:26], v[27:28], 1.0
	v_div_scale_f64 v[27:28], null, v[25:26], v[25:26], 1.0
	s_delay_alu instid0(VALU_DEP_1) | instskip(NEXT) | instid1(TRANS32_DEP_1)
	v_rcp_f64_e32 v[31:32], v[27:28]
	v_fma_f64 v[33:34], -v[27:28], v[31:32], 1.0
	s_delay_alu instid0(VALU_DEP_1) | instskip(NEXT) | instid1(VALU_DEP_1)
	v_fma_f64 v[31:32], v[31:32], v[33:34], v[31:32]
	v_fma_f64 v[33:34], -v[27:28], v[31:32], 1.0
	s_delay_alu instid0(VALU_DEP_1) | instskip(SKIP_1) | instid1(VALU_DEP_1)
	v_fma_f64 v[31:32], v[31:32], v[33:34], v[31:32]
	v_div_scale_f64 v[33:34], vcc_lo, 1.0, v[25:26], 1.0
	v_mul_f64_e32 v[35:36], v[33:34], v[31:32]
	s_delay_alu instid0(VALU_DEP_1) | instskip(SKIP_1) | instid1(VALU_DEP_1)
	v_fma_f64 v[27:28], -v[27:28], v[35:36], v[33:34]
	s_wait_alu 0xfffd
	v_div_fmas_f64 v[27:28], v[27:28], v[31:32], v[35:36]
	s_delay_alu instid0(VALU_DEP_1) | instskip(SKIP_1) | instid1(VALU_DEP_2)
	v_div_fixup_f64 v[25:26], v[27:28], v[25:26], 1.0
	v_max_num_f64_e32 v[27:28], 0x38100000, v[29:30]
	v_mul_f64_e32 v[25:26], v[29:30], v[25:26]
	s_delay_alu instid0(VALU_DEP_2) | instskip(SKIP_1) | instid1(VALU_DEP_2)
	v_frexp_mant_f64_e32 v[29:30], v[27:28]
	v_frexp_exp_i32_f64_e32 v2, v[27:28]
	v_cmp_gt_f64_e32 vcc_lo, s[52:53], v[29:30]
	s_wait_alu 0xfffd
	v_cndmask_b32_e64 v31, 0, 1, vcc_lo
	s_delay_alu instid0(VALU_DEP_3) | instskip(SKIP_1) | instid1(VALU_DEP_3)
	v_subrev_co_ci_u32_e64 v2, null, 0, v2, vcc_lo
	v_cmp_neq_f64_e32 vcc_lo, 0x7ff00000, v[27:28]
	v_ldexp_f64 v[29:30], v[29:30], v31
	s_delay_alu instid0(VALU_DEP_1) | instskip(SKIP_1) | instid1(VALU_DEP_2)
	v_add_f64_e32 v[33:34], 1.0, v[29:30]
	v_add_f64_e32 v[31:32], -1.0, v[29:30]
	v_add_f64_e32 v[35:36], -1.0, v[33:34]
	s_delay_alu instid0(VALU_DEP_1) | instskip(SKIP_1) | instid1(TRANS32_DEP_1)
	v_add_f64_e64 v[29:30], v[29:30], -v[35:36]
	v_rcp_f64_e32 v[35:36], v[33:34]
	v_fma_f64 v[37:38], -v[33:34], v[35:36], 1.0
	s_delay_alu instid0(VALU_DEP_1) | instskip(NEXT) | instid1(VALU_DEP_1)
	v_fma_f64 v[35:36], v[37:38], v[35:36], v[35:36]
	v_fma_f64 v[37:38], -v[33:34], v[35:36], 1.0
	s_delay_alu instid0(VALU_DEP_1) | instskip(NEXT) | instid1(VALU_DEP_1)
	v_fma_f64 v[35:36], v[37:38], v[35:36], v[35:36]
	v_mul_f64_e32 v[37:38], v[31:32], v[35:36]
	s_delay_alu instid0(VALU_DEP_1) | instskip(NEXT) | instid1(VALU_DEP_1)
	v_mul_f64_e32 v[39:40], v[33:34], v[37:38]
	v_fma_f64 v[33:34], v[37:38], v[33:34], -v[39:40]
	s_delay_alu instid0(VALU_DEP_1) | instskip(NEXT) | instid1(VALU_DEP_1)
	v_fma_f64 v[29:30], v[37:38], v[29:30], v[33:34]
	v_add_f64_e32 v[33:34], v[39:40], v[29:30]
	s_delay_alu instid0(VALU_DEP_1) | instskip(SKIP_1) | instid1(VALU_DEP_2)
	v_add_f64_e64 v[41:42], v[31:32], -v[33:34]
	v_add_f64_e64 v[39:40], v[33:34], -v[39:40]
	;; [unrolled: 1-line block ×3, first 2 shown]
	s_delay_alu instid0(VALU_DEP_2) | instskip(NEXT) | instid1(VALU_DEP_2)
	v_add_f64_e64 v[29:30], v[39:40], -v[29:30]
	v_add_f64_e64 v[31:32], v[31:32], -v[33:34]
	s_delay_alu instid0(VALU_DEP_1) | instskip(NEXT) | instid1(VALU_DEP_1)
	v_add_f64_e32 v[29:30], v[29:30], v[31:32]
	v_add_f64_e32 v[29:30], v[41:42], v[29:30]
	s_delay_alu instid0(VALU_DEP_1) | instskip(NEXT) | instid1(VALU_DEP_1)
	v_mul_f64_e32 v[29:30], v[35:36], v[29:30]
	v_add_f64_e32 v[31:32], v[37:38], v[29:30]
	s_delay_alu instid0(VALU_DEP_1) | instskip(SKIP_1) | instid1(VALU_DEP_2)
	v_add_f64_e64 v[33:34], v[31:32], -v[37:38]
	v_ldexp_f64 v[37:38], v[31:32], 1
	v_add_f64_e64 v[29:30], v[29:30], -v[33:34]
	v_mul_f64_e32 v[33:34], v[31:32], v[31:32]
	s_delay_alu instid0(VALU_DEP_2) | instskip(NEXT) | instid1(VALU_DEP_2)
	v_ldexp_f64 v[29:30], v[29:30], 1
	v_fma_f64 v[35:36], v[33:34], s[40:41], s[38:39]
	v_mul_f64_e32 v[31:32], v[31:32], v[33:34]
	s_delay_alu instid0(VALU_DEP_2) | instskip(NEXT) | instid1(VALU_DEP_1)
	v_fma_f64 v[35:36], v[33:34], v[35:36], s[42:43]
	v_fma_f64 v[35:36], v[33:34], v[35:36], s[44:45]
	s_delay_alu instid0(VALU_DEP_1) | instskip(NEXT) | instid1(VALU_DEP_1)
	v_fma_f64 v[35:36], v[33:34], v[35:36], s[46:47]
	v_fma_f64 v[35:36], v[33:34], v[35:36], s[48:49]
	s_delay_alu instid0(VALU_DEP_1) | instskip(NEXT) | instid1(VALU_DEP_1)
	v_fma_f64 v[35:36], v[33:34], v[35:36], s[50:51]
	v_mul_f64_e32 v[31:32], v[31:32], v[35:36]
	s_delay_alu instid0(VALU_DEP_1) | instskip(NEXT) | instid1(VALU_DEP_1)
	v_add_f64_e32 v[33:34], v[37:38], v[31:32]
	v_add_f64_e64 v[35:36], v[33:34], -v[37:38]
	s_delay_alu instid0(VALU_DEP_1) | instskip(NEXT) | instid1(VALU_DEP_1)
	v_add_f64_e64 v[31:32], v[31:32], -v[35:36]
	v_add_f64_e32 v[29:30], v[29:30], v[31:32]
	s_delay_alu instid0(VALU_DEP_1) | instskip(NEXT) | instid1(VALU_DEP_1)
	v_add_f64_e32 v[31:32], v[33:34], v[29:30]
	v_add_f64_e64 v[33:34], v[31:32], -v[33:34]
	s_delay_alu instid0(VALU_DEP_1) | instskip(SKIP_1) | instid1(VALU_DEP_1)
	v_add_f64_e64 v[29:30], v[29:30], -v[33:34]
	v_cvt_f64_i32_e32 v[33:34], v2
	v_mul_f64_e32 v[35:36], s[34:35], v[33:34]
	s_delay_alu instid0(VALU_DEP_1) | instskip(NEXT) | instid1(VALU_DEP_1)
	v_fma_f64 v[37:38], v[33:34], s[34:35], -v[35:36]
	v_fma_f64 v[33:34], v[33:34], s[36:37], v[37:38]
	s_delay_alu instid0(VALU_DEP_1) | instskip(NEXT) | instid1(VALU_DEP_1)
	v_add_f64_e32 v[37:38], v[35:36], v[33:34]
	v_add_f64_e64 v[35:36], v[37:38], -v[35:36]
	s_delay_alu instid0(VALU_DEP_1) | instskip(SKIP_1) | instid1(VALU_DEP_1)
	v_add_f64_e64 v[33:34], v[33:34], -v[35:36]
	v_mul_f64_e32 v[35:36], s[28:29], v[31:32]
	v_fma_f64 v[39:40], v[31:32], s[28:29], -v[35:36]
	s_delay_alu instid0(VALU_DEP_1) | instskip(NEXT) | instid1(VALU_DEP_1)
	v_fma_f64 v[29:30], v[29:30], s[28:29], v[39:40]
	v_fma_f64 v[29:30], v[31:32], s[30:31], v[29:30]
	s_delay_alu instid0(VALU_DEP_1) | instskip(NEXT) | instid1(VALU_DEP_1)
	v_add_f64_e32 v[31:32], v[35:36], v[29:30]
	v_add_f64_e64 v[35:36], v[31:32], -v[35:36]
	s_delay_alu instid0(VALU_DEP_1) | instskip(SKIP_1) | instid1(VALU_DEP_1)
	v_add_f64_e64 v[29:30], v[29:30], -v[35:36]
	v_add_f64_e32 v[35:36], v[37:38], v[31:32]
	v_add_f64_e64 v[39:40], v[35:36], -v[37:38]
	s_delay_alu instid0(VALU_DEP_1) | instskip(SKIP_1) | instid1(VALU_DEP_2)
	v_add_f64_e64 v[41:42], v[35:36], -v[39:40]
	v_add_f64_e64 v[31:32], v[31:32], -v[39:40]
	;; [unrolled: 1-line block ×3, first 2 shown]
	s_delay_alu instid0(VALU_DEP_1) | instskip(SKIP_1) | instid1(VALU_DEP_1)
	v_add_f64_e32 v[31:32], v[31:32], v[37:38]
	v_add_f64_e32 v[37:38], v[33:34], v[29:30]
	v_add_f64_e64 v[39:40], v[37:38], -v[33:34]
	s_delay_alu instid0(VALU_DEP_3) | instskip(NEXT) | instid1(VALU_DEP_2)
	v_add_f64_e32 v[31:32], v[37:38], v[31:32]
	v_add_f64_e64 v[41:42], v[37:38], -v[39:40]
	v_add_f64_e64 v[29:30], v[29:30], -v[39:40]
	s_delay_alu instid0(VALU_DEP_2) | instskip(NEXT) | instid1(VALU_DEP_1)
	v_add_f64_e64 v[33:34], v[33:34], -v[41:42]
	v_add_f64_e32 v[29:30], v[29:30], v[33:34]
	v_add_f64_e32 v[33:34], v[35:36], v[31:32]
	s_delay_alu instid0(VALU_DEP_1) | instskip(NEXT) | instid1(VALU_DEP_1)
	v_add_f64_e64 v[35:36], v[33:34], -v[35:36]
	v_add_f64_e64 v[31:32], v[31:32], -v[35:36]
	s_delay_alu instid0(VALU_DEP_1) | instskip(NEXT) | instid1(VALU_DEP_1)
	v_add_f64_e32 v[29:30], v[29:30], v[31:32]
	v_add_f64_e32 v[29:30], v[33:34], v[29:30]
	s_wait_alu 0xfffd
	s_delay_alu instid0(VALU_DEP_1) | instskip(NEXT) | instid1(VALU_DEP_2)
	v_cndmask_b32_e32 v28, 0x7ff00000, v30, vcc_lo
	v_cndmask_b32_e32 v27, 0, v29, vcc_lo
	s_wait_alu 0xfffe
	v_mul_f64_e32 v[29:30], s[0:1], v[0:1]
	s_delay_alu instid0(VALU_DEP_1) | instskip(SKIP_2) | instid1(VALU_DEP_3)
	v_mul_f64_e32 v[31:32], s[56:57], v[29:30]
	v_cmp_nlt_f64_e32 vcc_lo, 0x40900000, v[29:30]
	v_cmp_ngt_f64_e64 s0, 0xc090cc00, v[29:30]
	v_rndne_f64_e32 v[31:32], v[31:32]
	s_delay_alu instid0(VALU_DEP_1) | instskip(SKIP_1) | instid1(VALU_DEP_2)
	v_fma_f64 v[33:34], v[31:32], s[54:55], v[29:30]
	v_cvt_i32_f64_e32 v2, v[31:32]
	v_fma_f64 v[33:34], v[31:32], s[58:59], v[33:34]
	s_delay_alu instid0(VALU_DEP_1) | instskip(NEXT) | instid1(VALU_DEP_1)
	v_fma_f64 v[35:36], v[33:34], s[4:5], s[2:3]
	v_fma_f64 v[35:36], v[33:34], v[35:36], s[6:7]
	s_delay_alu instid0(VALU_DEP_1) | instskip(NEXT) | instid1(VALU_DEP_1)
	v_fma_f64 v[35:36], v[33:34], v[35:36], s[14:15]
	;; [unrolled: 3-line block ×5, first 2 shown]
	v_fma_f64 v[35:36], v[33:34], v[35:36], 1.0
	s_delay_alu instid0(VALU_DEP_1) | instskip(NEXT) | instid1(VALU_DEP_1)
	v_fma_f64 v[33:34], v[33:34], v[35:36], 1.0
	v_ldexp_f64 v[31:32], v[33:34], v2
	s_delay_alu instid0(VALU_DEP_1) | instskip(SKIP_3) | instid1(VALU_DEP_1)
	v_mul_f64_e32 v[31:32], s[80:81], v[31:32]
	s_mov_b32 s81, 0xbf80624d
	s_mov_b32 s80, 0xd2f1a9fc
	s_wait_alu 0xfffd
	v_cndmask_b32_e32 v2, 0x7ff00000, v32, vcc_lo
	s_and_b32 vcc_lo, s0, vcc_lo
	s_wait_alu 0xfffe
	s_delay_alu instid0(VALU_DEP_2) | instskip(NEXT) | instid1(VALU_DEP_2)
	v_cndmask_b32_e32 v29, 0, v31, vcc_lo
	v_cndmask_b32_e64 v30, 0, v2, s0
	s_mov_b32 s0, 0x9b7bb433
	s_mov_b32 s1, 0xbf2e21a9
	s_wait_alu 0xfffe
	v_mul_f64_e32 v[31:32], s[0:1], v[0:1]
	s_mov_b32 s1, 0x3fe19999
	s_mov_b32 s0, s70
	s_delay_alu instid0(VALU_DEP_1) | instskip(SKIP_1) | instid1(VALU_DEP_2)
	v_mul_f64_e32 v[33:34], s[56:57], v[31:32]
	v_cmp_nlt_f64_e32 vcc_lo, 0x40900000, v[31:32]
	v_rndne_f64_e32 v[33:34], v[33:34]
	s_delay_alu instid0(VALU_DEP_1) | instskip(SKIP_1) | instid1(VALU_DEP_2)
	v_fma_f64 v[35:36], v[33:34], s[54:55], v[31:32]
	v_cvt_i32_f64_e32 v2, v[33:34]
	v_fma_f64 v[35:36], v[33:34], s[58:59], v[35:36]
	s_delay_alu instid0(VALU_DEP_1) | instskip(NEXT) | instid1(VALU_DEP_1)
	v_fma_f64 v[37:38], v[35:36], s[4:5], s[2:3]
	v_fma_f64 v[37:38], v[35:36], v[37:38], s[6:7]
	s_delay_alu instid0(VALU_DEP_1) | instskip(NEXT) | instid1(VALU_DEP_1)
	v_fma_f64 v[37:38], v[35:36], v[37:38], s[14:15]
	v_fma_f64 v[37:38], v[35:36], v[37:38], s[16:17]
	s_delay_alu instid0(VALU_DEP_1) | instskip(NEXT) | instid1(VALU_DEP_1)
	v_fma_f64 v[37:38], v[35:36], v[37:38], s[18:19]
	v_fma_f64 v[37:38], v[35:36], v[37:38], s[20:21]
	s_delay_alu instid0(VALU_DEP_1) | instskip(NEXT) | instid1(VALU_DEP_1)
	v_fma_f64 v[37:38], v[35:36], v[37:38], s[22:23]
	v_fma_f64 v[37:38], v[35:36], v[37:38], s[24:25]
	s_delay_alu instid0(VALU_DEP_1) | instskip(NEXT) | instid1(VALU_DEP_1)
	v_fma_f64 v[37:38], v[35:36], v[37:38], s[26:27]
	v_fma_f64 v[37:38], v[35:36], v[37:38], 1.0
	s_delay_alu instid0(VALU_DEP_1) | instskip(NEXT) | instid1(VALU_DEP_1)
	v_fma_f64 v[35:36], v[35:36], v[37:38], 1.0
	v_ldexp_f64 v[33:34], v[35:36], v2
	s_wait_alu 0xfffe
	s_delay_alu instid0(VALU_DEP_1) | instskip(SKIP_2) | instid1(VALU_DEP_2)
	v_mul_f64_e32 v[33:34], s[0:1], v[33:34]
	v_cmp_ngt_f64_e64 s0, 0xc090cc00, v[31:32]
	s_wait_alu 0xfffd
	v_cndmask_b32_e32 v2, 0x7ff00000, v34, vcc_lo
	s_and_b32 vcc_lo, s0, vcc_lo
	s_wait_alu 0xfffe
	v_cndmask_b32_e32 v31, 0, v33, vcc_lo
	s_delay_alu instid0(VALU_DEP_2) | instskip(NEXT) | instid1(VALU_DEP_1)
	v_cndmask_b32_e64 v32, 0, v2, s0
	v_add_f64_e32 v[29:30], v[29:30], v[31:32]
	v_mul_f64_e32 v[31:32], 0xc0bc4c00, v[12:13]
	s_delay_alu instid0(VALU_DEP_1) | instskip(SKIP_2) | instid1(VALU_DEP_3)
	v_mul_f64_e32 v[33:34], s[56:57], v[31:32]
	v_cmp_nlt_f64_e32 vcc_lo, 0x40900000, v[31:32]
	v_cmp_ngt_f64_e64 s0, 0xc090cc00, v[31:32]
	v_rndne_f64_e32 v[33:34], v[33:34]
	s_delay_alu instid0(VALU_DEP_1) | instskip(SKIP_1) | instid1(VALU_DEP_2)
	v_fma_f64 v[35:36], v[33:34], s[54:55], v[31:32]
	v_cvt_i32_f64_e32 v2, v[33:34]
	v_fma_f64 v[35:36], v[33:34], s[58:59], v[35:36]
	s_delay_alu instid0(VALU_DEP_1) | instskip(NEXT) | instid1(VALU_DEP_1)
	v_fma_f64 v[37:38], v[35:36], s[4:5], s[2:3]
	v_fma_f64 v[37:38], v[35:36], v[37:38], s[6:7]
	s_delay_alu instid0(VALU_DEP_1) | instskip(NEXT) | instid1(VALU_DEP_1)
	v_fma_f64 v[37:38], v[35:36], v[37:38], s[14:15]
	;; [unrolled: 3-line block ×5, first 2 shown]
	v_fma_f64 v[37:38], v[35:36], v[37:38], 1.0
	s_delay_alu instid0(VALU_DEP_1) | instskip(NEXT) | instid1(VALU_DEP_1)
	v_fma_f64 v[35:36], v[35:36], v[37:38], 1.0
	v_ldexp_f64 v[33:34], v[35:36], v2
	s_wait_alu 0xfffd
	s_delay_alu instid0(VALU_DEP_1) | instskip(SKIP_2) | instid1(VALU_DEP_2)
	v_cndmask_b32_e32 v2, 0x7ff00000, v34, vcc_lo
	s_and_b32 vcc_lo, s0, vcc_lo
	s_wait_alu 0xfffe
	v_cndmask_b32_e32 v31, 0, v33, vcc_lo
	s_delay_alu instid0(VALU_DEP_2) | instskip(NEXT) | instid1(VALU_DEP_1)
	v_cndmask_b32_e64 v32, 0, v2, s0
	v_add_f64_e32 v[29:30], v[31:32], v[29:30]
	s_delay_alu instid0(VALU_DEP_1) | instskip(NEXT) | instid1(VALU_DEP_1)
	v_max_num_f64_e32 v[29:30], 0x38100000, v[29:30]
	v_frexp_mant_f64_e32 v[31:32], v[29:30]
	v_frexp_exp_i32_f64_e32 v2, v[29:30]
	s_delay_alu instid0(VALU_DEP_2) | instskip(SKIP_2) | instid1(VALU_DEP_3)
	v_cmp_gt_f64_e32 vcc_lo, s[52:53], v[31:32]
	s_wait_alu 0xfffd
	v_cndmask_b32_e64 v33, 0, 1, vcc_lo
	v_subrev_co_ci_u32_e64 v2, null, 0, v2, vcc_lo
	v_cmp_neq_f64_e32 vcc_lo, 0x7ff00000, v[29:30]
	s_delay_alu instid0(VALU_DEP_3) | instskip(NEXT) | instid1(VALU_DEP_1)
	v_ldexp_f64 v[31:32], v[31:32], v33
	v_add_f64_e32 v[35:36], 1.0, v[31:32]
	v_add_f64_e32 v[33:34], -1.0, v[31:32]
	s_delay_alu instid0(VALU_DEP_2) | instskip(NEXT) | instid1(VALU_DEP_1)
	v_add_f64_e32 v[37:38], -1.0, v[35:36]
	v_add_f64_e64 v[31:32], v[31:32], -v[37:38]
	v_rcp_f64_e32 v[37:38], v[35:36]
	s_delay_alu instid0(TRANS32_DEP_1) | instskip(NEXT) | instid1(VALU_DEP_1)
	v_fma_f64 v[39:40], -v[35:36], v[37:38], 1.0
	v_fma_f64 v[37:38], v[39:40], v[37:38], v[37:38]
	s_delay_alu instid0(VALU_DEP_1) | instskip(NEXT) | instid1(VALU_DEP_1)
	v_fma_f64 v[39:40], -v[35:36], v[37:38], 1.0
	v_fma_f64 v[37:38], v[39:40], v[37:38], v[37:38]
	s_delay_alu instid0(VALU_DEP_1) | instskip(NEXT) | instid1(VALU_DEP_1)
	v_mul_f64_e32 v[39:40], v[33:34], v[37:38]
	v_mul_f64_e32 v[41:42], v[35:36], v[39:40]
	s_delay_alu instid0(VALU_DEP_1) | instskip(NEXT) | instid1(VALU_DEP_1)
	v_fma_f64 v[35:36], v[39:40], v[35:36], -v[41:42]
	v_fma_f64 v[31:32], v[39:40], v[31:32], v[35:36]
	s_delay_alu instid0(VALU_DEP_1) | instskip(NEXT) | instid1(VALU_DEP_1)
	v_add_f64_e32 v[35:36], v[41:42], v[31:32]
	v_add_f64_e64 v[43:44], v[33:34], -v[35:36]
	v_add_f64_e64 v[41:42], v[35:36], -v[41:42]
	s_delay_alu instid0(VALU_DEP_2) | instskip(NEXT) | instid1(VALU_DEP_2)
	v_add_f64_e64 v[33:34], v[33:34], -v[43:44]
	v_add_f64_e64 v[31:32], v[41:42], -v[31:32]
	s_delay_alu instid0(VALU_DEP_2) | instskip(NEXT) | instid1(VALU_DEP_1)
	v_add_f64_e64 v[33:34], v[33:34], -v[35:36]
	v_add_f64_e32 v[31:32], v[31:32], v[33:34]
	s_delay_alu instid0(VALU_DEP_1) | instskip(NEXT) | instid1(VALU_DEP_1)
	v_add_f64_e32 v[31:32], v[43:44], v[31:32]
	v_mul_f64_e32 v[31:32], v[37:38], v[31:32]
	s_delay_alu instid0(VALU_DEP_1) | instskip(NEXT) | instid1(VALU_DEP_1)
	v_add_f64_e32 v[33:34], v[39:40], v[31:32]
	v_add_f64_e64 v[35:36], v[33:34], -v[39:40]
	v_ldexp_f64 v[39:40], v[33:34], 1
	s_delay_alu instid0(VALU_DEP_2) | instskip(SKIP_1) | instid1(VALU_DEP_2)
	v_add_f64_e64 v[31:32], v[31:32], -v[35:36]
	v_mul_f64_e32 v[35:36], v[33:34], v[33:34]
	v_ldexp_f64 v[31:32], v[31:32], 1
	s_delay_alu instid0(VALU_DEP_2) | instskip(SKIP_1) | instid1(VALU_DEP_2)
	v_fma_f64 v[37:38], v[35:36], s[40:41], s[38:39]
	v_mul_f64_e32 v[33:34], v[33:34], v[35:36]
	v_fma_f64 v[37:38], v[35:36], v[37:38], s[42:43]
	s_delay_alu instid0(VALU_DEP_1) | instskip(NEXT) | instid1(VALU_DEP_1)
	v_fma_f64 v[37:38], v[35:36], v[37:38], s[44:45]
	v_fma_f64 v[37:38], v[35:36], v[37:38], s[46:47]
	s_delay_alu instid0(VALU_DEP_1) | instskip(NEXT) | instid1(VALU_DEP_1)
	v_fma_f64 v[37:38], v[35:36], v[37:38], s[48:49]
	v_fma_f64 v[37:38], v[35:36], v[37:38], s[50:51]
	s_delay_alu instid0(VALU_DEP_1) | instskip(NEXT) | instid1(VALU_DEP_1)
	v_mul_f64_e32 v[33:34], v[33:34], v[37:38]
	v_add_f64_e32 v[35:36], v[39:40], v[33:34]
	s_delay_alu instid0(VALU_DEP_1) | instskip(NEXT) | instid1(VALU_DEP_1)
	v_add_f64_e64 v[37:38], v[35:36], -v[39:40]
	v_add_f64_e64 v[33:34], v[33:34], -v[37:38]
	s_delay_alu instid0(VALU_DEP_1) | instskip(NEXT) | instid1(VALU_DEP_1)
	v_add_f64_e32 v[31:32], v[31:32], v[33:34]
	v_add_f64_e32 v[33:34], v[35:36], v[31:32]
	s_delay_alu instid0(VALU_DEP_1) | instskip(NEXT) | instid1(VALU_DEP_1)
	v_add_f64_e64 v[35:36], v[33:34], -v[35:36]
	v_add_f64_e64 v[31:32], v[31:32], -v[35:36]
	v_cvt_f64_i32_e32 v[35:36], v2
	s_delay_alu instid0(VALU_DEP_1) | instskip(NEXT) | instid1(VALU_DEP_1)
	v_mul_f64_e32 v[37:38], s[34:35], v[35:36]
	v_fma_f64 v[39:40], v[35:36], s[34:35], -v[37:38]
	s_delay_alu instid0(VALU_DEP_1) | instskip(NEXT) | instid1(VALU_DEP_1)
	v_fma_f64 v[35:36], v[35:36], s[36:37], v[39:40]
	v_add_f64_e32 v[39:40], v[37:38], v[35:36]
	s_delay_alu instid0(VALU_DEP_1) | instskip(NEXT) | instid1(VALU_DEP_1)
	v_add_f64_e64 v[37:38], v[39:40], -v[37:38]
	v_add_f64_e64 v[35:36], v[35:36], -v[37:38]
	v_mul_f64_e32 v[37:38], s[28:29], v[33:34]
	s_delay_alu instid0(VALU_DEP_1) | instskip(NEXT) | instid1(VALU_DEP_1)
	v_fma_f64 v[41:42], v[33:34], s[28:29], -v[37:38]
	v_fma_f64 v[31:32], v[31:32], s[28:29], v[41:42]
	s_delay_alu instid0(VALU_DEP_1) | instskip(NEXT) | instid1(VALU_DEP_1)
	v_fma_f64 v[31:32], v[33:34], s[30:31], v[31:32]
	v_add_f64_e32 v[33:34], v[37:38], v[31:32]
	s_delay_alu instid0(VALU_DEP_1) | instskip(NEXT) | instid1(VALU_DEP_1)
	v_add_f64_e64 v[37:38], v[33:34], -v[37:38]
	v_add_f64_e64 v[31:32], v[31:32], -v[37:38]
	v_add_f64_e32 v[37:38], v[39:40], v[33:34]
	s_delay_alu instid0(VALU_DEP_1) | instskip(NEXT) | instid1(VALU_DEP_1)
	v_add_f64_e64 v[41:42], v[37:38], -v[39:40]
	v_add_f64_e64 v[43:44], v[37:38], -v[41:42]
	v_add_f64_e64 v[33:34], v[33:34], -v[41:42]
	s_delay_alu instid0(VALU_DEP_2) | instskip(NEXT) | instid1(VALU_DEP_1)
	v_add_f64_e64 v[39:40], v[39:40], -v[43:44]
	v_add_f64_e32 v[33:34], v[33:34], v[39:40]
	v_add_f64_e32 v[39:40], v[35:36], v[31:32]
	s_delay_alu instid0(VALU_DEP_1) | instskip(NEXT) | instid1(VALU_DEP_3)
	v_add_f64_e64 v[41:42], v[39:40], -v[35:36]
	v_add_f64_e32 v[33:34], v[39:40], v[33:34]
	s_delay_alu instid0(VALU_DEP_2) | instskip(SKIP_1) | instid1(VALU_DEP_2)
	v_add_f64_e64 v[43:44], v[39:40], -v[41:42]
	v_add_f64_e64 v[31:32], v[31:32], -v[41:42]
	;; [unrolled: 1-line block ×3, first 2 shown]
	s_delay_alu instid0(VALU_DEP_1) | instskip(SKIP_1) | instid1(VALU_DEP_1)
	v_add_f64_e32 v[31:32], v[31:32], v[35:36]
	v_add_f64_e32 v[35:36], v[37:38], v[33:34]
	v_add_f64_e64 v[37:38], v[35:36], -v[37:38]
	s_delay_alu instid0(VALU_DEP_1) | instskip(NEXT) | instid1(VALU_DEP_1)
	v_add_f64_e64 v[33:34], v[33:34], -v[37:38]
	v_add_f64_e32 v[31:32], v[31:32], v[33:34]
	s_delay_alu instid0(VALU_DEP_1) | instskip(SKIP_1) | instid1(VALU_DEP_1)
	v_add_f64_e32 v[31:32], v[35:36], v[31:32]
	s_wait_alu 0xfffd
	v_cndmask_b32_e32 v30, 0x7ff00000, v32, vcc_lo
	s_delay_alu instid0(VALU_DEP_2) | instskip(NEXT) | instid1(VALU_DEP_1)
	v_cndmask_b32_e32 v29, 0, v31, vcc_lo
	v_fma_f64 v[33:34], v[29:30], s[72:73], s[70:71]
	v_fma_f64 v[31:32], v[29:30], s[62:63], 0x3fe80000
	s_delay_alu instid0(VALU_DEP_2) | instskip(NEXT) | instid1(VALU_DEP_1)
	v_add_f64_e64 v[27:28], v[27:28], -v[33:34]
	v_fma_f64 v[31:32], v[27:28], s[76:77], v[31:32]
	s_delay_alu instid0(VALU_DEP_1) | instskip(NEXT) | instid1(VALU_DEP_1)
	v_div_scale_f64 v[33:34], null, v[31:32], v[31:32], 1.0
	v_rcp_f64_e32 v[35:36], v[33:34]
	s_delay_alu instid0(TRANS32_DEP_1) | instskip(NEXT) | instid1(VALU_DEP_1)
	v_fma_f64 v[37:38], -v[33:34], v[35:36], 1.0
	v_fma_f64 v[35:36], v[35:36], v[37:38], v[35:36]
	s_delay_alu instid0(VALU_DEP_1) | instskip(NEXT) | instid1(VALU_DEP_1)
	v_fma_f64 v[37:38], -v[33:34], v[35:36], 1.0
	v_fma_f64 v[35:36], v[35:36], v[37:38], v[35:36]
	v_div_scale_f64 v[37:38], vcc_lo, 1.0, v[31:32], 1.0
	s_delay_alu instid0(VALU_DEP_1) | instskip(NEXT) | instid1(VALU_DEP_1)
	v_mul_f64_e32 v[39:40], v[37:38], v[35:36]
	v_fma_f64 v[33:34], -v[33:34], v[39:40], v[37:38]
	s_wait_alu 0xfffd
	s_delay_alu instid0(VALU_DEP_1) | instskip(NEXT) | instid1(VALU_DEP_1)
	v_div_fmas_f64 v[33:34], v[33:34], v[35:36], v[39:40]
	v_div_fixup_f64 v[31:32], v[33:34], v[31:32], 1.0
	s_delay_alu instid0(VALU_DEP_1) | instskip(NEXT) | instid1(VALU_DEP_1)
	v_mul_f64_e32 v[27:28], v[27:28], v[31:32]
	v_fma_f64 v[27:28], v[27:28], v[27:28], 1.0
	s_delay_alu instid0(VALU_DEP_1) | instskip(NEXT) | instid1(VALU_DEP_1)
	v_div_scale_f64 v[31:32], null, v[27:28], v[27:28], 1.0
	v_rcp_f64_e32 v[33:34], v[31:32]
	s_delay_alu instid0(TRANS32_DEP_1) | instskip(NEXT) | instid1(VALU_DEP_1)
	v_fma_f64 v[35:36], -v[31:32], v[33:34], 1.0
	v_fma_f64 v[33:34], v[33:34], v[35:36], v[33:34]
	s_delay_alu instid0(VALU_DEP_1) | instskip(NEXT) | instid1(VALU_DEP_1)
	v_fma_f64 v[35:36], -v[31:32], v[33:34], 1.0
	v_fma_f64 v[33:34], v[33:34], v[35:36], v[33:34]
	v_div_scale_f64 v[35:36], vcc_lo, 1.0, v[27:28], 1.0
	s_delay_alu instid0(VALU_DEP_1) | instskip(NEXT) | instid1(VALU_DEP_1)
	v_mul_f64_e32 v[37:38], v[35:36], v[33:34]
	v_fma_f64 v[31:32], -v[31:32], v[37:38], v[35:36]
	s_wait_alu 0xfffd
	s_delay_alu instid0(VALU_DEP_1) | instskip(NEXT) | instid1(VALU_DEP_1)
	v_div_fmas_f64 v[31:32], v[31:32], v[33:34], v[37:38]
	v_div_fixup_f64 v[27:28], v[31:32], v[27:28], 1.0
	s_delay_alu instid0(VALU_DEP_1) | instskip(NEXT) | instid1(VALU_DEP_1)
	v_mul_f64_e32 v[27:28], v[29:30], v[27:28]
	v_mul_f64_e32 v[29:30], s[60:61], v[27:28]
	v_cmp_nlt_f64_e32 vcc_lo, 0x40900000, v[27:28]
	v_cmp_ngt_f64_e64 s0, 0xc090cc00, v[27:28]
	s_delay_alu instid0(VALU_DEP_3) | instskip(NEXT) | instid1(VALU_DEP_1)
	v_rndne_f64_e32 v[29:30], v[29:30]
	v_fma_f64 v[31:32], v[29:30], s[66:67], v[27:28]
	v_cvt_i32_f64_e32 v2, v[29:30]
	s_delay_alu instid0(VALU_DEP_2) | instskip(NEXT) | instid1(VALU_DEP_1)
	v_fma_f64 v[31:32], v[29:30], s[64:65], v[31:32]
	v_mul_f64_e32 v[33:34], s[68:69], v[31:32]
	s_delay_alu instid0(VALU_DEP_1) | instskip(NEXT) | instid1(VALU_DEP_1)
	v_fma_f64 v[31:32], v[31:32], s[74:75], v[33:34]
	v_fma_f64 v[33:34], v[31:32], s[4:5], s[2:3]
	s_delay_alu instid0(VALU_DEP_1) | instskip(NEXT) | instid1(VALU_DEP_1)
	v_fma_f64 v[33:34], v[31:32], v[33:34], s[6:7]
	v_fma_f64 v[33:34], v[31:32], v[33:34], s[14:15]
	;; [unrolled: 3-line block ×5, first 2 shown]
	s_delay_alu instid0(VALU_DEP_1) | instskip(NEXT) | instid1(VALU_DEP_1)
	v_fma_f64 v[33:34], v[31:32], v[33:34], 1.0
	v_fma_f64 v[31:32], v[31:32], v[33:34], 1.0
	s_delay_alu instid0(VALU_DEP_1) | instskip(SKIP_1) | instid1(VALU_DEP_1)
	v_ldexp_f64 v[29:30], v[31:32], v2
	s_wait_alu 0xfffd
	v_cndmask_b32_e32 v2, 0x7ff00000, v30, vcc_lo
	s_and_b32 vcc_lo, s0, vcc_lo
	s_wait_alu 0xfffe
	s_delay_alu instid0(VALU_DEP_2)
	v_cndmask_b32_e32 v27, 0, v29, vcc_lo
	v_add_co_u32 v19, vcc_lo, s10, v19
	v_cndmask_b32_e64 v28, 0, v2, s0
	s_wait_alu 0xfffd
	v_add_co_ci_u32_e64 v20, null, s11, v20, vcc_lo
	s_mov_b32 s0, 0x16c16c17
	s_mov_b32 s1, 0xbf76c16c
	v_mul_f64_e32 v[25:26], v[25:26], v[27:28]
	s_delay_alu instid0(VALU_DEP_1)
	v_mul_f64_e32 v[23:24], v[23:24], v[25:26]
	global_store_b64 v[21:22], v[23:24], off
	global_load_b64 v[21:22], v[19:20], off
	s_wait_loadcnt 0x0
	v_mul_f64_e32 v[21:22], v[21:22], v[25:26]
	global_store_b64 v[19:20], v[21:22], off
	v_mad_co_u64_u32 v[18:19], null, 0xffffff7d, s33, v[18:19]
	v_mov_b32_e32 v19, v3
	s_delay_alu instid0(VALU_DEP_1) | instskip(SKIP_2) | instid1(VALU_DEP_3)
	v_lshlrev_b64_e32 v[20:21], 3, v[18:19]
	v_mad_co_u64_u32 v[18:19], null, 0x8a, s33, v[18:19]
	v_mov_b32_e32 v19, v3
	v_add_co_u32 v20, vcc_lo, s12, v20
	s_wait_alu 0xfffd
	s_delay_alu instid0(VALU_DEP_4) | instskip(SKIP_2) | instid1(VALU_DEP_1)
	v_add_co_ci_u32_e64 v21, null, s13, v21, vcc_lo
	global_load_b64 v[25:26], v[20:21], off
	v_lshlrev_b64_e32 v[19:20], 3, v[18:19]
	v_add_co_u32 v21, vcc_lo, s8, v19
	s_wait_alu 0xfffd
	s_delay_alu instid0(VALU_DEP_2) | instskip(SKIP_3) | instid1(VALU_DEP_1)
	v_add_co_ci_u32_e64 v22, null, s9, v20, vcc_lo
	global_load_b64 v[23:24], v[21:22], off
	s_wait_loadcnt 0x0
	v_div_scale_f64 v[27:28], null, v[23:24], v[23:24], 1.0
	v_rcp_f64_e32 v[29:30], v[27:28]
	s_delay_alu instid0(TRANS32_DEP_1) | instskip(NEXT) | instid1(VALU_DEP_1)
	v_fma_f64 v[31:32], -v[27:28], v[29:30], 1.0
	v_fma_f64 v[29:30], v[29:30], v[31:32], v[29:30]
	s_delay_alu instid0(VALU_DEP_1) | instskip(NEXT) | instid1(VALU_DEP_1)
	v_fma_f64 v[31:32], -v[27:28], v[29:30], 1.0
	v_fma_f64 v[29:30], v[29:30], v[31:32], v[29:30]
	v_div_scale_f64 v[31:32], vcc_lo, 1.0, v[23:24], 1.0
	s_delay_alu instid0(VALU_DEP_1) | instskip(NEXT) | instid1(VALU_DEP_1)
	v_mul_f64_e32 v[33:34], v[31:32], v[29:30]
	v_fma_f64 v[27:28], -v[27:28], v[33:34], v[31:32]
	s_wait_alu 0xfffd
	s_delay_alu instid0(VALU_DEP_1) | instskip(NEXT) | instid1(VALU_DEP_1)
	v_div_fmas_f64 v[27:28], v[27:28], v[29:30], v[33:34]
	v_div_fixup_f64 v[27:28], v[27:28], v[23:24], 1.0
	s_delay_alu instid0(VALU_DEP_1) | instskip(NEXT) | instid1(VALU_DEP_1)
	v_mul_f64_e32 v[27:28], v[10:11], v[27:28]
	v_mul_f64_e32 v[29:30], v[25:26], v[27:28]
	v_fma_f64 v[25:26], v[25:26], v[27:28], 1.0
	s_delay_alu instid0(VALU_DEP_1) | instskip(NEXT) | instid1(VALU_DEP_1)
	v_div_scale_f64 v[27:28], null, v[25:26], v[25:26], 1.0
	v_rcp_f64_e32 v[31:32], v[27:28]
	s_delay_alu instid0(TRANS32_DEP_1) | instskip(NEXT) | instid1(VALU_DEP_1)
	v_fma_f64 v[33:34], -v[27:28], v[31:32], 1.0
	v_fma_f64 v[31:32], v[31:32], v[33:34], v[31:32]
	s_delay_alu instid0(VALU_DEP_1) | instskip(NEXT) | instid1(VALU_DEP_1)
	v_fma_f64 v[33:34], -v[27:28], v[31:32], 1.0
	v_fma_f64 v[31:32], v[31:32], v[33:34], v[31:32]
	v_div_scale_f64 v[33:34], vcc_lo, 1.0, v[25:26], 1.0
	s_delay_alu instid0(VALU_DEP_1) | instskip(NEXT) | instid1(VALU_DEP_1)
	v_mul_f64_e32 v[35:36], v[33:34], v[31:32]
	v_fma_f64 v[27:28], -v[27:28], v[35:36], v[33:34]
	s_wait_alu 0xfffd
	s_delay_alu instid0(VALU_DEP_1) | instskip(NEXT) | instid1(VALU_DEP_1)
	v_div_fmas_f64 v[27:28], v[27:28], v[31:32], v[35:36]
	v_div_fixup_f64 v[25:26], v[27:28], v[25:26], 1.0
	v_max_num_f64_e32 v[27:28], 0x38100000, v[29:30]
	s_delay_alu instid0(VALU_DEP_2) | instskip(NEXT) | instid1(VALU_DEP_2)
	v_mul_f64_e32 v[25:26], v[29:30], v[25:26]
	v_frexp_mant_f64_e32 v[29:30], v[27:28]
	v_frexp_exp_i32_f64_e32 v2, v[27:28]
	s_delay_alu instid0(VALU_DEP_2) | instskip(SKIP_2) | instid1(VALU_DEP_3)
	v_cmp_gt_f64_e32 vcc_lo, s[52:53], v[29:30]
	s_wait_alu 0xfffd
	v_cndmask_b32_e64 v31, 0, 1, vcc_lo
	v_subrev_co_ci_u32_e64 v2, null, 0, v2, vcc_lo
	v_cmp_neq_f64_e32 vcc_lo, 0x7ff00000, v[27:28]
	s_delay_alu instid0(VALU_DEP_3) | instskip(NEXT) | instid1(VALU_DEP_1)
	v_ldexp_f64 v[29:30], v[29:30], v31
	v_add_f64_e32 v[33:34], 1.0, v[29:30]
	v_add_f64_e32 v[31:32], -1.0, v[29:30]
	s_delay_alu instid0(VALU_DEP_2) | instskip(NEXT) | instid1(VALU_DEP_1)
	v_add_f64_e32 v[35:36], -1.0, v[33:34]
	v_add_f64_e64 v[29:30], v[29:30], -v[35:36]
	v_rcp_f64_e32 v[35:36], v[33:34]
	s_delay_alu instid0(TRANS32_DEP_1) | instskip(NEXT) | instid1(VALU_DEP_1)
	v_fma_f64 v[37:38], -v[33:34], v[35:36], 1.0
	v_fma_f64 v[35:36], v[37:38], v[35:36], v[35:36]
	s_delay_alu instid0(VALU_DEP_1) | instskip(NEXT) | instid1(VALU_DEP_1)
	v_fma_f64 v[37:38], -v[33:34], v[35:36], 1.0
	v_fma_f64 v[35:36], v[37:38], v[35:36], v[35:36]
	s_delay_alu instid0(VALU_DEP_1) | instskip(NEXT) | instid1(VALU_DEP_1)
	v_mul_f64_e32 v[37:38], v[31:32], v[35:36]
	v_mul_f64_e32 v[39:40], v[33:34], v[37:38]
	s_delay_alu instid0(VALU_DEP_1) | instskip(NEXT) | instid1(VALU_DEP_1)
	v_fma_f64 v[33:34], v[37:38], v[33:34], -v[39:40]
	v_fma_f64 v[29:30], v[37:38], v[29:30], v[33:34]
	s_delay_alu instid0(VALU_DEP_1) | instskip(NEXT) | instid1(VALU_DEP_1)
	v_add_f64_e32 v[33:34], v[39:40], v[29:30]
	v_add_f64_e64 v[41:42], v[31:32], -v[33:34]
	v_add_f64_e64 v[39:40], v[33:34], -v[39:40]
	s_delay_alu instid0(VALU_DEP_2) | instskip(NEXT) | instid1(VALU_DEP_2)
	v_add_f64_e64 v[31:32], v[31:32], -v[41:42]
	v_add_f64_e64 v[29:30], v[39:40], -v[29:30]
	s_delay_alu instid0(VALU_DEP_2) | instskip(NEXT) | instid1(VALU_DEP_1)
	v_add_f64_e64 v[31:32], v[31:32], -v[33:34]
	v_add_f64_e32 v[29:30], v[29:30], v[31:32]
	s_delay_alu instid0(VALU_DEP_1) | instskip(NEXT) | instid1(VALU_DEP_1)
	v_add_f64_e32 v[29:30], v[41:42], v[29:30]
	v_mul_f64_e32 v[29:30], v[35:36], v[29:30]
	s_delay_alu instid0(VALU_DEP_1) | instskip(NEXT) | instid1(VALU_DEP_1)
	v_add_f64_e32 v[31:32], v[37:38], v[29:30]
	v_add_f64_e64 v[33:34], v[31:32], -v[37:38]
	v_ldexp_f64 v[37:38], v[31:32], 1
	s_delay_alu instid0(VALU_DEP_2) | instskip(SKIP_1) | instid1(VALU_DEP_2)
	v_add_f64_e64 v[29:30], v[29:30], -v[33:34]
	v_mul_f64_e32 v[33:34], v[31:32], v[31:32]
	v_ldexp_f64 v[29:30], v[29:30], 1
	s_delay_alu instid0(VALU_DEP_2) | instskip(SKIP_1) | instid1(VALU_DEP_2)
	v_fma_f64 v[35:36], v[33:34], s[40:41], s[38:39]
	v_mul_f64_e32 v[31:32], v[31:32], v[33:34]
	v_fma_f64 v[35:36], v[33:34], v[35:36], s[42:43]
	s_delay_alu instid0(VALU_DEP_1) | instskip(NEXT) | instid1(VALU_DEP_1)
	v_fma_f64 v[35:36], v[33:34], v[35:36], s[44:45]
	v_fma_f64 v[35:36], v[33:34], v[35:36], s[46:47]
	s_delay_alu instid0(VALU_DEP_1) | instskip(NEXT) | instid1(VALU_DEP_1)
	v_fma_f64 v[35:36], v[33:34], v[35:36], s[48:49]
	v_fma_f64 v[35:36], v[33:34], v[35:36], s[50:51]
	s_delay_alu instid0(VALU_DEP_1) | instskip(NEXT) | instid1(VALU_DEP_1)
	v_mul_f64_e32 v[31:32], v[31:32], v[35:36]
	v_add_f64_e32 v[33:34], v[37:38], v[31:32]
	s_delay_alu instid0(VALU_DEP_1) | instskip(NEXT) | instid1(VALU_DEP_1)
	v_add_f64_e64 v[35:36], v[33:34], -v[37:38]
	v_add_f64_e64 v[31:32], v[31:32], -v[35:36]
	s_delay_alu instid0(VALU_DEP_1) | instskip(NEXT) | instid1(VALU_DEP_1)
	v_add_f64_e32 v[29:30], v[29:30], v[31:32]
	v_add_f64_e32 v[31:32], v[33:34], v[29:30]
	s_delay_alu instid0(VALU_DEP_1) | instskip(NEXT) | instid1(VALU_DEP_1)
	v_add_f64_e64 v[33:34], v[31:32], -v[33:34]
	v_add_f64_e64 v[29:30], v[29:30], -v[33:34]
	v_cvt_f64_i32_e32 v[33:34], v2
	s_delay_alu instid0(VALU_DEP_1) | instskip(NEXT) | instid1(VALU_DEP_1)
	v_mul_f64_e32 v[35:36], s[34:35], v[33:34]
	v_fma_f64 v[37:38], v[33:34], s[34:35], -v[35:36]
	s_delay_alu instid0(VALU_DEP_1) | instskip(NEXT) | instid1(VALU_DEP_1)
	v_fma_f64 v[33:34], v[33:34], s[36:37], v[37:38]
	v_add_f64_e32 v[37:38], v[35:36], v[33:34]
	s_delay_alu instid0(VALU_DEP_1) | instskip(NEXT) | instid1(VALU_DEP_1)
	v_add_f64_e64 v[35:36], v[37:38], -v[35:36]
	v_add_f64_e64 v[33:34], v[33:34], -v[35:36]
	v_mul_f64_e32 v[35:36], s[28:29], v[31:32]
	s_delay_alu instid0(VALU_DEP_1) | instskip(NEXT) | instid1(VALU_DEP_1)
	v_fma_f64 v[39:40], v[31:32], s[28:29], -v[35:36]
	v_fma_f64 v[29:30], v[29:30], s[28:29], v[39:40]
	s_delay_alu instid0(VALU_DEP_1) | instskip(NEXT) | instid1(VALU_DEP_1)
	v_fma_f64 v[29:30], v[31:32], s[30:31], v[29:30]
	v_add_f64_e32 v[31:32], v[35:36], v[29:30]
	s_delay_alu instid0(VALU_DEP_1) | instskip(NEXT) | instid1(VALU_DEP_1)
	v_add_f64_e64 v[35:36], v[31:32], -v[35:36]
	v_add_f64_e64 v[29:30], v[29:30], -v[35:36]
	v_add_f64_e32 v[35:36], v[37:38], v[31:32]
	s_delay_alu instid0(VALU_DEP_1) | instskip(NEXT) | instid1(VALU_DEP_1)
	v_add_f64_e64 v[39:40], v[35:36], -v[37:38]
	v_add_f64_e64 v[41:42], v[35:36], -v[39:40]
	;; [unrolled: 1-line block ×3, first 2 shown]
	s_delay_alu instid0(VALU_DEP_2) | instskip(NEXT) | instid1(VALU_DEP_1)
	v_add_f64_e64 v[37:38], v[37:38], -v[41:42]
	v_add_f64_e32 v[31:32], v[31:32], v[37:38]
	v_add_f64_e32 v[37:38], v[33:34], v[29:30]
	s_delay_alu instid0(VALU_DEP_1) | instskip(NEXT) | instid1(VALU_DEP_3)
	v_add_f64_e64 v[39:40], v[37:38], -v[33:34]
	v_add_f64_e32 v[31:32], v[37:38], v[31:32]
	s_delay_alu instid0(VALU_DEP_2) | instskip(SKIP_1) | instid1(VALU_DEP_2)
	v_add_f64_e64 v[41:42], v[37:38], -v[39:40]
	v_add_f64_e64 v[29:30], v[29:30], -v[39:40]
	;; [unrolled: 1-line block ×3, first 2 shown]
	s_delay_alu instid0(VALU_DEP_1) | instskip(SKIP_1) | instid1(VALU_DEP_1)
	v_add_f64_e32 v[29:30], v[29:30], v[33:34]
	v_add_f64_e32 v[33:34], v[35:36], v[31:32]
	v_add_f64_e64 v[35:36], v[33:34], -v[35:36]
	s_delay_alu instid0(VALU_DEP_1) | instskip(NEXT) | instid1(VALU_DEP_1)
	v_add_f64_e64 v[31:32], v[31:32], -v[35:36]
	v_add_f64_e32 v[29:30], v[29:30], v[31:32]
	s_delay_alu instid0(VALU_DEP_1) | instskip(SKIP_1) | instid1(VALU_DEP_1)
	v_add_f64_e32 v[29:30], v[33:34], v[29:30]
	s_wait_alu 0xfffd
	v_cndmask_b32_e32 v28, 0x7ff00000, v30, vcc_lo
	s_delay_alu instid0(VALU_DEP_2) | instskip(SKIP_4) | instid1(VALU_DEP_1)
	v_cndmask_b32_e32 v27, 0, v29, vcc_lo
	s_wait_alu 0xfffe
	v_mul_f64_e32 v[29:30], s[0:1], v[0:1]
	s_mov_b32 s0, 0xb645a1cb
	s_mov_b32 s1, 0x3fd0fdf3
	v_mul_f64_e32 v[31:32], s[56:57], v[29:30]
	v_cmp_nlt_f64_e32 vcc_lo, 0x40900000, v[29:30]
	s_delay_alu instid0(VALU_DEP_2) | instskip(NEXT) | instid1(VALU_DEP_1)
	v_rndne_f64_e32 v[31:32], v[31:32]
	v_fma_f64 v[33:34], v[31:32], s[54:55], v[29:30]
	v_cvt_i32_f64_e32 v2, v[31:32]
	s_delay_alu instid0(VALU_DEP_2) | instskip(NEXT) | instid1(VALU_DEP_1)
	v_fma_f64 v[33:34], v[31:32], s[58:59], v[33:34]
	v_fma_f64 v[35:36], v[33:34], s[4:5], s[2:3]
	s_delay_alu instid0(VALU_DEP_1) | instskip(NEXT) | instid1(VALU_DEP_1)
	v_fma_f64 v[35:36], v[33:34], v[35:36], s[6:7]
	v_fma_f64 v[35:36], v[33:34], v[35:36], s[14:15]
	s_delay_alu instid0(VALU_DEP_1) | instskip(NEXT) | instid1(VALU_DEP_1)
	;; [unrolled: 3-line block ×5, first 2 shown]
	v_fma_f64 v[35:36], v[33:34], v[35:36], 1.0
	v_fma_f64 v[33:34], v[33:34], v[35:36], 1.0
	s_delay_alu instid0(VALU_DEP_1) | instskip(SKIP_1) | instid1(VALU_DEP_1)
	v_ldexp_f64 v[31:32], v[33:34], v2
	s_wait_alu 0xfffe
	v_mul_f64_e32 v[31:32], s[0:1], v[31:32]
	v_cmp_ngt_f64_e64 s0, 0xc090cc00, v[29:30]
	s_wait_alu 0xfffd
	s_delay_alu instid0(VALU_DEP_2) | instskip(SKIP_3) | instid1(VALU_DEP_2)
	v_cndmask_b32_e32 v2, 0x7ff00000, v32, vcc_lo
	s_and_b32 vcc_lo, s0, vcc_lo
	s_wait_alu 0xfffe
	v_cndmask_b32_e32 v29, 0, v31, vcc_lo
	v_cndmask_b32_e64 v30, 0, v2, s0
	s_mov_b32 s0, 0x6d92aca5
	s_mov_b32 s1, 0xbf4fa8ef
	s_wait_alu 0xfffe
	v_mul_f64_e32 v[31:32], s[0:1], v[0:1]
	s_mov_b32 s0, 0x24dd2f1b
	s_mov_b32 s1, 0x3fe78106
	s_delay_alu instid0(VALU_DEP_1) | instskip(SKIP_1) | instid1(VALU_DEP_2)
	v_mul_f64_e32 v[33:34], s[56:57], v[31:32]
	v_cmp_nlt_f64_e32 vcc_lo, 0x40900000, v[31:32]
	v_rndne_f64_e32 v[33:34], v[33:34]
	s_delay_alu instid0(VALU_DEP_1) | instskip(SKIP_1) | instid1(VALU_DEP_2)
	v_fma_f64 v[35:36], v[33:34], s[54:55], v[31:32]
	v_cvt_i32_f64_e32 v2, v[33:34]
	v_fma_f64 v[35:36], v[33:34], s[58:59], v[35:36]
	s_delay_alu instid0(VALU_DEP_1) | instskip(NEXT) | instid1(VALU_DEP_1)
	v_fma_f64 v[37:38], v[35:36], s[4:5], s[2:3]
	v_fma_f64 v[37:38], v[35:36], v[37:38], s[6:7]
	s_delay_alu instid0(VALU_DEP_1) | instskip(NEXT) | instid1(VALU_DEP_1)
	v_fma_f64 v[37:38], v[35:36], v[37:38], s[14:15]
	;; [unrolled: 3-line block ×5, first 2 shown]
	v_fma_f64 v[37:38], v[35:36], v[37:38], 1.0
	s_delay_alu instid0(VALU_DEP_1) | instskip(NEXT) | instid1(VALU_DEP_1)
	v_fma_f64 v[35:36], v[35:36], v[37:38], 1.0
	v_ldexp_f64 v[33:34], v[35:36], v2
	s_wait_alu 0xfffe
	s_delay_alu instid0(VALU_DEP_1) | instskip(SKIP_2) | instid1(VALU_DEP_2)
	v_mul_f64_e32 v[33:34], s[0:1], v[33:34]
	v_cmp_ngt_f64_e64 s0, 0xc090cc00, v[31:32]
	s_wait_alu 0xfffd
	v_cndmask_b32_e32 v2, 0x7ff00000, v34, vcc_lo
	s_and_b32 vcc_lo, s0, vcc_lo
	s_wait_alu 0xfffe
	v_cndmask_b32_e32 v31, 0, v33, vcc_lo
	s_delay_alu instid0(VALU_DEP_2) | instskip(NEXT) | instid1(VALU_DEP_1)
	v_cndmask_b32_e64 v32, 0, v2, s0
	v_add_f64_e32 v[29:30], v[29:30], v[31:32]
	v_mul_f64_e32 v[31:32], 0xc0b52900, v[12:13]
	s_delay_alu instid0(VALU_DEP_1) | instskip(SKIP_2) | instid1(VALU_DEP_3)
	v_mul_f64_e32 v[33:34], s[56:57], v[31:32]
	v_cmp_nlt_f64_e32 vcc_lo, 0x40900000, v[31:32]
	v_cmp_ngt_f64_e64 s0, 0xc090cc00, v[31:32]
	v_rndne_f64_e32 v[33:34], v[33:34]
	s_delay_alu instid0(VALU_DEP_1) | instskip(SKIP_1) | instid1(VALU_DEP_2)
	v_fma_f64 v[35:36], v[33:34], s[54:55], v[31:32]
	v_cvt_i32_f64_e32 v2, v[33:34]
	v_fma_f64 v[35:36], v[33:34], s[58:59], v[35:36]
	s_delay_alu instid0(VALU_DEP_1) | instskip(NEXT) | instid1(VALU_DEP_1)
	v_fma_f64 v[37:38], v[35:36], s[4:5], s[2:3]
	v_fma_f64 v[37:38], v[35:36], v[37:38], s[6:7]
	s_delay_alu instid0(VALU_DEP_1) | instskip(NEXT) | instid1(VALU_DEP_1)
	v_fma_f64 v[37:38], v[35:36], v[37:38], s[14:15]
	;; [unrolled: 3-line block ×5, first 2 shown]
	v_fma_f64 v[37:38], v[35:36], v[37:38], 1.0
	s_delay_alu instid0(VALU_DEP_1) | instskip(NEXT) | instid1(VALU_DEP_1)
	v_fma_f64 v[35:36], v[35:36], v[37:38], 1.0
	v_ldexp_f64 v[33:34], v[35:36], v2
	s_wait_alu 0xfffd
	s_delay_alu instid0(VALU_DEP_1) | instskip(SKIP_2) | instid1(VALU_DEP_2)
	v_cndmask_b32_e32 v2, 0x7ff00000, v34, vcc_lo
	s_and_b32 vcc_lo, s0, vcc_lo
	s_wait_alu 0xfffe
	v_cndmask_b32_e32 v31, 0, v33, vcc_lo
	s_delay_alu instid0(VALU_DEP_2) | instskip(NEXT) | instid1(VALU_DEP_1)
	v_cndmask_b32_e64 v32, 0, v2, s0
	v_add_f64_e32 v[29:30], v[31:32], v[29:30]
	s_delay_alu instid0(VALU_DEP_1) | instskip(NEXT) | instid1(VALU_DEP_1)
	v_max_num_f64_e32 v[29:30], 0x38100000, v[29:30]
	v_frexp_mant_f64_e32 v[31:32], v[29:30]
	v_frexp_exp_i32_f64_e32 v2, v[29:30]
	s_delay_alu instid0(VALU_DEP_2) | instskip(SKIP_2) | instid1(VALU_DEP_3)
	v_cmp_gt_f64_e32 vcc_lo, s[52:53], v[31:32]
	s_wait_alu 0xfffd
	v_cndmask_b32_e64 v33, 0, 1, vcc_lo
	v_subrev_co_ci_u32_e64 v2, null, 0, v2, vcc_lo
	v_cmp_neq_f64_e32 vcc_lo, 0x7ff00000, v[29:30]
	s_delay_alu instid0(VALU_DEP_3) | instskip(NEXT) | instid1(VALU_DEP_1)
	v_ldexp_f64 v[31:32], v[31:32], v33
	v_add_f64_e32 v[35:36], 1.0, v[31:32]
	v_add_f64_e32 v[33:34], -1.0, v[31:32]
	s_delay_alu instid0(VALU_DEP_2) | instskip(NEXT) | instid1(VALU_DEP_1)
	v_add_f64_e32 v[37:38], -1.0, v[35:36]
	v_add_f64_e64 v[31:32], v[31:32], -v[37:38]
	v_rcp_f64_e32 v[37:38], v[35:36]
	s_delay_alu instid0(TRANS32_DEP_1) | instskip(NEXT) | instid1(VALU_DEP_1)
	v_fma_f64 v[39:40], -v[35:36], v[37:38], 1.0
	v_fma_f64 v[37:38], v[39:40], v[37:38], v[37:38]
	s_delay_alu instid0(VALU_DEP_1) | instskip(NEXT) | instid1(VALU_DEP_1)
	v_fma_f64 v[39:40], -v[35:36], v[37:38], 1.0
	v_fma_f64 v[37:38], v[39:40], v[37:38], v[37:38]
	s_delay_alu instid0(VALU_DEP_1) | instskip(NEXT) | instid1(VALU_DEP_1)
	v_mul_f64_e32 v[39:40], v[33:34], v[37:38]
	v_mul_f64_e32 v[41:42], v[35:36], v[39:40]
	s_delay_alu instid0(VALU_DEP_1) | instskip(NEXT) | instid1(VALU_DEP_1)
	v_fma_f64 v[35:36], v[39:40], v[35:36], -v[41:42]
	v_fma_f64 v[31:32], v[39:40], v[31:32], v[35:36]
	s_delay_alu instid0(VALU_DEP_1) | instskip(NEXT) | instid1(VALU_DEP_1)
	v_add_f64_e32 v[35:36], v[41:42], v[31:32]
	v_add_f64_e64 v[43:44], v[33:34], -v[35:36]
	v_add_f64_e64 v[41:42], v[35:36], -v[41:42]
	s_delay_alu instid0(VALU_DEP_2) | instskip(NEXT) | instid1(VALU_DEP_2)
	v_add_f64_e64 v[33:34], v[33:34], -v[43:44]
	v_add_f64_e64 v[31:32], v[41:42], -v[31:32]
	s_delay_alu instid0(VALU_DEP_2) | instskip(NEXT) | instid1(VALU_DEP_1)
	v_add_f64_e64 v[33:34], v[33:34], -v[35:36]
	v_add_f64_e32 v[31:32], v[31:32], v[33:34]
	s_delay_alu instid0(VALU_DEP_1) | instskip(NEXT) | instid1(VALU_DEP_1)
	v_add_f64_e32 v[31:32], v[43:44], v[31:32]
	v_mul_f64_e32 v[31:32], v[37:38], v[31:32]
	s_delay_alu instid0(VALU_DEP_1) | instskip(NEXT) | instid1(VALU_DEP_1)
	v_add_f64_e32 v[33:34], v[39:40], v[31:32]
	v_add_f64_e64 v[35:36], v[33:34], -v[39:40]
	v_ldexp_f64 v[39:40], v[33:34], 1
	s_delay_alu instid0(VALU_DEP_2) | instskip(SKIP_1) | instid1(VALU_DEP_2)
	v_add_f64_e64 v[31:32], v[31:32], -v[35:36]
	v_mul_f64_e32 v[35:36], v[33:34], v[33:34]
	v_ldexp_f64 v[31:32], v[31:32], 1
	s_delay_alu instid0(VALU_DEP_2) | instskip(SKIP_1) | instid1(VALU_DEP_2)
	v_fma_f64 v[37:38], v[35:36], s[40:41], s[38:39]
	v_mul_f64_e32 v[33:34], v[33:34], v[35:36]
	v_fma_f64 v[37:38], v[35:36], v[37:38], s[42:43]
	s_delay_alu instid0(VALU_DEP_1) | instskip(NEXT) | instid1(VALU_DEP_1)
	v_fma_f64 v[37:38], v[35:36], v[37:38], s[44:45]
	v_fma_f64 v[37:38], v[35:36], v[37:38], s[46:47]
	s_delay_alu instid0(VALU_DEP_1) | instskip(NEXT) | instid1(VALU_DEP_1)
	v_fma_f64 v[37:38], v[35:36], v[37:38], s[48:49]
	v_fma_f64 v[37:38], v[35:36], v[37:38], s[50:51]
	s_delay_alu instid0(VALU_DEP_1) | instskip(NEXT) | instid1(VALU_DEP_1)
	v_mul_f64_e32 v[33:34], v[33:34], v[37:38]
	v_add_f64_e32 v[35:36], v[39:40], v[33:34]
	s_delay_alu instid0(VALU_DEP_1) | instskip(NEXT) | instid1(VALU_DEP_1)
	v_add_f64_e64 v[37:38], v[35:36], -v[39:40]
	v_add_f64_e64 v[33:34], v[33:34], -v[37:38]
	s_delay_alu instid0(VALU_DEP_1) | instskip(NEXT) | instid1(VALU_DEP_1)
	v_add_f64_e32 v[31:32], v[31:32], v[33:34]
	v_add_f64_e32 v[33:34], v[35:36], v[31:32]
	s_delay_alu instid0(VALU_DEP_1) | instskip(NEXT) | instid1(VALU_DEP_1)
	v_add_f64_e64 v[35:36], v[33:34], -v[35:36]
	v_add_f64_e64 v[31:32], v[31:32], -v[35:36]
	v_cvt_f64_i32_e32 v[35:36], v2
	s_delay_alu instid0(VALU_DEP_1) | instskip(NEXT) | instid1(VALU_DEP_1)
	v_mul_f64_e32 v[37:38], s[34:35], v[35:36]
	v_fma_f64 v[39:40], v[35:36], s[34:35], -v[37:38]
	s_delay_alu instid0(VALU_DEP_1) | instskip(NEXT) | instid1(VALU_DEP_1)
	v_fma_f64 v[35:36], v[35:36], s[36:37], v[39:40]
	v_add_f64_e32 v[39:40], v[37:38], v[35:36]
	s_delay_alu instid0(VALU_DEP_1) | instskip(NEXT) | instid1(VALU_DEP_1)
	v_add_f64_e64 v[37:38], v[39:40], -v[37:38]
	v_add_f64_e64 v[35:36], v[35:36], -v[37:38]
	v_mul_f64_e32 v[37:38], s[28:29], v[33:34]
	s_delay_alu instid0(VALU_DEP_1) | instskip(NEXT) | instid1(VALU_DEP_1)
	v_fma_f64 v[41:42], v[33:34], s[28:29], -v[37:38]
	v_fma_f64 v[31:32], v[31:32], s[28:29], v[41:42]
	s_delay_alu instid0(VALU_DEP_1) | instskip(NEXT) | instid1(VALU_DEP_1)
	v_fma_f64 v[31:32], v[33:34], s[30:31], v[31:32]
	v_add_f64_e32 v[33:34], v[37:38], v[31:32]
	s_delay_alu instid0(VALU_DEP_1) | instskip(NEXT) | instid1(VALU_DEP_1)
	v_add_f64_e64 v[37:38], v[33:34], -v[37:38]
	v_add_f64_e64 v[31:32], v[31:32], -v[37:38]
	v_add_f64_e32 v[37:38], v[39:40], v[33:34]
	s_delay_alu instid0(VALU_DEP_1) | instskip(NEXT) | instid1(VALU_DEP_1)
	v_add_f64_e64 v[41:42], v[37:38], -v[39:40]
	v_add_f64_e64 v[43:44], v[37:38], -v[41:42]
	;; [unrolled: 1-line block ×3, first 2 shown]
	s_delay_alu instid0(VALU_DEP_2) | instskip(NEXT) | instid1(VALU_DEP_1)
	v_add_f64_e64 v[39:40], v[39:40], -v[43:44]
	v_add_f64_e32 v[33:34], v[33:34], v[39:40]
	v_add_f64_e32 v[39:40], v[35:36], v[31:32]
	s_delay_alu instid0(VALU_DEP_1) | instskip(NEXT) | instid1(VALU_DEP_3)
	v_add_f64_e64 v[41:42], v[39:40], -v[35:36]
	v_add_f64_e32 v[33:34], v[39:40], v[33:34]
	s_delay_alu instid0(VALU_DEP_2) | instskip(SKIP_1) | instid1(VALU_DEP_2)
	v_add_f64_e64 v[43:44], v[39:40], -v[41:42]
	v_add_f64_e64 v[31:32], v[31:32], -v[41:42]
	;; [unrolled: 1-line block ×3, first 2 shown]
	s_delay_alu instid0(VALU_DEP_1) | instskip(SKIP_1) | instid1(VALU_DEP_1)
	v_add_f64_e32 v[31:32], v[31:32], v[35:36]
	v_add_f64_e32 v[35:36], v[37:38], v[33:34]
	v_add_f64_e64 v[37:38], v[35:36], -v[37:38]
	s_delay_alu instid0(VALU_DEP_1) | instskip(NEXT) | instid1(VALU_DEP_1)
	v_add_f64_e64 v[33:34], v[33:34], -v[37:38]
	v_add_f64_e32 v[31:32], v[31:32], v[33:34]
	s_delay_alu instid0(VALU_DEP_1) | instskip(SKIP_1) | instid1(VALU_DEP_1)
	v_add_f64_e32 v[31:32], v[35:36], v[31:32]
	s_wait_alu 0xfffd
	v_cndmask_b32_e32 v30, 0x7ff00000, v32, vcc_lo
	s_delay_alu instid0(VALU_DEP_2) | instskip(NEXT) | instid1(VALU_DEP_1)
	v_cndmask_b32_e32 v29, 0, v31, vcc_lo
	v_fma_f64 v[33:34], v[29:30], s[72:73], s[70:71]
	v_fma_f64 v[31:32], v[29:30], s[62:63], 0x3fe80000
	s_delay_alu instid0(VALU_DEP_2) | instskip(NEXT) | instid1(VALU_DEP_1)
	v_add_f64_e64 v[27:28], v[27:28], -v[33:34]
	v_fma_f64 v[31:32], v[27:28], s[76:77], v[31:32]
	s_delay_alu instid0(VALU_DEP_1) | instskip(NEXT) | instid1(VALU_DEP_1)
	v_div_scale_f64 v[33:34], null, v[31:32], v[31:32], 1.0
	v_rcp_f64_e32 v[35:36], v[33:34]
	s_delay_alu instid0(TRANS32_DEP_1) | instskip(NEXT) | instid1(VALU_DEP_1)
	v_fma_f64 v[37:38], -v[33:34], v[35:36], 1.0
	v_fma_f64 v[35:36], v[35:36], v[37:38], v[35:36]
	s_delay_alu instid0(VALU_DEP_1) | instskip(NEXT) | instid1(VALU_DEP_1)
	v_fma_f64 v[37:38], -v[33:34], v[35:36], 1.0
	v_fma_f64 v[35:36], v[35:36], v[37:38], v[35:36]
	v_div_scale_f64 v[37:38], vcc_lo, 1.0, v[31:32], 1.0
	s_delay_alu instid0(VALU_DEP_1) | instskip(NEXT) | instid1(VALU_DEP_1)
	v_mul_f64_e32 v[39:40], v[37:38], v[35:36]
	v_fma_f64 v[33:34], -v[33:34], v[39:40], v[37:38]
	s_wait_alu 0xfffd
	s_delay_alu instid0(VALU_DEP_1) | instskip(NEXT) | instid1(VALU_DEP_1)
	v_div_fmas_f64 v[33:34], v[33:34], v[35:36], v[39:40]
	v_div_fixup_f64 v[31:32], v[33:34], v[31:32], 1.0
	s_delay_alu instid0(VALU_DEP_1) | instskip(NEXT) | instid1(VALU_DEP_1)
	v_mul_f64_e32 v[27:28], v[27:28], v[31:32]
	v_fma_f64 v[27:28], v[27:28], v[27:28], 1.0
	s_delay_alu instid0(VALU_DEP_1) | instskip(NEXT) | instid1(VALU_DEP_1)
	v_div_scale_f64 v[31:32], null, v[27:28], v[27:28], 1.0
	v_rcp_f64_e32 v[33:34], v[31:32]
	s_delay_alu instid0(TRANS32_DEP_1) | instskip(NEXT) | instid1(VALU_DEP_1)
	v_fma_f64 v[35:36], -v[31:32], v[33:34], 1.0
	v_fma_f64 v[33:34], v[33:34], v[35:36], v[33:34]
	s_delay_alu instid0(VALU_DEP_1) | instskip(NEXT) | instid1(VALU_DEP_1)
	v_fma_f64 v[35:36], -v[31:32], v[33:34], 1.0
	v_fma_f64 v[33:34], v[33:34], v[35:36], v[33:34]
	v_div_scale_f64 v[35:36], vcc_lo, 1.0, v[27:28], 1.0
	s_delay_alu instid0(VALU_DEP_1) | instskip(NEXT) | instid1(VALU_DEP_1)
	v_mul_f64_e32 v[37:38], v[35:36], v[33:34]
	v_fma_f64 v[31:32], -v[31:32], v[37:38], v[35:36]
	s_wait_alu 0xfffd
	s_delay_alu instid0(VALU_DEP_1) | instskip(NEXT) | instid1(VALU_DEP_1)
	v_div_fmas_f64 v[31:32], v[31:32], v[33:34], v[37:38]
	v_div_fixup_f64 v[27:28], v[31:32], v[27:28], 1.0
	s_delay_alu instid0(VALU_DEP_1) | instskip(NEXT) | instid1(VALU_DEP_1)
	v_mul_f64_e32 v[27:28], v[29:30], v[27:28]
	v_mul_f64_e32 v[29:30], s[60:61], v[27:28]
	v_cmp_nlt_f64_e32 vcc_lo, 0x40900000, v[27:28]
	v_cmp_ngt_f64_e64 s0, 0xc090cc00, v[27:28]
	s_delay_alu instid0(VALU_DEP_3) | instskip(NEXT) | instid1(VALU_DEP_1)
	v_rndne_f64_e32 v[29:30], v[29:30]
	v_fma_f64 v[31:32], v[29:30], s[66:67], v[27:28]
	v_cvt_i32_f64_e32 v2, v[29:30]
	s_delay_alu instid0(VALU_DEP_2) | instskip(NEXT) | instid1(VALU_DEP_1)
	v_fma_f64 v[31:32], v[29:30], s[64:65], v[31:32]
	v_mul_f64_e32 v[33:34], s[68:69], v[31:32]
	s_delay_alu instid0(VALU_DEP_1) | instskip(NEXT) | instid1(VALU_DEP_1)
	v_fma_f64 v[31:32], v[31:32], s[74:75], v[33:34]
	v_fma_f64 v[33:34], v[31:32], s[4:5], s[2:3]
	s_delay_alu instid0(VALU_DEP_1) | instskip(NEXT) | instid1(VALU_DEP_1)
	v_fma_f64 v[33:34], v[31:32], v[33:34], s[6:7]
	v_fma_f64 v[33:34], v[31:32], v[33:34], s[14:15]
	;; [unrolled: 3-line block ×5, first 2 shown]
	s_delay_alu instid0(VALU_DEP_1) | instskip(NEXT) | instid1(VALU_DEP_1)
	v_fma_f64 v[33:34], v[31:32], v[33:34], 1.0
	v_fma_f64 v[31:32], v[31:32], v[33:34], 1.0
	s_delay_alu instid0(VALU_DEP_1) | instskip(SKIP_1) | instid1(VALU_DEP_1)
	v_ldexp_f64 v[29:30], v[31:32], v2
	s_wait_alu 0xfffd
	v_cndmask_b32_e32 v2, 0x7ff00000, v30, vcc_lo
	s_and_b32 vcc_lo, s0, vcc_lo
	s_wait_alu 0xfffe
	s_delay_alu instid0(VALU_DEP_2)
	v_cndmask_b32_e32 v27, 0, v29, vcc_lo
	v_add_co_u32 v19, vcc_lo, s10, v19
	v_cndmask_b32_e64 v28, 0, v2, s0
	s_wait_alu 0xfffd
	v_add_co_ci_u32_e64 v20, null, s11, v20, vcc_lo
	v_add_co_u32 v16, vcc_lo, s12, v16
	s_delay_alu instid0(VALU_DEP_3)
	v_mul_f64_e32 v[25:26], v[25:26], v[27:28]
	s_wait_alu 0xfffd
	v_add_co_ci_u32_e64 v17, null, s13, v17, vcc_lo
	v_add_nc_u32_e32 v2, s33, v18
	s_mov_b32 s0, 0x13813814
	s_mov_b32 s1, 0xbf738138
	s_delay_alu instid0(VALU_DEP_3)
	v_mul_f64_e32 v[23:24], v[23:24], v[25:26]
	global_store_b64 v[21:22], v[23:24], off
	global_load_b64 v[21:22], v[19:20], off
	s_wait_loadcnt 0x0
	v_mul_f64_e32 v[21:22], v[21:22], v[25:26]
	global_store_b64 v[19:20], v[21:22], off
	global_load_b64 v[22:23], v[16:17], off
	v_lshlrev_b64_e32 v[16:17], 3, v[2:3]
	s_delay_alu instid0(VALU_DEP_1) | instskip(SKIP_1) | instid1(VALU_DEP_2)
	v_add_co_u32 v18, vcc_lo, s8, v16
	s_wait_alu 0xfffd
	v_add_co_ci_u32_e64 v19, null, s9, v17, vcc_lo
	global_load_b64 v[20:21], v[18:19], off
	s_wait_loadcnt 0x0
	v_div_scale_f64 v[24:25], null, v[20:21], v[20:21], 1.0
	s_delay_alu instid0(VALU_DEP_1) | instskip(NEXT) | instid1(TRANS32_DEP_1)
	v_rcp_f64_e32 v[26:27], v[24:25]
	v_fma_f64 v[28:29], -v[24:25], v[26:27], 1.0
	s_delay_alu instid0(VALU_DEP_1) | instskip(NEXT) | instid1(VALU_DEP_1)
	v_fma_f64 v[26:27], v[26:27], v[28:29], v[26:27]
	v_fma_f64 v[28:29], -v[24:25], v[26:27], 1.0
	s_delay_alu instid0(VALU_DEP_1) | instskip(SKIP_1) | instid1(VALU_DEP_1)
	v_fma_f64 v[26:27], v[26:27], v[28:29], v[26:27]
	v_div_scale_f64 v[28:29], vcc_lo, 1.0, v[20:21], 1.0
	v_mul_f64_e32 v[30:31], v[28:29], v[26:27]
	s_delay_alu instid0(VALU_DEP_1) | instskip(SKIP_1) | instid1(VALU_DEP_1)
	v_fma_f64 v[24:25], -v[24:25], v[30:31], v[28:29]
	s_wait_alu 0xfffd
	v_div_fmas_f64 v[24:25], v[24:25], v[26:27], v[30:31]
	s_delay_alu instid0(VALU_DEP_1) | instskip(NEXT) | instid1(VALU_DEP_1)
	v_div_fixup_f64 v[24:25], v[24:25], v[20:21], 1.0
	v_mul_f64_e32 v[24:25], v[10:11], v[24:25]
	s_delay_alu instid0(VALU_DEP_1) | instskip(SKIP_1) | instid1(VALU_DEP_1)
	v_mul_f64_e32 v[26:27], v[22:23], v[24:25]
	v_fma_f64 v[22:23], v[22:23], v[24:25], 1.0
	v_div_scale_f64 v[24:25], null, v[22:23], v[22:23], 1.0
	s_delay_alu instid0(VALU_DEP_1) | instskip(NEXT) | instid1(TRANS32_DEP_1)
	v_rcp_f64_e32 v[28:29], v[24:25]
	v_fma_f64 v[30:31], -v[24:25], v[28:29], 1.0
	s_delay_alu instid0(VALU_DEP_1) | instskip(NEXT) | instid1(VALU_DEP_1)
	v_fma_f64 v[28:29], v[28:29], v[30:31], v[28:29]
	v_fma_f64 v[30:31], -v[24:25], v[28:29], 1.0
	s_delay_alu instid0(VALU_DEP_1) | instskip(SKIP_1) | instid1(VALU_DEP_1)
	v_fma_f64 v[28:29], v[28:29], v[30:31], v[28:29]
	v_div_scale_f64 v[30:31], vcc_lo, 1.0, v[22:23], 1.0
	v_mul_f64_e32 v[32:33], v[30:31], v[28:29]
	s_delay_alu instid0(VALU_DEP_1) | instskip(SKIP_1) | instid1(VALU_DEP_1)
	v_fma_f64 v[24:25], -v[24:25], v[32:33], v[30:31]
	s_wait_alu 0xfffd
	v_div_fmas_f64 v[24:25], v[24:25], v[28:29], v[32:33]
	s_delay_alu instid0(VALU_DEP_1) | instskip(SKIP_1) | instid1(VALU_DEP_2)
	v_div_fixup_f64 v[22:23], v[24:25], v[22:23], 1.0
	v_max_num_f64_e32 v[24:25], 0x38100000, v[26:27]
	v_mul_f64_e32 v[22:23], v[26:27], v[22:23]
	s_delay_alu instid0(VALU_DEP_2) | instskip(SKIP_1) | instid1(VALU_DEP_2)
	v_frexp_mant_f64_e32 v[26:27], v[24:25]
	v_frexp_exp_i32_f64_e32 v28, v[24:25]
	v_cmp_gt_f64_e32 vcc_lo, s[52:53], v[26:27]
	s_wait_alu 0xfffd
	v_cndmask_b32_e64 v29, 0, 1, vcc_lo
	s_delay_alu instid0(VALU_DEP_3) | instskip(SKIP_1) | instid1(VALU_DEP_3)
	v_subrev_co_ci_u32_e64 v40, null, 0, v28, vcc_lo
	v_cmp_neq_f64_e32 vcc_lo, 0x7ff00000, v[24:25]
	v_ldexp_f64 v[26:27], v[26:27], v29
	s_delay_alu instid0(VALU_DEP_1) | instskip(SKIP_1) | instid1(VALU_DEP_2)
	v_add_f64_e32 v[30:31], 1.0, v[26:27]
	v_add_f64_e32 v[28:29], -1.0, v[26:27]
	v_add_f64_e32 v[32:33], -1.0, v[30:31]
	s_delay_alu instid0(VALU_DEP_1) | instskip(SKIP_1) | instid1(TRANS32_DEP_1)
	v_add_f64_e64 v[26:27], v[26:27], -v[32:33]
	v_rcp_f64_e32 v[32:33], v[30:31]
	v_fma_f64 v[34:35], -v[30:31], v[32:33], 1.0
	s_delay_alu instid0(VALU_DEP_1) | instskip(NEXT) | instid1(VALU_DEP_1)
	v_fma_f64 v[32:33], v[34:35], v[32:33], v[32:33]
	v_fma_f64 v[34:35], -v[30:31], v[32:33], 1.0
	s_delay_alu instid0(VALU_DEP_1) | instskip(NEXT) | instid1(VALU_DEP_1)
	v_fma_f64 v[32:33], v[34:35], v[32:33], v[32:33]
	v_mul_f64_e32 v[34:35], v[28:29], v[32:33]
	s_delay_alu instid0(VALU_DEP_1) | instskip(NEXT) | instid1(VALU_DEP_1)
	v_mul_f64_e32 v[36:37], v[30:31], v[34:35]
	v_fma_f64 v[30:31], v[34:35], v[30:31], -v[36:37]
	s_delay_alu instid0(VALU_DEP_1) | instskip(NEXT) | instid1(VALU_DEP_1)
	v_fma_f64 v[26:27], v[34:35], v[26:27], v[30:31]
	v_add_f64_e32 v[30:31], v[36:37], v[26:27]
	s_delay_alu instid0(VALU_DEP_1) | instskip(SKIP_1) | instid1(VALU_DEP_2)
	v_add_f64_e64 v[38:39], v[28:29], -v[30:31]
	v_add_f64_e64 v[36:37], v[30:31], -v[36:37]
	;; [unrolled: 1-line block ×3, first 2 shown]
	s_delay_alu instid0(VALU_DEP_2) | instskip(NEXT) | instid1(VALU_DEP_2)
	v_add_f64_e64 v[26:27], v[36:37], -v[26:27]
	v_add_f64_e64 v[28:29], v[28:29], -v[30:31]
	s_delay_alu instid0(VALU_DEP_1) | instskip(NEXT) | instid1(VALU_DEP_1)
	v_add_f64_e32 v[26:27], v[26:27], v[28:29]
	v_add_f64_e32 v[26:27], v[38:39], v[26:27]
	s_delay_alu instid0(VALU_DEP_1) | instskip(NEXT) | instid1(VALU_DEP_1)
	v_mul_f64_e32 v[26:27], v[32:33], v[26:27]
	v_add_f64_e32 v[28:29], v[34:35], v[26:27]
	s_delay_alu instid0(VALU_DEP_1) | instskip(SKIP_1) | instid1(VALU_DEP_2)
	v_add_f64_e64 v[30:31], v[28:29], -v[34:35]
	v_ldexp_f64 v[34:35], v[28:29], 1
	v_add_f64_e64 v[26:27], v[26:27], -v[30:31]
	v_mul_f64_e32 v[30:31], v[28:29], v[28:29]
	s_delay_alu instid0(VALU_DEP_2) | instskip(NEXT) | instid1(VALU_DEP_2)
	v_ldexp_f64 v[26:27], v[26:27], 1
	v_fma_f64 v[32:33], v[30:31], s[40:41], s[38:39]
	v_mul_f64_e32 v[28:29], v[28:29], v[30:31]
	s_delay_alu instid0(VALU_DEP_2) | instskip(NEXT) | instid1(VALU_DEP_1)
	v_fma_f64 v[32:33], v[30:31], v[32:33], s[42:43]
	v_fma_f64 v[32:33], v[30:31], v[32:33], s[44:45]
	s_delay_alu instid0(VALU_DEP_1) | instskip(NEXT) | instid1(VALU_DEP_1)
	v_fma_f64 v[32:33], v[30:31], v[32:33], s[46:47]
	v_fma_f64 v[32:33], v[30:31], v[32:33], s[48:49]
	s_delay_alu instid0(VALU_DEP_1) | instskip(NEXT) | instid1(VALU_DEP_1)
	v_fma_f64 v[32:33], v[30:31], v[32:33], s[50:51]
	v_mul_f64_e32 v[28:29], v[28:29], v[32:33]
	s_delay_alu instid0(VALU_DEP_1) | instskip(NEXT) | instid1(VALU_DEP_1)
	v_add_f64_e32 v[30:31], v[34:35], v[28:29]
	v_add_f64_e64 v[32:33], v[30:31], -v[34:35]
	s_delay_alu instid0(VALU_DEP_1) | instskip(NEXT) | instid1(VALU_DEP_1)
	v_add_f64_e64 v[28:29], v[28:29], -v[32:33]
	v_add_f64_e32 v[26:27], v[26:27], v[28:29]
	s_delay_alu instid0(VALU_DEP_1) | instskip(NEXT) | instid1(VALU_DEP_1)
	v_add_f64_e32 v[28:29], v[30:31], v[26:27]
	v_add_f64_e64 v[30:31], v[28:29], -v[30:31]
	s_delay_alu instid0(VALU_DEP_1) | instskip(SKIP_1) | instid1(VALU_DEP_1)
	v_add_f64_e64 v[26:27], v[26:27], -v[30:31]
	v_cvt_f64_i32_e32 v[30:31], v40
	v_mul_f64_e32 v[32:33], s[34:35], v[30:31]
	s_delay_alu instid0(VALU_DEP_1) | instskip(NEXT) | instid1(VALU_DEP_1)
	v_fma_f64 v[34:35], v[30:31], s[34:35], -v[32:33]
	v_fma_f64 v[30:31], v[30:31], s[36:37], v[34:35]
	s_delay_alu instid0(VALU_DEP_1) | instskip(NEXT) | instid1(VALU_DEP_1)
	v_add_f64_e32 v[34:35], v[32:33], v[30:31]
	v_add_f64_e64 v[32:33], v[34:35], -v[32:33]
	s_delay_alu instid0(VALU_DEP_1) | instskip(SKIP_1) | instid1(VALU_DEP_1)
	v_add_f64_e64 v[30:31], v[30:31], -v[32:33]
	v_mul_f64_e32 v[32:33], s[28:29], v[28:29]
	v_fma_f64 v[36:37], v[28:29], s[28:29], -v[32:33]
	s_delay_alu instid0(VALU_DEP_1) | instskip(NEXT) | instid1(VALU_DEP_1)
	v_fma_f64 v[26:27], v[26:27], s[28:29], v[36:37]
	v_fma_f64 v[26:27], v[28:29], s[30:31], v[26:27]
	s_delay_alu instid0(VALU_DEP_1) | instskip(NEXT) | instid1(VALU_DEP_1)
	v_add_f64_e32 v[28:29], v[32:33], v[26:27]
	v_add_f64_e64 v[32:33], v[28:29], -v[32:33]
	s_delay_alu instid0(VALU_DEP_1) | instskip(SKIP_1) | instid1(VALU_DEP_1)
	v_add_f64_e64 v[26:27], v[26:27], -v[32:33]
	v_add_f64_e32 v[32:33], v[34:35], v[28:29]
	v_add_f64_e64 v[36:37], v[32:33], -v[34:35]
	s_delay_alu instid0(VALU_DEP_1) | instskip(SKIP_1) | instid1(VALU_DEP_2)
	v_add_f64_e64 v[38:39], v[32:33], -v[36:37]
	v_add_f64_e64 v[28:29], v[28:29], -v[36:37]
	;; [unrolled: 1-line block ×3, first 2 shown]
	s_delay_alu instid0(VALU_DEP_1) | instskip(SKIP_1) | instid1(VALU_DEP_1)
	v_add_f64_e32 v[28:29], v[28:29], v[34:35]
	v_add_f64_e32 v[34:35], v[30:31], v[26:27]
	v_add_f64_e64 v[36:37], v[34:35], -v[30:31]
	s_delay_alu instid0(VALU_DEP_3) | instskip(NEXT) | instid1(VALU_DEP_2)
	v_add_f64_e32 v[28:29], v[34:35], v[28:29]
	v_add_f64_e64 v[38:39], v[34:35], -v[36:37]
	v_add_f64_e64 v[26:27], v[26:27], -v[36:37]
	s_delay_alu instid0(VALU_DEP_2) | instskip(NEXT) | instid1(VALU_DEP_1)
	v_add_f64_e64 v[30:31], v[30:31], -v[38:39]
	v_add_f64_e32 v[26:27], v[26:27], v[30:31]
	v_add_f64_e32 v[30:31], v[32:33], v[28:29]
	s_delay_alu instid0(VALU_DEP_1) | instskip(NEXT) | instid1(VALU_DEP_1)
	v_add_f64_e64 v[32:33], v[30:31], -v[32:33]
	v_add_f64_e64 v[28:29], v[28:29], -v[32:33]
	s_delay_alu instid0(VALU_DEP_1) | instskip(NEXT) | instid1(VALU_DEP_1)
	v_add_f64_e32 v[26:27], v[26:27], v[28:29]
	v_add_f64_e32 v[26:27], v[30:31], v[26:27]
	s_wait_alu 0xfffd
	s_delay_alu instid0(VALU_DEP_1) | instskip(NEXT) | instid1(VALU_DEP_2)
	v_cndmask_b32_e32 v25, 0x7ff00000, v27, vcc_lo
	v_cndmask_b32_e32 v24, 0, v26, vcc_lo
	s_wait_alu 0xfffe
	v_mul_f64_e32 v[26:27], s[0:1], v[0:1]
	s_mov_b32 s0, 0xf0d844d0
	s_mov_b32 s1, 0x3f994af4
	s_delay_alu instid0(VALU_DEP_1) | instskip(SKIP_1) | instid1(VALU_DEP_2)
	v_mul_f64_e32 v[28:29], s[56:57], v[26:27]
	v_cmp_nlt_f64_e32 vcc_lo, 0x40900000, v[26:27]
	v_rndne_f64_e32 v[28:29], v[28:29]
	s_delay_alu instid0(VALU_DEP_1) | instskip(NEXT) | instid1(VALU_DEP_1)
	v_fma_f64 v[30:31], v[28:29], s[54:55], v[26:27]
	v_fma_f64 v[30:31], v[28:29], s[58:59], v[30:31]
	v_cvt_i32_f64_e32 v28, v[28:29]
	s_delay_alu instid0(VALU_DEP_2) | instskip(NEXT) | instid1(VALU_DEP_1)
	v_fma_f64 v[32:33], v[30:31], s[4:5], s[2:3]
	v_fma_f64 v[32:33], v[30:31], v[32:33], s[6:7]
	s_delay_alu instid0(VALU_DEP_1) | instskip(NEXT) | instid1(VALU_DEP_1)
	v_fma_f64 v[32:33], v[30:31], v[32:33], s[14:15]
	v_fma_f64 v[32:33], v[30:31], v[32:33], s[16:17]
	s_delay_alu instid0(VALU_DEP_1) | instskip(NEXT) | instid1(VALU_DEP_1)
	;; [unrolled: 3-line block ×4, first 2 shown]
	v_fma_f64 v[32:33], v[30:31], v[32:33], s[26:27]
	v_fma_f64 v[32:33], v[30:31], v[32:33], 1.0
	s_delay_alu instid0(VALU_DEP_1) | instskip(NEXT) | instid1(VALU_DEP_1)
	v_fma_f64 v[30:31], v[30:31], v[32:33], 1.0
	v_ldexp_f64 v[28:29], v[30:31], v28
	s_wait_alu 0xfffe
	s_delay_alu instid0(VALU_DEP_1) | instskip(SKIP_2) | instid1(VALU_DEP_2)
	v_mul_f64_e32 v[28:29], s[0:1], v[28:29]
	v_cmp_ngt_f64_e64 s0, 0xc090cc00, v[26:27]
	s_wait_alu 0xfffd
	v_cndmask_b32_e32 v29, 0x7ff00000, v29, vcc_lo
	s_and_b32 vcc_lo, s0, vcc_lo
	s_wait_alu 0xfffe
	v_cndmask_b32_e32 v26, 0, v28, vcc_lo
	s_delay_alu instid0(VALU_DEP_2)
	v_cndmask_b32_e64 v27, 0, v29, s0
	s_mov_b32 s0, 0xa6810a7
	s_mov_b32 s1, 0xbf50a681
	s_wait_alu 0xfffe
	v_mul_f64_e32 v[28:29], s[0:1], v[0:1]
	s_mov_b32 s0, 0x58793dd9
	s_mov_b32 s1, 0x3fef35a8
	s_delay_alu instid0(VALU_DEP_1) | instskip(SKIP_1) | instid1(VALU_DEP_2)
	v_mul_f64_e32 v[30:31], s[56:57], v[28:29]
	v_cmp_nlt_f64_e32 vcc_lo, 0x40900000, v[28:29]
	v_rndne_f64_e32 v[30:31], v[30:31]
	s_delay_alu instid0(VALU_DEP_1) | instskip(NEXT) | instid1(VALU_DEP_1)
	v_fma_f64 v[32:33], v[30:31], s[54:55], v[28:29]
	v_fma_f64 v[32:33], v[30:31], s[58:59], v[32:33]
	v_cvt_i32_f64_e32 v30, v[30:31]
	s_delay_alu instid0(VALU_DEP_2) | instskip(NEXT) | instid1(VALU_DEP_1)
	v_fma_f64 v[34:35], v[32:33], s[4:5], s[2:3]
	v_fma_f64 v[34:35], v[32:33], v[34:35], s[6:7]
	s_delay_alu instid0(VALU_DEP_1) | instskip(NEXT) | instid1(VALU_DEP_1)
	v_fma_f64 v[34:35], v[32:33], v[34:35], s[14:15]
	v_fma_f64 v[34:35], v[32:33], v[34:35], s[16:17]
	s_delay_alu instid0(VALU_DEP_1) | instskip(NEXT) | instid1(VALU_DEP_1)
	;; [unrolled: 3-line block ×4, first 2 shown]
	v_fma_f64 v[34:35], v[32:33], v[34:35], s[26:27]
	v_fma_f64 v[34:35], v[32:33], v[34:35], 1.0
	s_delay_alu instid0(VALU_DEP_1) | instskip(NEXT) | instid1(VALU_DEP_1)
	v_fma_f64 v[32:33], v[32:33], v[34:35], 1.0
	v_ldexp_f64 v[30:31], v[32:33], v30
	s_wait_alu 0xfffe
	s_delay_alu instid0(VALU_DEP_1) | instskip(SKIP_2) | instid1(VALU_DEP_2)
	v_mul_f64_e32 v[30:31], s[0:1], v[30:31]
	v_cmp_ngt_f64_e64 s0, 0xc090cc00, v[28:29]
	s_wait_alu 0xfffd
	v_cndmask_b32_e32 v31, 0x7ff00000, v31, vcc_lo
	s_and_b32 vcc_lo, s0, vcc_lo
	s_wait_alu 0xfffe
	v_cndmask_b32_e32 v28, 0, v30, vcc_lo
	s_delay_alu instid0(VALU_DEP_2) | instskip(NEXT) | instid1(VALU_DEP_1)
	v_cndmask_b32_e64 v29, 0, v31, s0
	v_add_f64_e32 v[26:27], v[26:27], v[28:29]
	v_mul_f64_e32 v[28:29], 0xc0b11600, v[12:13]
	s_delay_alu instid0(VALU_DEP_1) | instskip(SKIP_2) | instid1(VALU_DEP_3)
	v_mul_f64_e32 v[30:31], s[56:57], v[28:29]
	v_cmp_nlt_f64_e32 vcc_lo, 0x40900000, v[28:29]
	v_cmp_ngt_f64_e64 s0, 0xc090cc00, v[28:29]
	v_rndne_f64_e32 v[30:31], v[30:31]
	s_delay_alu instid0(VALU_DEP_1) | instskip(NEXT) | instid1(VALU_DEP_1)
	v_fma_f64 v[32:33], v[30:31], s[54:55], v[28:29]
	v_fma_f64 v[32:33], v[30:31], s[58:59], v[32:33]
	v_cvt_i32_f64_e32 v30, v[30:31]
	s_delay_alu instid0(VALU_DEP_2) | instskip(NEXT) | instid1(VALU_DEP_1)
	v_fma_f64 v[34:35], v[32:33], s[4:5], s[2:3]
	v_fma_f64 v[34:35], v[32:33], v[34:35], s[6:7]
	s_delay_alu instid0(VALU_DEP_1) | instskip(NEXT) | instid1(VALU_DEP_1)
	v_fma_f64 v[34:35], v[32:33], v[34:35], s[14:15]
	v_fma_f64 v[34:35], v[32:33], v[34:35], s[16:17]
	s_delay_alu instid0(VALU_DEP_1) | instskip(NEXT) | instid1(VALU_DEP_1)
	;; [unrolled: 3-line block ×4, first 2 shown]
	v_fma_f64 v[34:35], v[32:33], v[34:35], s[26:27]
	v_fma_f64 v[34:35], v[32:33], v[34:35], 1.0
	s_delay_alu instid0(VALU_DEP_1) | instskip(NEXT) | instid1(VALU_DEP_1)
	v_fma_f64 v[32:33], v[32:33], v[34:35], 1.0
	v_ldexp_f64 v[30:31], v[32:33], v30
	s_wait_alu 0xfffd
	s_delay_alu instid0(VALU_DEP_1) | instskip(SKIP_2) | instid1(VALU_DEP_2)
	v_cndmask_b32_e32 v31, 0x7ff00000, v31, vcc_lo
	s_and_b32 vcc_lo, s0, vcc_lo
	s_wait_alu 0xfffe
	v_cndmask_b32_e32 v28, 0, v30, vcc_lo
	s_delay_alu instid0(VALU_DEP_2) | instskip(NEXT) | instid1(VALU_DEP_1)
	v_cndmask_b32_e64 v29, 0, v31, s0
	v_add_f64_e32 v[26:27], v[28:29], v[26:27]
	s_delay_alu instid0(VALU_DEP_1) | instskip(NEXT) | instid1(VALU_DEP_1)
	v_max_num_f64_e32 v[26:27], 0x38100000, v[26:27]
	v_frexp_mant_f64_e32 v[28:29], v[26:27]
	v_frexp_exp_i32_f64_e32 v30, v[26:27]
	s_delay_alu instid0(VALU_DEP_2) | instskip(SKIP_2) | instid1(VALU_DEP_3)
	v_cmp_gt_f64_e32 vcc_lo, s[52:53], v[28:29]
	s_wait_alu 0xfffd
	v_cndmask_b32_e64 v31, 0, 1, vcc_lo
	v_subrev_co_ci_u32_e64 v42, null, 0, v30, vcc_lo
	v_cmp_neq_f64_e32 vcc_lo, 0x7ff00000, v[26:27]
	s_delay_alu instid0(VALU_DEP_3) | instskip(NEXT) | instid1(VALU_DEP_1)
	v_ldexp_f64 v[28:29], v[28:29], v31
	v_add_f64_e32 v[32:33], 1.0, v[28:29]
	v_add_f64_e32 v[30:31], -1.0, v[28:29]
	s_delay_alu instid0(VALU_DEP_2) | instskip(NEXT) | instid1(VALU_DEP_1)
	v_add_f64_e32 v[34:35], -1.0, v[32:33]
	v_add_f64_e64 v[28:29], v[28:29], -v[34:35]
	v_rcp_f64_e32 v[34:35], v[32:33]
	s_delay_alu instid0(TRANS32_DEP_1) | instskip(NEXT) | instid1(VALU_DEP_1)
	v_fma_f64 v[36:37], -v[32:33], v[34:35], 1.0
	v_fma_f64 v[34:35], v[36:37], v[34:35], v[34:35]
	s_delay_alu instid0(VALU_DEP_1) | instskip(NEXT) | instid1(VALU_DEP_1)
	v_fma_f64 v[36:37], -v[32:33], v[34:35], 1.0
	v_fma_f64 v[34:35], v[36:37], v[34:35], v[34:35]
	s_delay_alu instid0(VALU_DEP_1) | instskip(NEXT) | instid1(VALU_DEP_1)
	v_mul_f64_e32 v[36:37], v[30:31], v[34:35]
	v_mul_f64_e32 v[38:39], v[32:33], v[36:37]
	s_delay_alu instid0(VALU_DEP_1) | instskip(NEXT) | instid1(VALU_DEP_1)
	v_fma_f64 v[32:33], v[36:37], v[32:33], -v[38:39]
	v_fma_f64 v[28:29], v[36:37], v[28:29], v[32:33]
	s_delay_alu instid0(VALU_DEP_1) | instskip(NEXT) | instid1(VALU_DEP_1)
	v_add_f64_e32 v[32:33], v[38:39], v[28:29]
	v_add_f64_e64 v[40:41], v[30:31], -v[32:33]
	v_add_f64_e64 v[38:39], v[32:33], -v[38:39]
	s_delay_alu instid0(VALU_DEP_2) | instskip(NEXT) | instid1(VALU_DEP_2)
	v_add_f64_e64 v[30:31], v[30:31], -v[40:41]
	v_add_f64_e64 v[28:29], v[38:39], -v[28:29]
	s_delay_alu instid0(VALU_DEP_2) | instskip(NEXT) | instid1(VALU_DEP_1)
	v_add_f64_e64 v[30:31], v[30:31], -v[32:33]
	v_add_f64_e32 v[28:29], v[28:29], v[30:31]
	s_delay_alu instid0(VALU_DEP_1) | instskip(NEXT) | instid1(VALU_DEP_1)
	v_add_f64_e32 v[28:29], v[40:41], v[28:29]
	v_mul_f64_e32 v[28:29], v[34:35], v[28:29]
	s_delay_alu instid0(VALU_DEP_1) | instskip(NEXT) | instid1(VALU_DEP_1)
	v_add_f64_e32 v[30:31], v[36:37], v[28:29]
	v_add_f64_e64 v[32:33], v[30:31], -v[36:37]
	v_ldexp_f64 v[36:37], v[30:31], 1
	s_delay_alu instid0(VALU_DEP_2) | instskip(SKIP_1) | instid1(VALU_DEP_2)
	v_add_f64_e64 v[28:29], v[28:29], -v[32:33]
	v_mul_f64_e32 v[32:33], v[30:31], v[30:31]
	v_ldexp_f64 v[28:29], v[28:29], 1
	s_delay_alu instid0(VALU_DEP_2) | instskip(SKIP_1) | instid1(VALU_DEP_2)
	v_fma_f64 v[34:35], v[32:33], s[40:41], s[38:39]
	v_mul_f64_e32 v[30:31], v[30:31], v[32:33]
	v_fma_f64 v[34:35], v[32:33], v[34:35], s[42:43]
	s_delay_alu instid0(VALU_DEP_1) | instskip(NEXT) | instid1(VALU_DEP_1)
	v_fma_f64 v[34:35], v[32:33], v[34:35], s[44:45]
	v_fma_f64 v[34:35], v[32:33], v[34:35], s[46:47]
	s_delay_alu instid0(VALU_DEP_1) | instskip(NEXT) | instid1(VALU_DEP_1)
	v_fma_f64 v[34:35], v[32:33], v[34:35], s[48:49]
	v_fma_f64 v[34:35], v[32:33], v[34:35], s[50:51]
	s_delay_alu instid0(VALU_DEP_1) | instskip(NEXT) | instid1(VALU_DEP_1)
	v_mul_f64_e32 v[30:31], v[30:31], v[34:35]
	v_add_f64_e32 v[32:33], v[36:37], v[30:31]
	s_delay_alu instid0(VALU_DEP_1) | instskip(NEXT) | instid1(VALU_DEP_1)
	v_add_f64_e64 v[34:35], v[32:33], -v[36:37]
	v_add_f64_e64 v[30:31], v[30:31], -v[34:35]
	s_delay_alu instid0(VALU_DEP_1) | instskip(NEXT) | instid1(VALU_DEP_1)
	v_add_f64_e32 v[28:29], v[28:29], v[30:31]
	v_add_f64_e32 v[30:31], v[32:33], v[28:29]
	s_delay_alu instid0(VALU_DEP_1) | instskip(NEXT) | instid1(VALU_DEP_1)
	v_add_f64_e64 v[32:33], v[30:31], -v[32:33]
	v_add_f64_e64 v[28:29], v[28:29], -v[32:33]
	v_cvt_f64_i32_e32 v[32:33], v42
	s_delay_alu instid0(VALU_DEP_1) | instskip(NEXT) | instid1(VALU_DEP_1)
	v_mul_f64_e32 v[34:35], s[34:35], v[32:33]
	v_fma_f64 v[36:37], v[32:33], s[34:35], -v[34:35]
	s_delay_alu instid0(VALU_DEP_1) | instskip(NEXT) | instid1(VALU_DEP_1)
	v_fma_f64 v[32:33], v[32:33], s[36:37], v[36:37]
	v_add_f64_e32 v[36:37], v[34:35], v[32:33]
	s_delay_alu instid0(VALU_DEP_1) | instskip(NEXT) | instid1(VALU_DEP_1)
	v_add_f64_e64 v[34:35], v[36:37], -v[34:35]
	v_add_f64_e64 v[32:33], v[32:33], -v[34:35]
	v_mul_f64_e32 v[34:35], s[28:29], v[30:31]
	s_delay_alu instid0(VALU_DEP_1) | instskip(NEXT) | instid1(VALU_DEP_1)
	v_fma_f64 v[38:39], v[30:31], s[28:29], -v[34:35]
	v_fma_f64 v[28:29], v[28:29], s[28:29], v[38:39]
	s_delay_alu instid0(VALU_DEP_1) | instskip(NEXT) | instid1(VALU_DEP_1)
	v_fma_f64 v[28:29], v[30:31], s[30:31], v[28:29]
	v_add_f64_e32 v[30:31], v[34:35], v[28:29]
	s_delay_alu instid0(VALU_DEP_1) | instskip(NEXT) | instid1(VALU_DEP_1)
	v_add_f64_e64 v[34:35], v[30:31], -v[34:35]
	v_add_f64_e64 v[28:29], v[28:29], -v[34:35]
	v_add_f64_e32 v[34:35], v[36:37], v[30:31]
	s_delay_alu instid0(VALU_DEP_1) | instskip(NEXT) | instid1(VALU_DEP_1)
	v_add_f64_e64 v[38:39], v[34:35], -v[36:37]
	v_add_f64_e64 v[40:41], v[34:35], -v[38:39]
	;; [unrolled: 1-line block ×3, first 2 shown]
	s_delay_alu instid0(VALU_DEP_2) | instskip(NEXT) | instid1(VALU_DEP_1)
	v_add_f64_e64 v[36:37], v[36:37], -v[40:41]
	v_add_f64_e32 v[30:31], v[30:31], v[36:37]
	v_add_f64_e32 v[36:37], v[32:33], v[28:29]
	s_delay_alu instid0(VALU_DEP_1) | instskip(NEXT) | instid1(VALU_DEP_3)
	v_add_f64_e64 v[38:39], v[36:37], -v[32:33]
	v_add_f64_e32 v[30:31], v[36:37], v[30:31]
	s_delay_alu instid0(VALU_DEP_2) | instskip(SKIP_1) | instid1(VALU_DEP_2)
	v_add_f64_e64 v[40:41], v[36:37], -v[38:39]
	v_add_f64_e64 v[28:29], v[28:29], -v[38:39]
	;; [unrolled: 1-line block ×3, first 2 shown]
	s_delay_alu instid0(VALU_DEP_1) | instskip(SKIP_1) | instid1(VALU_DEP_1)
	v_add_f64_e32 v[28:29], v[28:29], v[32:33]
	v_add_f64_e32 v[32:33], v[34:35], v[30:31]
	v_add_f64_e64 v[34:35], v[32:33], -v[34:35]
	s_delay_alu instid0(VALU_DEP_1) | instskip(NEXT) | instid1(VALU_DEP_1)
	v_add_f64_e64 v[30:31], v[30:31], -v[34:35]
	v_add_f64_e32 v[28:29], v[28:29], v[30:31]
	s_delay_alu instid0(VALU_DEP_1) | instskip(SKIP_1) | instid1(VALU_DEP_1)
	v_add_f64_e32 v[28:29], v[32:33], v[28:29]
	s_wait_alu 0xfffd
	v_cndmask_b32_e32 v27, 0x7ff00000, v29, vcc_lo
	s_delay_alu instid0(VALU_DEP_2) | instskip(NEXT) | instid1(VALU_DEP_1)
	v_cndmask_b32_e32 v26, 0, v28, vcc_lo
	v_fma_f64 v[30:31], v[26:27], s[72:73], s[70:71]
	v_fma_f64 v[28:29], v[26:27], s[62:63], 0x3fe80000
	s_delay_alu instid0(VALU_DEP_2) | instskip(NEXT) | instid1(VALU_DEP_1)
	v_add_f64_e64 v[24:25], v[24:25], -v[30:31]
	v_fma_f64 v[28:29], v[24:25], s[76:77], v[28:29]
	s_delay_alu instid0(VALU_DEP_1) | instskip(NEXT) | instid1(VALU_DEP_1)
	v_div_scale_f64 v[30:31], null, v[28:29], v[28:29], 1.0
	v_rcp_f64_e32 v[32:33], v[30:31]
	s_delay_alu instid0(TRANS32_DEP_1) | instskip(NEXT) | instid1(VALU_DEP_1)
	v_fma_f64 v[34:35], -v[30:31], v[32:33], 1.0
	v_fma_f64 v[32:33], v[32:33], v[34:35], v[32:33]
	s_delay_alu instid0(VALU_DEP_1) | instskip(NEXT) | instid1(VALU_DEP_1)
	v_fma_f64 v[34:35], -v[30:31], v[32:33], 1.0
	v_fma_f64 v[32:33], v[32:33], v[34:35], v[32:33]
	v_div_scale_f64 v[34:35], vcc_lo, 1.0, v[28:29], 1.0
	s_delay_alu instid0(VALU_DEP_1) | instskip(NEXT) | instid1(VALU_DEP_1)
	v_mul_f64_e32 v[36:37], v[34:35], v[32:33]
	v_fma_f64 v[30:31], -v[30:31], v[36:37], v[34:35]
	s_wait_alu 0xfffd
	s_delay_alu instid0(VALU_DEP_1) | instskip(NEXT) | instid1(VALU_DEP_1)
	v_div_fmas_f64 v[30:31], v[30:31], v[32:33], v[36:37]
	v_div_fixup_f64 v[28:29], v[30:31], v[28:29], 1.0
	s_delay_alu instid0(VALU_DEP_1) | instskip(NEXT) | instid1(VALU_DEP_1)
	v_mul_f64_e32 v[24:25], v[24:25], v[28:29]
	v_fma_f64 v[24:25], v[24:25], v[24:25], 1.0
	s_delay_alu instid0(VALU_DEP_1) | instskip(NEXT) | instid1(VALU_DEP_1)
	v_div_scale_f64 v[28:29], null, v[24:25], v[24:25], 1.0
	v_rcp_f64_e32 v[30:31], v[28:29]
	s_delay_alu instid0(TRANS32_DEP_1) | instskip(NEXT) | instid1(VALU_DEP_1)
	v_fma_f64 v[32:33], -v[28:29], v[30:31], 1.0
	v_fma_f64 v[30:31], v[30:31], v[32:33], v[30:31]
	s_delay_alu instid0(VALU_DEP_1) | instskip(NEXT) | instid1(VALU_DEP_1)
	v_fma_f64 v[32:33], -v[28:29], v[30:31], 1.0
	v_fma_f64 v[30:31], v[30:31], v[32:33], v[30:31]
	v_div_scale_f64 v[32:33], vcc_lo, 1.0, v[24:25], 1.0
	s_delay_alu instid0(VALU_DEP_1) | instskip(NEXT) | instid1(VALU_DEP_1)
	v_mul_f64_e32 v[34:35], v[32:33], v[30:31]
	v_fma_f64 v[28:29], -v[28:29], v[34:35], v[32:33]
	s_wait_alu 0xfffd
	s_delay_alu instid0(VALU_DEP_1) | instskip(NEXT) | instid1(VALU_DEP_1)
	v_div_fmas_f64 v[28:29], v[28:29], v[30:31], v[34:35]
	v_div_fixup_f64 v[24:25], v[28:29], v[24:25], 1.0
	s_delay_alu instid0(VALU_DEP_1) | instskip(NEXT) | instid1(VALU_DEP_1)
	v_mul_f64_e32 v[24:25], v[26:27], v[24:25]
	v_mul_f64_e32 v[26:27], s[60:61], v[24:25]
	v_cmp_nlt_f64_e32 vcc_lo, 0x40900000, v[24:25]
	v_cmp_ngt_f64_e64 s0, 0xc090cc00, v[24:25]
	s_delay_alu instid0(VALU_DEP_3) | instskip(NEXT) | instid1(VALU_DEP_1)
	v_rndne_f64_e32 v[26:27], v[26:27]
	v_fma_f64 v[28:29], v[26:27], s[66:67], v[24:25]
	s_delay_alu instid0(VALU_DEP_1) | instskip(SKIP_1) | instid1(VALU_DEP_2)
	v_fma_f64 v[28:29], v[26:27], s[64:65], v[28:29]
	v_cvt_i32_f64_e32 v26, v[26:27]
	v_mul_f64_e32 v[30:31], s[68:69], v[28:29]
	s_delay_alu instid0(VALU_DEP_1) | instskip(NEXT) | instid1(VALU_DEP_1)
	v_fma_f64 v[28:29], v[28:29], s[74:75], v[30:31]
	v_fma_f64 v[30:31], v[28:29], s[4:5], s[2:3]
	s_delay_alu instid0(VALU_DEP_1) | instskip(NEXT) | instid1(VALU_DEP_1)
	v_fma_f64 v[30:31], v[28:29], v[30:31], s[6:7]
	v_fma_f64 v[30:31], v[28:29], v[30:31], s[14:15]
	;; [unrolled: 3-line block ×5, first 2 shown]
	s_delay_alu instid0(VALU_DEP_1) | instskip(NEXT) | instid1(VALU_DEP_1)
	v_fma_f64 v[30:31], v[28:29], v[30:31], 1.0
	v_fma_f64 v[28:29], v[28:29], v[30:31], 1.0
	s_delay_alu instid0(VALU_DEP_1) | instskip(SKIP_1) | instid1(VALU_DEP_1)
	v_ldexp_f64 v[26:27], v[28:29], v26
	s_wait_alu 0xfffd
	v_cndmask_b32_e32 v27, 0x7ff00000, v27, vcc_lo
	s_and_b32 vcc_lo, s0, vcc_lo
	s_wait_alu 0xfffe
	s_delay_alu instid0(VALU_DEP_2)
	v_cndmask_b32_e32 v24, 0, v26, vcc_lo
	v_add_co_u32 v16, vcc_lo, s10, v16
	v_cndmask_b32_e64 v25, 0, v27, s0
	s_wait_alu 0xfffd
	v_add_co_ci_u32_e64 v17, null, s11, v17, vcc_lo
	v_add_co_u32 v14, vcc_lo, s12, v14
	s_delay_alu instid0(VALU_DEP_3)
	v_mul_f64_e32 v[22:23], v[22:23], v[24:25]
	s_wait_alu 0xfffd
	v_add_co_ci_u32_e64 v15, null, s13, v15, vcc_lo
	s_mov_b32 s0, 0x57a786c2
	s_mov_b32 s1, 0x3fc432ca
	v_mul_f64_e32 v[20:21], v[20:21], v[22:23]
	global_store_b64 v[18:19], v[20:21], off
	global_load_b64 v[18:19], v[16:17], off
	s_wait_loadcnt 0x0
	v_mul_f64_e32 v[18:19], v[18:19], v[22:23]
	global_load_b64 v[21:22], v[14:15], off
	v_mad_co_u64_u32 v[14:15], null, s33, 14, v[2:3]
	v_mov_b32_e32 v15, v3
	global_store_b64 v[16:17], v[18:19], off
	v_lshlrev_b64_e32 v[15:16], 3, v[14:15]
	s_delay_alu instid0(VALU_DEP_1) | instskip(SKIP_1) | instid1(VALU_DEP_2)
	v_add_co_u32 v17, vcc_lo, s8, v15
	s_wait_alu 0xfffd
	v_add_co_ci_u32_e64 v18, null, s9, v16, vcc_lo
	global_load_b64 v[19:20], v[17:18], off
	s_wait_loadcnt 0x0
	v_div_scale_f64 v[23:24], null, v[19:20], v[19:20], 1.0
	s_delay_alu instid0(VALU_DEP_1) | instskip(NEXT) | instid1(TRANS32_DEP_1)
	v_rcp_f64_e32 v[25:26], v[23:24]
	v_fma_f64 v[27:28], -v[23:24], v[25:26], 1.0
	s_delay_alu instid0(VALU_DEP_1) | instskip(NEXT) | instid1(VALU_DEP_1)
	v_fma_f64 v[25:26], v[25:26], v[27:28], v[25:26]
	v_fma_f64 v[27:28], -v[23:24], v[25:26], 1.0
	s_delay_alu instid0(VALU_DEP_1) | instskip(SKIP_1) | instid1(VALU_DEP_1)
	v_fma_f64 v[25:26], v[25:26], v[27:28], v[25:26]
	v_div_scale_f64 v[27:28], vcc_lo, 1.0, v[19:20], 1.0
	v_mul_f64_e32 v[29:30], v[27:28], v[25:26]
	s_delay_alu instid0(VALU_DEP_1) | instskip(SKIP_1) | instid1(VALU_DEP_1)
	v_fma_f64 v[23:24], -v[23:24], v[29:30], v[27:28]
	s_wait_alu 0xfffd
	v_div_fmas_f64 v[23:24], v[23:24], v[25:26], v[29:30]
	s_delay_alu instid0(VALU_DEP_1) | instskip(NEXT) | instid1(VALU_DEP_1)
	v_div_fixup_f64 v[23:24], v[23:24], v[19:20], 1.0
	v_mul_f64_e32 v[23:24], v[10:11], v[23:24]
	s_delay_alu instid0(VALU_DEP_1) | instskip(SKIP_1) | instid1(VALU_DEP_1)
	v_mul_f64_e32 v[25:26], v[21:22], v[23:24]
	v_fma_f64 v[21:22], v[21:22], v[23:24], 1.0
	v_div_scale_f64 v[23:24], null, v[21:22], v[21:22], 1.0
	s_delay_alu instid0(VALU_DEP_1) | instskip(NEXT) | instid1(TRANS32_DEP_1)
	v_rcp_f64_e32 v[27:28], v[23:24]
	v_fma_f64 v[29:30], -v[23:24], v[27:28], 1.0
	s_delay_alu instid0(VALU_DEP_1) | instskip(NEXT) | instid1(VALU_DEP_1)
	v_fma_f64 v[27:28], v[27:28], v[29:30], v[27:28]
	v_fma_f64 v[29:30], -v[23:24], v[27:28], 1.0
	s_delay_alu instid0(VALU_DEP_1) | instskip(SKIP_1) | instid1(VALU_DEP_1)
	v_fma_f64 v[27:28], v[27:28], v[29:30], v[27:28]
	v_div_scale_f64 v[29:30], vcc_lo, 1.0, v[21:22], 1.0
	v_mul_f64_e32 v[31:32], v[29:30], v[27:28]
	s_delay_alu instid0(VALU_DEP_1) | instskip(SKIP_1) | instid1(VALU_DEP_1)
	v_fma_f64 v[23:24], -v[23:24], v[31:32], v[29:30]
	s_wait_alu 0xfffd
	v_div_fmas_f64 v[23:24], v[23:24], v[27:28], v[31:32]
	s_delay_alu instid0(VALU_DEP_1) | instskip(SKIP_1) | instid1(VALU_DEP_2)
	v_div_fixup_f64 v[21:22], v[23:24], v[21:22], 1.0
	v_max_num_f64_e32 v[23:24], 0x38100000, v[25:26]
	v_mul_f64_e32 v[21:22], v[25:26], v[21:22]
	s_delay_alu instid0(VALU_DEP_2) | instskip(SKIP_1) | instid1(VALU_DEP_2)
	v_frexp_mant_f64_e32 v[25:26], v[23:24]
	v_frexp_exp_i32_f64_e32 v2, v[23:24]
	v_cmp_gt_f64_e32 vcc_lo, s[52:53], v[25:26]
	s_wait_alu 0xfffd
	v_cndmask_b32_e64 v27, 0, 1, vcc_lo
	s_delay_alu instid0(VALU_DEP_3) | instskip(SKIP_1) | instid1(VALU_DEP_3)
	v_subrev_co_ci_u32_e64 v2, null, 0, v2, vcc_lo
	v_cmp_neq_f64_e32 vcc_lo, 0x7ff00000, v[23:24]
	v_ldexp_f64 v[25:26], v[25:26], v27
	s_delay_alu instid0(VALU_DEP_1) | instskip(SKIP_1) | instid1(VALU_DEP_2)
	v_add_f64_e32 v[29:30], 1.0, v[25:26]
	v_add_f64_e32 v[27:28], -1.0, v[25:26]
	v_add_f64_e32 v[31:32], -1.0, v[29:30]
	s_delay_alu instid0(VALU_DEP_1) | instskip(SKIP_1) | instid1(TRANS32_DEP_1)
	v_add_f64_e64 v[25:26], v[25:26], -v[31:32]
	v_rcp_f64_e32 v[31:32], v[29:30]
	v_fma_f64 v[33:34], -v[29:30], v[31:32], 1.0
	s_delay_alu instid0(VALU_DEP_1) | instskip(NEXT) | instid1(VALU_DEP_1)
	v_fma_f64 v[31:32], v[33:34], v[31:32], v[31:32]
	v_fma_f64 v[33:34], -v[29:30], v[31:32], 1.0
	s_delay_alu instid0(VALU_DEP_1) | instskip(NEXT) | instid1(VALU_DEP_1)
	v_fma_f64 v[31:32], v[33:34], v[31:32], v[31:32]
	v_mul_f64_e32 v[33:34], v[27:28], v[31:32]
	s_delay_alu instid0(VALU_DEP_1) | instskip(NEXT) | instid1(VALU_DEP_1)
	v_mul_f64_e32 v[35:36], v[29:30], v[33:34]
	v_fma_f64 v[29:30], v[33:34], v[29:30], -v[35:36]
	s_delay_alu instid0(VALU_DEP_1) | instskip(NEXT) | instid1(VALU_DEP_1)
	v_fma_f64 v[25:26], v[33:34], v[25:26], v[29:30]
	v_add_f64_e32 v[29:30], v[35:36], v[25:26]
	s_delay_alu instid0(VALU_DEP_1) | instskip(SKIP_1) | instid1(VALU_DEP_2)
	v_add_f64_e64 v[37:38], v[27:28], -v[29:30]
	v_add_f64_e64 v[35:36], v[29:30], -v[35:36]
	;; [unrolled: 1-line block ×3, first 2 shown]
	s_delay_alu instid0(VALU_DEP_2) | instskip(NEXT) | instid1(VALU_DEP_2)
	v_add_f64_e64 v[25:26], v[35:36], -v[25:26]
	v_add_f64_e64 v[27:28], v[27:28], -v[29:30]
	s_delay_alu instid0(VALU_DEP_1) | instskip(NEXT) | instid1(VALU_DEP_1)
	v_add_f64_e32 v[25:26], v[25:26], v[27:28]
	v_add_f64_e32 v[25:26], v[37:38], v[25:26]
	s_delay_alu instid0(VALU_DEP_1) | instskip(NEXT) | instid1(VALU_DEP_1)
	v_mul_f64_e32 v[25:26], v[31:32], v[25:26]
	v_add_f64_e32 v[27:28], v[33:34], v[25:26]
	s_delay_alu instid0(VALU_DEP_1) | instskip(SKIP_1) | instid1(VALU_DEP_2)
	v_add_f64_e64 v[29:30], v[27:28], -v[33:34]
	v_ldexp_f64 v[33:34], v[27:28], 1
	v_add_f64_e64 v[25:26], v[25:26], -v[29:30]
	v_mul_f64_e32 v[29:30], v[27:28], v[27:28]
	s_delay_alu instid0(VALU_DEP_2) | instskip(NEXT) | instid1(VALU_DEP_2)
	v_ldexp_f64 v[25:26], v[25:26], 1
	v_fma_f64 v[31:32], v[29:30], s[40:41], s[38:39]
	v_mul_f64_e32 v[27:28], v[27:28], v[29:30]
	s_delay_alu instid0(VALU_DEP_2) | instskip(NEXT) | instid1(VALU_DEP_1)
	v_fma_f64 v[31:32], v[29:30], v[31:32], s[42:43]
	v_fma_f64 v[31:32], v[29:30], v[31:32], s[44:45]
	s_delay_alu instid0(VALU_DEP_1) | instskip(NEXT) | instid1(VALU_DEP_1)
	v_fma_f64 v[31:32], v[29:30], v[31:32], s[46:47]
	v_fma_f64 v[31:32], v[29:30], v[31:32], s[48:49]
	s_delay_alu instid0(VALU_DEP_1) | instskip(NEXT) | instid1(VALU_DEP_1)
	v_fma_f64 v[31:32], v[29:30], v[31:32], s[50:51]
	v_mul_f64_e32 v[27:28], v[27:28], v[31:32]
	s_delay_alu instid0(VALU_DEP_1) | instskip(NEXT) | instid1(VALU_DEP_1)
	v_add_f64_e32 v[29:30], v[33:34], v[27:28]
	v_add_f64_e64 v[31:32], v[29:30], -v[33:34]
	s_delay_alu instid0(VALU_DEP_1) | instskip(NEXT) | instid1(VALU_DEP_1)
	v_add_f64_e64 v[27:28], v[27:28], -v[31:32]
	v_add_f64_e32 v[25:26], v[25:26], v[27:28]
	s_delay_alu instid0(VALU_DEP_1) | instskip(NEXT) | instid1(VALU_DEP_1)
	v_add_f64_e32 v[27:28], v[29:30], v[25:26]
	v_add_f64_e64 v[29:30], v[27:28], -v[29:30]
	s_delay_alu instid0(VALU_DEP_1) | instskip(SKIP_1) | instid1(VALU_DEP_1)
	v_add_f64_e64 v[25:26], v[25:26], -v[29:30]
	v_cvt_f64_i32_e32 v[29:30], v2
	v_mul_f64_e32 v[31:32], s[34:35], v[29:30]
	s_delay_alu instid0(VALU_DEP_1) | instskip(NEXT) | instid1(VALU_DEP_1)
	v_fma_f64 v[33:34], v[29:30], s[34:35], -v[31:32]
	v_fma_f64 v[29:30], v[29:30], s[36:37], v[33:34]
	s_delay_alu instid0(VALU_DEP_1) | instskip(NEXT) | instid1(VALU_DEP_1)
	v_add_f64_e32 v[33:34], v[31:32], v[29:30]
	v_add_f64_e64 v[31:32], v[33:34], -v[31:32]
	s_delay_alu instid0(VALU_DEP_1) | instskip(SKIP_1) | instid1(VALU_DEP_1)
	v_add_f64_e64 v[29:30], v[29:30], -v[31:32]
	v_mul_f64_e32 v[31:32], s[28:29], v[27:28]
	v_fma_f64 v[35:36], v[27:28], s[28:29], -v[31:32]
	s_delay_alu instid0(VALU_DEP_1) | instskip(NEXT) | instid1(VALU_DEP_1)
	v_fma_f64 v[25:26], v[25:26], s[28:29], v[35:36]
	v_fma_f64 v[25:26], v[27:28], s[30:31], v[25:26]
	s_delay_alu instid0(VALU_DEP_1) | instskip(NEXT) | instid1(VALU_DEP_1)
	v_add_f64_e32 v[27:28], v[31:32], v[25:26]
	v_add_f64_e64 v[31:32], v[27:28], -v[31:32]
	s_delay_alu instid0(VALU_DEP_1) | instskip(SKIP_1) | instid1(VALU_DEP_1)
	v_add_f64_e64 v[25:26], v[25:26], -v[31:32]
	v_add_f64_e32 v[31:32], v[33:34], v[27:28]
	v_add_f64_e64 v[35:36], v[31:32], -v[33:34]
	s_delay_alu instid0(VALU_DEP_1) | instskip(SKIP_1) | instid1(VALU_DEP_2)
	v_add_f64_e64 v[37:38], v[31:32], -v[35:36]
	v_add_f64_e64 v[27:28], v[27:28], -v[35:36]
	;; [unrolled: 1-line block ×3, first 2 shown]
	s_delay_alu instid0(VALU_DEP_1) | instskip(SKIP_1) | instid1(VALU_DEP_1)
	v_add_f64_e32 v[27:28], v[27:28], v[33:34]
	v_add_f64_e32 v[33:34], v[29:30], v[25:26]
	v_add_f64_e64 v[35:36], v[33:34], -v[29:30]
	s_delay_alu instid0(VALU_DEP_3) | instskip(NEXT) | instid1(VALU_DEP_2)
	v_add_f64_e32 v[27:28], v[33:34], v[27:28]
	v_add_f64_e64 v[37:38], v[33:34], -v[35:36]
	v_add_f64_e64 v[25:26], v[25:26], -v[35:36]
	s_delay_alu instid0(VALU_DEP_2) | instskip(NEXT) | instid1(VALU_DEP_1)
	v_add_f64_e64 v[29:30], v[29:30], -v[37:38]
	v_add_f64_e32 v[25:26], v[25:26], v[29:30]
	v_add_f64_e32 v[29:30], v[31:32], v[27:28]
	s_delay_alu instid0(VALU_DEP_1) | instskip(NEXT) | instid1(VALU_DEP_1)
	v_add_f64_e64 v[31:32], v[29:30], -v[31:32]
	v_add_f64_e64 v[27:28], v[27:28], -v[31:32]
	s_delay_alu instid0(VALU_DEP_1) | instskip(NEXT) | instid1(VALU_DEP_1)
	v_add_f64_e32 v[25:26], v[25:26], v[27:28]
	v_add_f64_e32 v[25:26], v[29:30], v[25:26]
	s_wait_alu 0xfffd
	s_delay_alu instid0(VALU_DEP_1) | instskip(NEXT) | instid1(VALU_DEP_2)
	v_cndmask_b32_e32 v24, 0x7ff00000, v26, vcc_lo
	v_cndmask_b32_e32 v23, 0, v25, vcc_lo
	v_mul_f64_e32 v[25:26], s[80:81], v[0:1]
	s_mov_b32 s81, 0xbf50624d
	s_delay_alu instid0(VALU_DEP_1) | instskip(SKIP_1) | instid1(VALU_DEP_2)
	v_mul_f64_e32 v[27:28], s[56:57], v[25:26]
	v_cmp_nlt_f64_e32 vcc_lo, 0x40900000, v[25:26]
	v_rndne_f64_e32 v[27:28], v[27:28]
	s_delay_alu instid0(VALU_DEP_1) | instskip(SKIP_1) | instid1(VALU_DEP_2)
	v_fma_f64 v[29:30], v[27:28], s[54:55], v[25:26]
	v_cvt_i32_f64_e32 v2, v[27:28]
	v_fma_f64 v[29:30], v[27:28], s[58:59], v[29:30]
	s_delay_alu instid0(VALU_DEP_1) | instskip(NEXT) | instid1(VALU_DEP_1)
	v_fma_f64 v[31:32], v[29:30], s[4:5], s[2:3]
	v_fma_f64 v[31:32], v[29:30], v[31:32], s[6:7]
	s_delay_alu instid0(VALU_DEP_1) | instskip(NEXT) | instid1(VALU_DEP_1)
	v_fma_f64 v[31:32], v[29:30], v[31:32], s[14:15]
	;; [unrolled: 3-line block ×5, first 2 shown]
	v_fma_f64 v[31:32], v[29:30], v[31:32], 1.0
	s_delay_alu instid0(VALU_DEP_1) | instskip(NEXT) | instid1(VALU_DEP_1)
	v_fma_f64 v[29:30], v[29:30], v[31:32], 1.0
	v_ldexp_f64 v[27:28], v[29:30], v2
	s_wait_alu 0xfffe
	s_delay_alu instid0(VALU_DEP_1) | instskip(SKIP_2) | instid1(VALU_DEP_2)
	v_mul_f64_e32 v[27:28], s[0:1], v[27:28]
	v_cmp_ngt_f64_e64 s0, 0xc090cc00, v[25:26]
	s_wait_alu 0xfffd
	v_cndmask_b32_e32 v2, 0x7ff00000, v28, vcc_lo
	s_and_b32 vcc_lo, s0, vcc_lo
	s_wait_alu 0xfffe
	v_cndmask_b32_e32 v25, 0, v27, vcc_lo
	s_delay_alu instid0(VALU_DEP_2)
	v_cndmask_b32_e64 v26, 0, v2, s0
	s_mov_b32 s0, 0xd19f527d
	s_mov_b32 s1, 0xbf3d88b5
	s_wait_alu 0xfffe
	v_mul_f64_e32 v[27:28], s[0:1], v[0:1]
	s_mov_b32 s0, 0x6a161e4f
	s_mov_b32 s1, 0x3feaf34d
	s_delay_alu instid0(VALU_DEP_1) | instskip(SKIP_1) | instid1(VALU_DEP_2)
	v_mul_f64_e32 v[29:30], s[56:57], v[27:28]
	v_cmp_nlt_f64_e32 vcc_lo, 0x40900000, v[27:28]
	v_rndne_f64_e32 v[29:30], v[29:30]
	s_delay_alu instid0(VALU_DEP_1) | instskip(SKIP_1) | instid1(VALU_DEP_2)
	v_fma_f64 v[31:32], v[29:30], s[54:55], v[27:28]
	v_cvt_i32_f64_e32 v2, v[29:30]
	v_fma_f64 v[31:32], v[29:30], s[58:59], v[31:32]
	s_delay_alu instid0(VALU_DEP_1) | instskip(NEXT) | instid1(VALU_DEP_1)
	v_fma_f64 v[33:34], v[31:32], s[4:5], s[2:3]
	v_fma_f64 v[33:34], v[31:32], v[33:34], s[6:7]
	s_delay_alu instid0(VALU_DEP_1) | instskip(NEXT) | instid1(VALU_DEP_1)
	v_fma_f64 v[33:34], v[31:32], v[33:34], s[14:15]
	;; [unrolled: 3-line block ×5, first 2 shown]
	v_fma_f64 v[33:34], v[31:32], v[33:34], 1.0
	s_delay_alu instid0(VALU_DEP_1) | instskip(NEXT) | instid1(VALU_DEP_1)
	v_fma_f64 v[31:32], v[31:32], v[33:34], 1.0
	v_ldexp_f64 v[29:30], v[31:32], v2
	s_wait_alu 0xfffe
	s_delay_alu instid0(VALU_DEP_1) | instskip(SKIP_2) | instid1(VALU_DEP_2)
	v_mul_f64_e32 v[29:30], s[0:1], v[29:30]
	v_cmp_ngt_f64_e64 s0, 0xc090cc00, v[27:28]
	s_wait_alu 0xfffd
	v_cndmask_b32_e32 v2, 0x7ff00000, v30, vcc_lo
	s_and_b32 vcc_lo, s0, vcc_lo
	s_wait_alu 0xfffe
	v_cndmask_b32_e32 v27, 0, v29, vcc_lo
	s_delay_alu instid0(VALU_DEP_2) | instskip(NEXT) | instid1(VALU_DEP_1)
	v_cndmask_b32_e64 v28, 0, v2, s0
	v_add_f64_e32 v[25:26], v[25:26], v[27:28]
	v_mul_f64_e32 v[27:28], 0xc0bae200, v[12:13]
	s_delay_alu instid0(VALU_DEP_1) | instskip(SKIP_2) | instid1(VALU_DEP_3)
	v_mul_f64_e32 v[29:30], s[56:57], v[27:28]
	v_cmp_nlt_f64_e32 vcc_lo, 0x40900000, v[27:28]
	v_cmp_ngt_f64_e64 s0, 0xc090cc00, v[27:28]
	v_rndne_f64_e32 v[29:30], v[29:30]
	s_delay_alu instid0(VALU_DEP_1) | instskip(SKIP_1) | instid1(VALU_DEP_2)
	v_fma_f64 v[31:32], v[29:30], s[54:55], v[27:28]
	v_cvt_i32_f64_e32 v2, v[29:30]
	v_fma_f64 v[31:32], v[29:30], s[58:59], v[31:32]
	s_delay_alu instid0(VALU_DEP_1) | instskip(NEXT) | instid1(VALU_DEP_1)
	v_fma_f64 v[33:34], v[31:32], s[4:5], s[2:3]
	v_fma_f64 v[33:34], v[31:32], v[33:34], s[6:7]
	s_delay_alu instid0(VALU_DEP_1) | instskip(NEXT) | instid1(VALU_DEP_1)
	v_fma_f64 v[33:34], v[31:32], v[33:34], s[14:15]
	;; [unrolled: 3-line block ×5, first 2 shown]
	v_fma_f64 v[33:34], v[31:32], v[33:34], 1.0
	s_delay_alu instid0(VALU_DEP_1) | instskip(NEXT) | instid1(VALU_DEP_1)
	v_fma_f64 v[31:32], v[31:32], v[33:34], 1.0
	v_ldexp_f64 v[29:30], v[31:32], v2
	s_wait_alu 0xfffd
	s_delay_alu instid0(VALU_DEP_1) | instskip(SKIP_2) | instid1(VALU_DEP_2)
	v_cndmask_b32_e32 v2, 0x7ff00000, v30, vcc_lo
	s_and_b32 vcc_lo, s0, vcc_lo
	s_wait_alu 0xfffe
	v_cndmask_b32_e32 v27, 0, v29, vcc_lo
	s_delay_alu instid0(VALU_DEP_2) | instskip(NEXT) | instid1(VALU_DEP_1)
	v_cndmask_b32_e64 v28, 0, v2, s0
	v_add_f64_e32 v[25:26], v[27:28], v[25:26]
	s_delay_alu instid0(VALU_DEP_1) | instskip(NEXT) | instid1(VALU_DEP_1)
	v_max_num_f64_e32 v[25:26], 0x38100000, v[25:26]
	v_frexp_mant_f64_e32 v[27:28], v[25:26]
	v_frexp_exp_i32_f64_e32 v2, v[25:26]
	s_delay_alu instid0(VALU_DEP_2) | instskip(SKIP_2) | instid1(VALU_DEP_3)
	v_cmp_gt_f64_e32 vcc_lo, s[52:53], v[27:28]
	s_wait_alu 0xfffd
	v_cndmask_b32_e64 v29, 0, 1, vcc_lo
	v_subrev_co_ci_u32_e64 v2, null, 0, v2, vcc_lo
	v_cmp_neq_f64_e32 vcc_lo, 0x7ff00000, v[25:26]
	s_delay_alu instid0(VALU_DEP_3) | instskip(NEXT) | instid1(VALU_DEP_1)
	v_ldexp_f64 v[27:28], v[27:28], v29
	v_add_f64_e32 v[31:32], 1.0, v[27:28]
	v_add_f64_e32 v[29:30], -1.0, v[27:28]
	s_delay_alu instid0(VALU_DEP_2) | instskip(NEXT) | instid1(VALU_DEP_1)
	v_add_f64_e32 v[33:34], -1.0, v[31:32]
	v_add_f64_e64 v[27:28], v[27:28], -v[33:34]
	v_rcp_f64_e32 v[33:34], v[31:32]
	s_delay_alu instid0(TRANS32_DEP_1) | instskip(NEXT) | instid1(VALU_DEP_1)
	v_fma_f64 v[35:36], -v[31:32], v[33:34], 1.0
	v_fma_f64 v[33:34], v[35:36], v[33:34], v[33:34]
	s_delay_alu instid0(VALU_DEP_1) | instskip(NEXT) | instid1(VALU_DEP_1)
	v_fma_f64 v[35:36], -v[31:32], v[33:34], 1.0
	v_fma_f64 v[33:34], v[35:36], v[33:34], v[33:34]
	s_delay_alu instid0(VALU_DEP_1) | instskip(NEXT) | instid1(VALU_DEP_1)
	v_mul_f64_e32 v[35:36], v[29:30], v[33:34]
	v_mul_f64_e32 v[37:38], v[31:32], v[35:36]
	s_delay_alu instid0(VALU_DEP_1) | instskip(NEXT) | instid1(VALU_DEP_1)
	v_fma_f64 v[31:32], v[35:36], v[31:32], -v[37:38]
	v_fma_f64 v[27:28], v[35:36], v[27:28], v[31:32]
	s_delay_alu instid0(VALU_DEP_1) | instskip(NEXT) | instid1(VALU_DEP_1)
	v_add_f64_e32 v[31:32], v[37:38], v[27:28]
	v_add_f64_e64 v[39:40], v[29:30], -v[31:32]
	v_add_f64_e64 v[37:38], v[31:32], -v[37:38]
	s_delay_alu instid0(VALU_DEP_2) | instskip(NEXT) | instid1(VALU_DEP_2)
	v_add_f64_e64 v[29:30], v[29:30], -v[39:40]
	v_add_f64_e64 v[27:28], v[37:38], -v[27:28]
	s_delay_alu instid0(VALU_DEP_2) | instskip(NEXT) | instid1(VALU_DEP_1)
	v_add_f64_e64 v[29:30], v[29:30], -v[31:32]
	v_add_f64_e32 v[27:28], v[27:28], v[29:30]
	s_delay_alu instid0(VALU_DEP_1) | instskip(NEXT) | instid1(VALU_DEP_1)
	v_add_f64_e32 v[27:28], v[39:40], v[27:28]
	v_mul_f64_e32 v[27:28], v[33:34], v[27:28]
	s_delay_alu instid0(VALU_DEP_1) | instskip(NEXT) | instid1(VALU_DEP_1)
	v_add_f64_e32 v[29:30], v[35:36], v[27:28]
	v_add_f64_e64 v[31:32], v[29:30], -v[35:36]
	v_ldexp_f64 v[35:36], v[29:30], 1
	s_delay_alu instid0(VALU_DEP_2) | instskip(SKIP_1) | instid1(VALU_DEP_2)
	v_add_f64_e64 v[27:28], v[27:28], -v[31:32]
	v_mul_f64_e32 v[31:32], v[29:30], v[29:30]
	v_ldexp_f64 v[27:28], v[27:28], 1
	s_delay_alu instid0(VALU_DEP_2) | instskip(SKIP_1) | instid1(VALU_DEP_2)
	v_fma_f64 v[33:34], v[31:32], s[40:41], s[38:39]
	v_mul_f64_e32 v[29:30], v[29:30], v[31:32]
	v_fma_f64 v[33:34], v[31:32], v[33:34], s[42:43]
	s_delay_alu instid0(VALU_DEP_1) | instskip(NEXT) | instid1(VALU_DEP_1)
	v_fma_f64 v[33:34], v[31:32], v[33:34], s[44:45]
	v_fma_f64 v[33:34], v[31:32], v[33:34], s[46:47]
	s_delay_alu instid0(VALU_DEP_1) | instskip(NEXT) | instid1(VALU_DEP_1)
	v_fma_f64 v[33:34], v[31:32], v[33:34], s[48:49]
	v_fma_f64 v[33:34], v[31:32], v[33:34], s[50:51]
	s_delay_alu instid0(VALU_DEP_1) | instskip(NEXT) | instid1(VALU_DEP_1)
	v_mul_f64_e32 v[29:30], v[29:30], v[33:34]
	v_add_f64_e32 v[31:32], v[35:36], v[29:30]
	s_delay_alu instid0(VALU_DEP_1) | instskip(NEXT) | instid1(VALU_DEP_1)
	v_add_f64_e64 v[33:34], v[31:32], -v[35:36]
	v_add_f64_e64 v[29:30], v[29:30], -v[33:34]
	s_delay_alu instid0(VALU_DEP_1) | instskip(NEXT) | instid1(VALU_DEP_1)
	v_add_f64_e32 v[27:28], v[27:28], v[29:30]
	v_add_f64_e32 v[29:30], v[31:32], v[27:28]
	s_delay_alu instid0(VALU_DEP_1) | instskip(NEXT) | instid1(VALU_DEP_1)
	v_add_f64_e64 v[31:32], v[29:30], -v[31:32]
	v_add_f64_e64 v[27:28], v[27:28], -v[31:32]
	v_cvt_f64_i32_e32 v[31:32], v2
	s_delay_alu instid0(VALU_DEP_1) | instskip(NEXT) | instid1(VALU_DEP_1)
	v_mul_f64_e32 v[33:34], s[34:35], v[31:32]
	v_fma_f64 v[35:36], v[31:32], s[34:35], -v[33:34]
	s_delay_alu instid0(VALU_DEP_1) | instskip(NEXT) | instid1(VALU_DEP_1)
	v_fma_f64 v[31:32], v[31:32], s[36:37], v[35:36]
	v_add_f64_e32 v[35:36], v[33:34], v[31:32]
	s_delay_alu instid0(VALU_DEP_1) | instskip(NEXT) | instid1(VALU_DEP_1)
	v_add_f64_e64 v[33:34], v[35:36], -v[33:34]
	v_add_f64_e64 v[31:32], v[31:32], -v[33:34]
	v_mul_f64_e32 v[33:34], s[28:29], v[29:30]
	s_delay_alu instid0(VALU_DEP_1) | instskip(NEXT) | instid1(VALU_DEP_1)
	v_fma_f64 v[37:38], v[29:30], s[28:29], -v[33:34]
	v_fma_f64 v[27:28], v[27:28], s[28:29], v[37:38]
	s_delay_alu instid0(VALU_DEP_1) | instskip(NEXT) | instid1(VALU_DEP_1)
	v_fma_f64 v[27:28], v[29:30], s[30:31], v[27:28]
	v_add_f64_e32 v[29:30], v[33:34], v[27:28]
	s_delay_alu instid0(VALU_DEP_1) | instskip(NEXT) | instid1(VALU_DEP_1)
	v_add_f64_e64 v[33:34], v[29:30], -v[33:34]
	v_add_f64_e64 v[27:28], v[27:28], -v[33:34]
	v_add_f64_e32 v[33:34], v[35:36], v[29:30]
	s_delay_alu instid0(VALU_DEP_1) | instskip(NEXT) | instid1(VALU_DEP_1)
	v_add_f64_e64 v[37:38], v[33:34], -v[35:36]
	v_add_f64_e64 v[39:40], v[33:34], -v[37:38]
	;; [unrolled: 1-line block ×3, first 2 shown]
	s_delay_alu instid0(VALU_DEP_2) | instskip(NEXT) | instid1(VALU_DEP_1)
	v_add_f64_e64 v[35:36], v[35:36], -v[39:40]
	v_add_f64_e32 v[29:30], v[29:30], v[35:36]
	v_add_f64_e32 v[35:36], v[31:32], v[27:28]
	s_delay_alu instid0(VALU_DEP_1) | instskip(NEXT) | instid1(VALU_DEP_3)
	v_add_f64_e64 v[37:38], v[35:36], -v[31:32]
	v_add_f64_e32 v[29:30], v[35:36], v[29:30]
	s_delay_alu instid0(VALU_DEP_2) | instskip(SKIP_1) | instid1(VALU_DEP_2)
	v_add_f64_e64 v[39:40], v[35:36], -v[37:38]
	v_add_f64_e64 v[27:28], v[27:28], -v[37:38]
	;; [unrolled: 1-line block ×3, first 2 shown]
	s_delay_alu instid0(VALU_DEP_1) | instskip(SKIP_1) | instid1(VALU_DEP_1)
	v_add_f64_e32 v[27:28], v[27:28], v[31:32]
	v_add_f64_e32 v[31:32], v[33:34], v[29:30]
	v_add_f64_e64 v[33:34], v[31:32], -v[33:34]
	s_delay_alu instid0(VALU_DEP_1) | instskip(NEXT) | instid1(VALU_DEP_1)
	v_add_f64_e64 v[29:30], v[29:30], -v[33:34]
	v_add_f64_e32 v[27:28], v[27:28], v[29:30]
	s_delay_alu instid0(VALU_DEP_1) | instskip(SKIP_1) | instid1(VALU_DEP_1)
	v_add_f64_e32 v[27:28], v[31:32], v[27:28]
	s_wait_alu 0xfffd
	v_cndmask_b32_e32 v26, 0x7ff00000, v28, vcc_lo
	s_delay_alu instid0(VALU_DEP_2) | instskip(NEXT) | instid1(VALU_DEP_1)
	v_cndmask_b32_e32 v25, 0, v27, vcc_lo
	v_fma_f64 v[29:30], v[25:26], s[72:73], s[70:71]
	v_fma_f64 v[27:28], v[25:26], s[62:63], 0x3fe80000
	s_delay_alu instid0(VALU_DEP_2) | instskip(NEXT) | instid1(VALU_DEP_1)
	v_add_f64_e64 v[23:24], v[23:24], -v[29:30]
	v_fma_f64 v[27:28], v[23:24], s[76:77], v[27:28]
	s_delay_alu instid0(VALU_DEP_1) | instskip(NEXT) | instid1(VALU_DEP_1)
	v_div_scale_f64 v[29:30], null, v[27:28], v[27:28], 1.0
	v_rcp_f64_e32 v[31:32], v[29:30]
	s_delay_alu instid0(TRANS32_DEP_1) | instskip(NEXT) | instid1(VALU_DEP_1)
	v_fma_f64 v[33:34], -v[29:30], v[31:32], 1.0
	v_fma_f64 v[31:32], v[31:32], v[33:34], v[31:32]
	s_delay_alu instid0(VALU_DEP_1) | instskip(NEXT) | instid1(VALU_DEP_1)
	v_fma_f64 v[33:34], -v[29:30], v[31:32], 1.0
	v_fma_f64 v[31:32], v[31:32], v[33:34], v[31:32]
	v_div_scale_f64 v[33:34], vcc_lo, 1.0, v[27:28], 1.0
	s_delay_alu instid0(VALU_DEP_1) | instskip(NEXT) | instid1(VALU_DEP_1)
	v_mul_f64_e32 v[35:36], v[33:34], v[31:32]
	v_fma_f64 v[29:30], -v[29:30], v[35:36], v[33:34]
	s_wait_alu 0xfffd
	s_delay_alu instid0(VALU_DEP_1) | instskip(NEXT) | instid1(VALU_DEP_1)
	v_div_fmas_f64 v[29:30], v[29:30], v[31:32], v[35:36]
	v_div_fixup_f64 v[27:28], v[29:30], v[27:28], 1.0
	s_delay_alu instid0(VALU_DEP_1) | instskip(NEXT) | instid1(VALU_DEP_1)
	v_mul_f64_e32 v[23:24], v[23:24], v[27:28]
	v_fma_f64 v[23:24], v[23:24], v[23:24], 1.0
	s_delay_alu instid0(VALU_DEP_1) | instskip(NEXT) | instid1(VALU_DEP_1)
	v_div_scale_f64 v[27:28], null, v[23:24], v[23:24], 1.0
	v_rcp_f64_e32 v[29:30], v[27:28]
	s_delay_alu instid0(TRANS32_DEP_1) | instskip(NEXT) | instid1(VALU_DEP_1)
	v_fma_f64 v[31:32], -v[27:28], v[29:30], 1.0
	v_fma_f64 v[29:30], v[29:30], v[31:32], v[29:30]
	s_delay_alu instid0(VALU_DEP_1) | instskip(NEXT) | instid1(VALU_DEP_1)
	v_fma_f64 v[31:32], -v[27:28], v[29:30], 1.0
	v_fma_f64 v[29:30], v[29:30], v[31:32], v[29:30]
	v_div_scale_f64 v[31:32], vcc_lo, 1.0, v[23:24], 1.0
	s_delay_alu instid0(VALU_DEP_1) | instskip(NEXT) | instid1(VALU_DEP_1)
	v_mul_f64_e32 v[33:34], v[31:32], v[29:30]
	v_fma_f64 v[27:28], -v[27:28], v[33:34], v[31:32]
	s_wait_alu 0xfffd
	s_delay_alu instid0(VALU_DEP_1) | instskip(NEXT) | instid1(VALU_DEP_1)
	v_div_fmas_f64 v[27:28], v[27:28], v[29:30], v[33:34]
	v_div_fixup_f64 v[23:24], v[27:28], v[23:24], 1.0
	s_delay_alu instid0(VALU_DEP_1) | instskip(NEXT) | instid1(VALU_DEP_1)
	v_mul_f64_e32 v[23:24], v[25:26], v[23:24]
	v_mul_f64_e32 v[25:26], s[60:61], v[23:24]
	v_cmp_nlt_f64_e32 vcc_lo, 0x40900000, v[23:24]
	v_cmp_ngt_f64_e64 s0, 0xc090cc00, v[23:24]
	s_delay_alu instid0(VALU_DEP_3) | instskip(NEXT) | instid1(VALU_DEP_1)
	v_rndne_f64_e32 v[25:26], v[25:26]
	v_fma_f64 v[27:28], v[25:26], s[66:67], v[23:24]
	v_cvt_i32_f64_e32 v2, v[25:26]
	s_delay_alu instid0(VALU_DEP_2) | instskip(NEXT) | instid1(VALU_DEP_1)
	v_fma_f64 v[27:28], v[25:26], s[64:65], v[27:28]
	v_mul_f64_e32 v[29:30], s[68:69], v[27:28]
	s_delay_alu instid0(VALU_DEP_1) | instskip(NEXT) | instid1(VALU_DEP_1)
	v_fma_f64 v[27:28], v[27:28], s[74:75], v[29:30]
	v_fma_f64 v[29:30], v[27:28], s[4:5], s[2:3]
	s_delay_alu instid0(VALU_DEP_1) | instskip(NEXT) | instid1(VALU_DEP_1)
	v_fma_f64 v[29:30], v[27:28], v[29:30], s[6:7]
	v_fma_f64 v[29:30], v[27:28], v[29:30], s[14:15]
	s_delay_alu instid0(VALU_DEP_1) | instskip(NEXT) | instid1(VALU_DEP_1)
	v_fma_f64 v[29:30], v[27:28], v[29:30], s[16:17]
	v_fma_f64 v[29:30], v[27:28], v[29:30], s[18:19]
	s_delay_alu instid0(VALU_DEP_1) | instskip(NEXT) | instid1(VALU_DEP_1)
	v_fma_f64 v[29:30], v[27:28], v[29:30], s[20:21]
	v_fma_f64 v[29:30], v[27:28], v[29:30], s[22:23]
	s_delay_alu instid0(VALU_DEP_1) | instskip(NEXT) | instid1(VALU_DEP_1)
	v_fma_f64 v[29:30], v[27:28], v[29:30], s[24:25]
	v_fma_f64 v[29:30], v[27:28], v[29:30], s[26:27]
	s_delay_alu instid0(VALU_DEP_1) | instskip(NEXT) | instid1(VALU_DEP_1)
	v_fma_f64 v[29:30], v[27:28], v[29:30], 1.0
	v_fma_f64 v[27:28], v[27:28], v[29:30], 1.0
	s_delay_alu instid0(VALU_DEP_1) | instskip(SKIP_1) | instid1(VALU_DEP_1)
	v_ldexp_f64 v[25:26], v[27:28], v2
	s_wait_alu 0xfffd
	v_cndmask_b32_e32 v2, 0x7ff00000, v26, vcc_lo
	s_and_b32 vcc_lo, s0, vcc_lo
	s_wait_alu 0xfffe
	s_delay_alu instid0(VALU_DEP_2)
	v_cndmask_b32_e32 v23, 0, v25, vcc_lo
	v_add_co_u32 v15, vcc_lo, s10, v15
	v_cndmask_b32_e64 v24, 0, v2, s0
	s_wait_alu 0xfffd
	v_add_co_ci_u32_e64 v16, null, s11, v16, vcc_lo
	v_add_co_u32 v8, vcc_lo, s12, v8
	s_delay_alu instid0(VALU_DEP_3)
	v_mul_f64_e32 v[21:22], v[21:22], v[23:24]
	s_wait_alu 0xfffd
	v_add_co_ci_u32_e64 v9, null, s13, v9, vcc_lo
	s_mov_b32 s0, 0xd2922395
	s_mov_b32 s1, 0xbf4de1a6
	v_mul_f64_e32 v[19:20], v[19:20], v[21:22]
	global_store_b64 v[17:18], v[19:20], off
	global_load_b64 v[17:18], v[15:16], off
	s_wait_loadcnt 0x0
	v_mul_f64_e32 v[17:18], v[17:18], v[21:22]
	global_load_b64 v[20:21], v[8:9], off
	v_mad_co_u64_u32 v[8:9], null, s33, 15, v[14:15]
	v_mov_b32_e32 v9, v3
	global_store_b64 v[15:16], v[17:18], off
	v_lshlrev_b64_e32 v[14:15], 3, v[8:9]
	s_delay_alu instid0(VALU_DEP_1) | instskip(SKIP_1) | instid1(VALU_DEP_2)
	v_add_co_u32 v16, vcc_lo, s8, v14
	s_wait_alu 0xfffd
	v_add_co_ci_u32_e64 v17, null, s9, v15, vcc_lo
	global_load_b64 v[18:19], v[16:17], off
	s_wait_loadcnt 0x0
	v_div_scale_f64 v[22:23], null, v[18:19], v[18:19], 1.0
	s_delay_alu instid0(VALU_DEP_1) | instskip(NEXT) | instid1(TRANS32_DEP_1)
	v_rcp_f64_e32 v[24:25], v[22:23]
	v_fma_f64 v[26:27], -v[22:23], v[24:25], 1.0
	s_delay_alu instid0(VALU_DEP_1) | instskip(NEXT) | instid1(VALU_DEP_1)
	v_fma_f64 v[24:25], v[24:25], v[26:27], v[24:25]
	v_fma_f64 v[26:27], -v[22:23], v[24:25], 1.0
	s_delay_alu instid0(VALU_DEP_1) | instskip(SKIP_1) | instid1(VALU_DEP_1)
	v_fma_f64 v[24:25], v[24:25], v[26:27], v[24:25]
	v_div_scale_f64 v[26:27], vcc_lo, 1.0, v[18:19], 1.0
	v_mul_f64_e32 v[28:29], v[26:27], v[24:25]
	s_delay_alu instid0(VALU_DEP_1) | instskip(SKIP_1) | instid1(VALU_DEP_1)
	v_fma_f64 v[22:23], -v[22:23], v[28:29], v[26:27]
	s_wait_alu 0xfffd
	v_div_fmas_f64 v[22:23], v[22:23], v[24:25], v[28:29]
	s_delay_alu instid0(VALU_DEP_1) | instskip(NEXT) | instid1(VALU_DEP_1)
	v_div_fixup_f64 v[22:23], v[22:23], v[18:19], 1.0
	v_mul_f64_e32 v[9:10], v[10:11], v[22:23]
	s_delay_alu instid0(VALU_DEP_1) | instskip(SKIP_1) | instid1(VALU_DEP_1)
	v_mul_f64_e32 v[22:23], v[20:21], v[9:10]
	v_fma_f64 v[9:10], v[20:21], v[9:10], 1.0
	v_div_scale_f64 v[20:21], null, v[9:10], v[9:10], 1.0
	s_delay_alu instid0(VALU_DEP_1) | instskip(NEXT) | instid1(TRANS32_DEP_1)
	v_rcp_f64_e32 v[24:25], v[20:21]
	v_fma_f64 v[26:27], -v[20:21], v[24:25], 1.0
	s_delay_alu instid0(VALU_DEP_1) | instskip(NEXT) | instid1(VALU_DEP_1)
	v_fma_f64 v[24:25], v[24:25], v[26:27], v[24:25]
	v_fma_f64 v[26:27], -v[20:21], v[24:25], 1.0
	s_delay_alu instid0(VALU_DEP_1) | instskip(SKIP_1) | instid1(VALU_DEP_1)
	v_fma_f64 v[24:25], v[24:25], v[26:27], v[24:25]
	v_div_scale_f64 v[26:27], vcc_lo, 1.0, v[9:10], 1.0
	v_mul_f64_e32 v[28:29], v[26:27], v[24:25]
	s_delay_alu instid0(VALU_DEP_1) | instskip(SKIP_1) | instid1(VALU_DEP_1)
	v_fma_f64 v[20:21], -v[20:21], v[28:29], v[26:27]
	s_wait_alu 0xfffd
	v_div_fmas_f64 v[20:21], v[20:21], v[24:25], v[28:29]
	s_delay_alu instid0(VALU_DEP_1) | instskip(SKIP_1) | instid1(VALU_DEP_2)
	v_div_fixup_f64 v[9:10], v[20:21], v[9:10], 1.0
	v_max_num_f64_e32 v[20:21], 0x38100000, v[22:23]
	v_mul_f64_e32 v[9:10], v[22:23], v[9:10]
	s_delay_alu instid0(VALU_DEP_2) | instskip(SKIP_1) | instid1(VALU_DEP_2)
	v_frexp_mant_f64_e32 v[22:23], v[20:21]
	v_frexp_exp_i32_f64_e32 v2, v[20:21]
	v_cmp_gt_f64_e32 vcc_lo, s[52:53], v[22:23]
	s_wait_alu 0xfffd
	v_cndmask_b32_e64 v11, 0, 1, vcc_lo
	s_delay_alu instid0(VALU_DEP_3) | instskip(SKIP_1) | instid1(VALU_DEP_3)
	v_subrev_co_ci_u32_e64 v2, null, 0, v2, vcc_lo
	v_cmp_neq_f64_e32 vcc_lo, 0x7ff00000, v[20:21]
	v_ldexp_f64 v[22:23], v[22:23], v11
	s_delay_alu instid0(VALU_DEP_1) | instskip(SKIP_1) | instid1(VALU_DEP_2)
	v_add_f64_e32 v[26:27], 1.0, v[22:23]
	v_add_f64_e32 v[24:25], -1.0, v[22:23]
	v_add_f64_e32 v[28:29], -1.0, v[26:27]
	s_delay_alu instid0(VALU_DEP_1) | instskip(SKIP_1) | instid1(TRANS32_DEP_1)
	v_add_f64_e64 v[22:23], v[22:23], -v[28:29]
	v_rcp_f64_e32 v[28:29], v[26:27]
	v_fma_f64 v[30:31], -v[26:27], v[28:29], 1.0
	s_delay_alu instid0(VALU_DEP_1) | instskip(NEXT) | instid1(VALU_DEP_1)
	v_fma_f64 v[28:29], v[30:31], v[28:29], v[28:29]
	v_fma_f64 v[30:31], -v[26:27], v[28:29], 1.0
	s_delay_alu instid0(VALU_DEP_1) | instskip(NEXT) | instid1(VALU_DEP_1)
	v_fma_f64 v[28:29], v[30:31], v[28:29], v[28:29]
	v_mul_f64_e32 v[30:31], v[24:25], v[28:29]
	s_delay_alu instid0(VALU_DEP_1) | instskip(NEXT) | instid1(VALU_DEP_1)
	v_mul_f64_e32 v[32:33], v[26:27], v[30:31]
	v_fma_f64 v[26:27], v[30:31], v[26:27], -v[32:33]
	s_delay_alu instid0(VALU_DEP_1) | instskip(NEXT) | instid1(VALU_DEP_1)
	v_fma_f64 v[22:23], v[30:31], v[22:23], v[26:27]
	v_add_f64_e32 v[26:27], v[32:33], v[22:23]
	s_delay_alu instid0(VALU_DEP_1) | instskip(SKIP_1) | instid1(VALU_DEP_2)
	v_add_f64_e64 v[34:35], v[24:25], -v[26:27]
	v_add_f64_e64 v[32:33], v[26:27], -v[32:33]
	v_add_f64_e64 v[24:25], v[24:25], -v[34:35]
	s_delay_alu instid0(VALU_DEP_2) | instskip(NEXT) | instid1(VALU_DEP_2)
	v_add_f64_e64 v[22:23], v[32:33], -v[22:23]
	v_add_f64_e64 v[24:25], v[24:25], -v[26:27]
	s_delay_alu instid0(VALU_DEP_1) | instskip(NEXT) | instid1(VALU_DEP_1)
	v_add_f64_e32 v[22:23], v[22:23], v[24:25]
	v_add_f64_e32 v[22:23], v[34:35], v[22:23]
	s_delay_alu instid0(VALU_DEP_1) | instskip(NEXT) | instid1(VALU_DEP_1)
	v_mul_f64_e32 v[22:23], v[28:29], v[22:23]
	v_add_f64_e32 v[24:25], v[30:31], v[22:23]
	s_delay_alu instid0(VALU_DEP_1) | instskip(SKIP_1) | instid1(VALU_DEP_2)
	v_add_f64_e64 v[26:27], v[24:25], -v[30:31]
	v_ldexp_f64 v[30:31], v[24:25], 1
	v_add_f64_e64 v[22:23], v[22:23], -v[26:27]
	v_mul_f64_e32 v[26:27], v[24:25], v[24:25]
	s_delay_alu instid0(VALU_DEP_2) | instskip(NEXT) | instid1(VALU_DEP_2)
	v_ldexp_f64 v[22:23], v[22:23], 1
	v_fma_f64 v[28:29], v[26:27], s[40:41], s[38:39]
	v_mul_f64_e32 v[24:25], v[24:25], v[26:27]
	s_delay_alu instid0(VALU_DEP_2) | instskip(NEXT) | instid1(VALU_DEP_1)
	v_fma_f64 v[28:29], v[26:27], v[28:29], s[42:43]
	v_fma_f64 v[28:29], v[26:27], v[28:29], s[44:45]
	s_delay_alu instid0(VALU_DEP_1) | instskip(NEXT) | instid1(VALU_DEP_1)
	v_fma_f64 v[28:29], v[26:27], v[28:29], s[46:47]
	v_fma_f64 v[28:29], v[26:27], v[28:29], s[48:49]
	s_delay_alu instid0(VALU_DEP_1) | instskip(NEXT) | instid1(VALU_DEP_1)
	v_fma_f64 v[28:29], v[26:27], v[28:29], s[50:51]
	v_mul_f64_e32 v[24:25], v[24:25], v[28:29]
	s_delay_alu instid0(VALU_DEP_1) | instskip(NEXT) | instid1(VALU_DEP_1)
	v_add_f64_e32 v[26:27], v[30:31], v[24:25]
	v_add_f64_e64 v[28:29], v[26:27], -v[30:31]
	s_delay_alu instid0(VALU_DEP_1) | instskip(NEXT) | instid1(VALU_DEP_1)
	v_add_f64_e64 v[24:25], v[24:25], -v[28:29]
	v_add_f64_e32 v[22:23], v[22:23], v[24:25]
	s_delay_alu instid0(VALU_DEP_1) | instskip(NEXT) | instid1(VALU_DEP_1)
	v_add_f64_e32 v[24:25], v[26:27], v[22:23]
	v_add_f64_e64 v[26:27], v[24:25], -v[26:27]
	s_delay_alu instid0(VALU_DEP_1) | instskip(SKIP_1) | instid1(VALU_DEP_1)
	v_add_f64_e64 v[22:23], v[22:23], -v[26:27]
	v_cvt_f64_i32_e32 v[26:27], v2
	v_mul_f64_e32 v[28:29], s[34:35], v[26:27]
	s_delay_alu instid0(VALU_DEP_1) | instskip(NEXT) | instid1(VALU_DEP_1)
	v_fma_f64 v[30:31], v[26:27], s[34:35], -v[28:29]
	v_fma_f64 v[26:27], v[26:27], s[36:37], v[30:31]
	s_delay_alu instid0(VALU_DEP_1) | instskip(NEXT) | instid1(VALU_DEP_1)
	v_add_f64_e32 v[30:31], v[28:29], v[26:27]
	v_add_f64_e64 v[28:29], v[30:31], -v[28:29]
	s_delay_alu instid0(VALU_DEP_1) | instskip(SKIP_1) | instid1(VALU_DEP_1)
	v_add_f64_e64 v[26:27], v[26:27], -v[28:29]
	v_mul_f64_e32 v[28:29], s[28:29], v[24:25]
	v_fma_f64 v[32:33], v[24:25], s[28:29], -v[28:29]
	s_delay_alu instid0(VALU_DEP_1) | instskip(NEXT) | instid1(VALU_DEP_1)
	v_fma_f64 v[22:23], v[22:23], s[28:29], v[32:33]
	v_fma_f64 v[22:23], v[24:25], s[30:31], v[22:23]
	s_delay_alu instid0(VALU_DEP_1) | instskip(NEXT) | instid1(VALU_DEP_1)
	v_add_f64_e32 v[24:25], v[28:29], v[22:23]
	v_add_f64_e64 v[28:29], v[24:25], -v[28:29]
	s_delay_alu instid0(VALU_DEP_1) | instskip(SKIP_1) | instid1(VALU_DEP_1)
	v_add_f64_e64 v[22:23], v[22:23], -v[28:29]
	v_add_f64_e32 v[28:29], v[30:31], v[24:25]
	v_add_f64_e64 v[32:33], v[28:29], -v[30:31]
	s_delay_alu instid0(VALU_DEP_1) | instskip(SKIP_1) | instid1(VALU_DEP_2)
	v_add_f64_e64 v[34:35], v[28:29], -v[32:33]
	v_add_f64_e64 v[24:25], v[24:25], -v[32:33]
	;; [unrolled: 1-line block ×3, first 2 shown]
	s_delay_alu instid0(VALU_DEP_1) | instskip(SKIP_1) | instid1(VALU_DEP_1)
	v_add_f64_e32 v[24:25], v[24:25], v[30:31]
	v_add_f64_e32 v[30:31], v[26:27], v[22:23]
	v_add_f64_e64 v[32:33], v[30:31], -v[26:27]
	s_delay_alu instid0(VALU_DEP_3) | instskip(NEXT) | instid1(VALU_DEP_2)
	v_add_f64_e32 v[24:25], v[30:31], v[24:25]
	v_add_f64_e64 v[34:35], v[30:31], -v[32:33]
	v_add_f64_e64 v[22:23], v[22:23], -v[32:33]
	s_delay_alu instid0(VALU_DEP_2) | instskip(NEXT) | instid1(VALU_DEP_1)
	v_add_f64_e64 v[26:27], v[26:27], -v[34:35]
	v_add_f64_e32 v[22:23], v[22:23], v[26:27]
	v_add_f64_e32 v[26:27], v[28:29], v[24:25]
	s_delay_alu instid0(VALU_DEP_1) | instskip(NEXT) | instid1(VALU_DEP_1)
	v_add_f64_e64 v[28:29], v[26:27], -v[28:29]
	v_add_f64_e64 v[24:25], v[24:25], -v[28:29]
	s_delay_alu instid0(VALU_DEP_1) | instskip(NEXT) | instid1(VALU_DEP_1)
	v_add_f64_e32 v[22:23], v[22:23], v[24:25]
	v_add_f64_e32 v[22:23], v[26:27], v[22:23]
	s_wait_alu 0xfffd
	s_delay_alu instid0(VALU_DEP_1) | instskip(NEXT) | instid1(VALU_DEP_2)
	v_cndmask_b32_e32 v21, 0x7ff00000, v23, vcc_lo
	v_cndmask_b32_e32 v20, 0, v22, vcc_lo
	s_wait_alu 0xfffe
	v_mul_f64_e32 v[22:23], s[0:1], v[0:1]
	s_delay_alu instid0(VALU_DEP_1) | instskip(SKIP_2) | instid1(VALU_DEP_3)
	v_mul_f64_e32 v[24:25], s[56:57], v[22:23]
	v_cmp_nlt_f64_e32 vcc_lo, 0x40900000, v[22:23]
	v_cmp_ngt_f64_e64 s0, 0xc090cc00, v[22:23]
	v_rndne_f64_e32 v[24:25], v[24:25]
	s_delay_alu instid0(VALU_DEP_1) | instskip(SKIP_1) | instid1(VALU_DEP_2)
	v_fma_f64 v[26:27], v[24:25], s[54:55], v[22:23]
	v_cvt_i32_f64_e32 v2, v[24:25]
	v_fma_f64 v[26:27], v[24:25], s[58:59], v[26:27]
	s_delay_alu instid0(VALU_DEP_1) | instskip(NEXT) | instid1(VALU_DEP_1)
	v_fma_f64 v[28:29], v[26:27], s[4:5], s[2:3]
	v_fma_f64 v[28:29], v[26:27], v[28:29], s[6:7]
	s_delay_alu instid0(VALU_DEP_1) | instskip(NEXT) | instid1(VALU_DEP_1)
	v_fma_f64 v[28:29], v[26:27], v[28:29], s[14:15]
	;; [unrolled: 3-line block ×5, first 2 shown]
	v_fma_f64 v[28:29], v[26:27], v[28:29], 1.0
	s_delay_alu instid0(VALU_DEP_1) | instskip(NEXT) | instid1(VALU_DEP_1)
	v_fma_f64 v[26:27], v[26:27], v[28:29], 1.0
	v_ldexp_f64 v[24:25], v[26:27], v2
	s_wait_alu 0xfffd
	s_delay_alu instid0(VALU_DEP_1) | instskip(SKIP_2) | instid1(VALU_DEP_2)
	v_cndmask_b32_e32 v2, 0x7ff00000, v25, vcc_lo
	s_and_b32 vcc_lo, s0, vcc_lo
	s_wait_alu 0xfffe
	v_cndmask_b32_e32 v22, 0, v24, vcc_lo
	s_delay_alu instid0(VALU_DEP_2) | instskip(SKIP_2) | instid1(VALU_DEP_1)
	v_cndmask_b32_e64 v23, 0, v2, s0
	s_mov_b32 s0, 0xf5c28f5c
	s_mov_b32 s1, 0x3fef5c28
	v_mul_f64_e32 v[24:25], s[78:79], v[22:23]
	s_wait_alu 0xfffe
	s_delay_alu instid0(VALU_DEP_1) | instskip(SKIP_2) | instid1(VALU_DEP_2)
	v_fma_f64 v[22:23], v[22:23], s[0:1], v[24:25]
	v_mul_f64_e32 v[24:25], 0xc0bacb80, v[12:13]
	v_mul_f64_e32 v[12:13], 0xc0e77c20, v[12:13]
	;; [unrolled: 1-line block ×3, first 2 shown]
	v_cmp_nlt_f64_e32 vcc_lo, 0x40900000, v[24:25]
	v_cmp_ngt_f64_e64 s0, 0xc090cc00, v[24:25]
	s_delay_alu instid0(VALU_DEP_3) | instskip(NEXT) | instid1(VALU_DEP_1)
	v_rndne_f64_e32 v[26:27], v[26:27]
	v_fma_f64 v[28:29], v[26:27], s[54:55], v[24:25]
	v_cvt_i32_f64_e32 v2, v[26:27]
	s_delay_alu instid0(VALU_DEP_2) | instskip(NEXT) | instid1(VALU_DEP_1)
	v_fma_f64 v[28:29], v[26:27], s[58:59], v[28:29]
	v_fma_f64 v[30:31], v[28:29], s[4:5], s[2:3]
	s_delay_alu instid0(VALU_DEP_1) | instskip(NEXT) | instid1(VALU_DEP_1)
	v_fma_f64 v[30:31], v[28:29], v[30:31], s[6:7]
	v_fma_f64 v[30:31], v[28:29], v[30:31], s[14:15]
	s_delay_alu instid0(VALU_DEP_1) | instskip(NEXT) | instid1(VALU_DEP_1)
	;; [unrolled: 3-line block ×5, first 2 shown]
	v_fma_f64 v[30:31], v[28:29], v[30:31], 1.0
	v_fma_f64 v[28:29], v[28:29], v[30:31], 1.0
	s_delay_alu instid0(VALU_DEP_1) | instskip(SKIP_1) | instid1(VALU_DEP_1)
	v_ldexp_f64 v[26:27], v[28:29], v2
	s_wait_alu 0xfffd
	v_cndmask_b32_e32 v2, 0x7ff00000, v27, vcc_lo
	s_and_b32 vcc_lo, s0, vcc_lo
	s_wait_alu 0xfffe
	s_delay_alu instid0(VALU_DEP_2) | instskip(NEXT) | instid1(VALU_DEP_2)
	v_cndmask_b32_e32 v24, 0, v26, vcc_lo
	v_cndmask_b32_e64 v25, 0, v2, s0
	s_delay_alu instid0(VALU_DEP_1) | instskip(NEXT) | instid1(VALU_DEP_1)
	v_add_f64_e32 v[22:23], v[24:25], v[22:23]
	v_max_num_f64_e32 v[22:23], 0x38100000, v[22:23]
	s_delay_alu instid0(VALU_DEP_1) | instskip(SKIP_1) | instid1(VALU_DEP_2)
	v_frexp_mant_f64_e32 v[24:25], v[22:23]
	v_frexp_exp_i32_f64_e32 v2, v[22:23]
	v_cmp_gt_f64_e32 vcc_lo, s[52:53], v[24:25]
	s_wait_alu 0xfffd
	v_cndmask_b32_e64 v11, 0, 1, vcc_lo
	s_delay_alu instid0(VALU_DEP_3) | instskip(SKIP_1) | instid1(VALU_DEP_3)
	v_subrev_co_ci_u32_e64 v2, null, 0, v2, vcc_lo
	v_cmp_neq_f64_e32 vcc_lo, 0x7ff00000, v[22:23]
	v_ldexp_f64 v[24:25], v[24:25], v11
	s_delay_alu instid0(VALU_DEP_1) | instskip(SKIP_1) | instid1(VALU_DEP_2)
	v_add_f64_e32 v[28:29], 1.0, v[24:25]
	v_add_f64_e32 v[26:27], -1.0, v[24:25]
	v_add_f64_e32 v[30:31], -1.0, v[28:29]
	s_delay_alu instid0(VALU_DEP_1) | instskip(SKIP_1) | instid1(TRANS32_DEP_1)
	v_add_f64_e64 v[24:25], v[24:25], -v[30:31]
	v_rcp_f64_e32 v[30:31], v[28:29]
	v_fma_f64 v[32:33], -v[28:29], v[30:31], 1.0
	s_delay_alu instid0(VALU_DEP_1) | instskip(NEXT) | instid1(VALU_DEP_1)
	v_fma_f64 v[30:31], v[32:33], v[30:31], v[30:31]
	v_fma_f64 v[32:33], -v[28:29], v[30:31], 1.0
	s_delay_alu instid0(VALU_DEP_1) | instskip(NEXT) | instid1(VALU_DEP_1)
	v_fma_f64 v[30:31], v[32:33], v[30:31], v[30:31]
	v_mul_f64_e32 v[32:33], v[26:27], v[30:31]
	s_delay_alu instid0(VALU_DEP_1) | instskip(NEXT) | instid1(VALU_DEP_1)
	v_mul_f64_e32 v[34:35], v[28:29], v[32:33]
	v_fma_f64 v[28:29], v[32:33], v[28:29], -v[34:35]
	s_delay_alu instid0(VALU_DEP_1) | instskip(NEXT) | instid1(VALU_DEP_1)
	v_fma_f64 v[24:25], v[32:33], v[24:25], v[28:29]
	v_add_f64_e32 v[28:29], v[34:35], v[24:25]
	s_delay_alu instid0(VALU_DEP_1) | instskip(SKIP_1) | instid1(VALU_DEP_2)
	v_add_f64_e64 v[36:37], v[26:27], -v[28:29]
	v_add_f64_e64 v[34:35], v[28:29], -v[34:35]
	;; [unrolled: 1-line block ×3, first 2 shown]
	s_delay_alu instid0(VALU_DEP_2) | instskip(NEXT) | instid1(VALU_DEP_2)
	v_add_f64_e64 v[24:25], v[34:35], -v[24:25]
	v_add_f64_e64 v[26:27], v[26:27], -v[28:29]
	s_delay_alu instid0(VALU_DEP_1) | instskip(NEXT) | instid1(VALU_DEP_1)
	v_add_f64_e32 v[24:25], v[24:25], v[26:27]
	v_add_f64_e32 v[24:25], v[36:37], v[24:25]
	s_delay_alu instid0(VALU_DEP_1) | instskip(NEXT) | instid1(VALU_DEP_1)
	v_mul_f64_e32 v[24:25], v[30:31], v[24:25]
	v_add_f64_e32 v[26:27], v[32:33], v[24:25]
	s_delay_alu instid0(VALU_DEP_1) | instskip(SKIP_1) | instid1(VALU_DEP_2)
	v_add_f64_e64 v[28:29], v[26:27], -v[32:33]
	v_ldexp_f64 v[32:33], v[26:27], 1
	v_add_f64_e64 v[24:25], v[24:25], -v[28:29]
	v_mul_f64_e32 v[28:29], v[26:27], v[26:27]
	s_delay_alu instid0(VALU_DEP_2) | instskip(NEXT) | instid1(VALU_DEP_2)
	v_ldexp_f64 v[24:25], v[24:25], 1
	v_fma_f64 v[30:31], v[28:29], s[40:41], s[38:39]
	v_mul_f64_e32 v[26:27], v[26:27], v[28:29]
	s_delay_alu instid0(VALU_DEP_2) | instskip(NEXT) | instid1(VALU_DEP_1)
	v_fma_f64 v[30:31], v[28:29], v[30:31], s[42:43]
	v_fma_f64 v[30:31], v[28:29], v[30:31], s[44:45]
	s_delay_alu instid0(VALU_DEP_1) | instskip(NEXT) | instid1(VALU_DEP_1)
	v_fma_f64 v[30:31], v[28:29], v[30:31], s[46:47]
	v_fma_f64 v[30:31], v[28:29], v[30:31], s[48:49]
	s_delay_alu instid0(VALU_DEP_1) | instskip(NEXT) | instid1(VALU_DEP_1)
	v_fma_f64 v[30:31], v[28:29], v[30:31], s[50:51]
	v_mul_f64_e32 v[26:27], v[26:27], v[30:31]
	s_delay_alu instid0(VALU_DEP_1) | instskip(NEXT) | instid1(VALU_DEP_1)
	v_add_f64_e32 v[28:29], v[32:33], v[26:27]
	v_add_f64_e64 v[30:31], v[28:29], -v[32:33]
	s_delay_alu instid0(VALU_DEP_1) | instskip(NEXT) | instid1(VALU_DEP_1)
	v_add_f64_e64 v[26:27], v[26:27], -v[30:31]
	v_add_f64_e32 v[24:25], v[24:25], v[26:27]
	s_delay_alu instid0(VALU_DEP_1) | instskip(NEXT) | instid1(VALU_DEP_1)
	v_add_f64_e32 v[26:27], v[28:29], v[24:25]
	v_add_f64_e64 v[28:29], v[26:27], -v[28:29]
	s_delay_alu instid0(VALU_DEP_1) | instskip(SKIP_1) | instid1(VALU_DEP_1)
	v_add_f64_e64 v[24:25], v[24:25], -v[28:29]
	v_cvt_f64_i32_e32 v[28:29], v2
	v_mul_f64_e32 v[30:31], s[34:35], v[28:29]
	s_delay_alu instid0(VALU_DEP_1) | instskip(NEXT) | instid1(VALU_DEP_1)
	v_fma_f64 v[32:33], v[28:29], s[34:35], -v[30:31]
	v_fma_f64 v[28:29], v[28:29], s[36:37], v[32:33]
	s_delay_alu instid0(VALU_DEP_1) | instskip(NEXT) | instid1(VALU_DEP_1)
	v_add_f64_e32 v[32:33], v[30:31], v[28:29]
	v_add_f64_e64 v[30:31], v[32:33], -v[30:31]
	s_delay_alu instid0(VALU_DEP_1) | instskip(SKIP_1) | instid1(VALU_DEP_1)
	v_add_f64_e64 v[28:29], v[28:29], -v[30:31]
	v_mul_f64_e32 v[30:31], s[28:29], v[26:27]
	v_fma_f64 v[34:35], v[26:27], s[28:29], -v[30:31]
	s_delay_alu instid0(VALU_DEP_1) | instskip(NEXT) | instid1(VALU_DEP_1)
	v_fma_f64 v[24:25], v[24:25], s[28:29], v[34:35]
	v_fma_f64 v[24:25], v[26:27], s[30:31], v[24:25]
	s_delay_alu instid0(VALU_DEP_1) | instskip(NEXT) | instid1(VALU_DEP_1)
	v_add_f64_e32 v[26:27], v[30:31], v[24:25]
	v_add_f64_e64 v[30:31], v[26:27], -v[30:31]
	s_delay_alu instid0(VALU_DEP_1) | instskip(SKIP_1) | instid1(VALU_DEP_1)
	v_add_f64_e64 v[24:25], v[24:25], -v[30:31]
	v_add_f64_e32 v[30:31], v[32:33], v[26:27]
	v_add_f64_e64 v[34:35], v[30:31], -v[32:33]
	s_delay_alu instid0(VALU_DEP_1) | instskip(SKIP_1) | instid1(VALU_DEP_2)
	v_add_f64_e64 v[36:37], v[30:31], -v[34:35]
	v_add_f64_e64 v[26:27], v[26:27], -v[34:35]
	;; [unrolled: 1-line block ×3, first 2 shown]
	s_delay_alu instid0(VALU_DEP_1) | instskip(SKIP_1) | instid1(VALU_DEP_1)
	v_add_f64_e32 v[26:27], v[26:27], v[32:33]
	v_add_f64_e32 v[32:33], v[28:29], v[24:25]
	v_add_f64_e64 v[34:35], v[32:33], -v[28:29]
	s_delay_alu instid0(VALU_DEP_3) | instskip(NEXT) | instid1(VALU_DEP_2)
	v_add_f64_e32 v[26:27], v[32:33], v[26:27]
	v_add_f64_e64 v[36:37], v[32:33], -v[34:35]
	v_add_f64_e64 v[24:25], v[24:25], -v[34:35]
	s_delay_alu instid0(VALU_DEP_2) | instskip(NEXT) | instid1(VALU_DEP_1)
	v_add_f64_e64 v[28:29], v[28:29], -v[36:37]
	v_add_f64_e32 v[24:25], v[24:25], v[28:29]
	v_add_f64_e32 v[28:29], v[30:31], v[26:27]
	s_delay_alu instid0(VALU_DEP_1) | instskip(NEXT) | instid1(VALU_DEP_1)
	v_add_f64_e64 v[30:31], v[28:29], -v[30:31]
	v_add_f64_e64 v[26:27], v[26:27], -v[30:31]
	s_delay_alu instid0(VALU_DEP_1) | instskip(NEXT) | instid1(VALU_DEP_1)
	v_add_f64_e32 v[24:25], v[24:25], v[26:27]
	v_add_f64_e32 v[24:25], v[28:29], v[24:25]
	s_wait_alu 0xfffd
	s_delay_alu instid0(VALU_DEP_1) | instskip(NEXT) | instid1(VALU_DEP_2)
	v_cndmask_b32_e32 v23, 0x7ff00000, v25, vcc_lo
	v_cndmask_b32_e32 v22, 0, v24, vcc_lo
	s_delay_alu instid0(VALU_DEP_1) | instskip(SKIP_1) | instid1(VALU_DEP_2)
	v_fma_f64 v[26:27], v[22:23], s[72:73], s[70:71]
	v_fma_f64 v[24:25], v[22:23], s[62:63], 0x3fe80000
	v_add_f64_e64 v[20:21], v[20:21], -v[26:27]
	s_delay_alu instid0(VALU_DEP_1) | instskip(NEXT) | instid1(VALU_DEP_1)
	v_fma_f64 v[24:25], v[20:21], s[76:77], v[24:25]
	v_div_scale_f64 v[26:27], null, v[24:25], v[24:25], 1.0
	s_delay_alu instid0(VALU_DEP_1) | instskip(NEXT) | instid1(TRANS32_DEP_1)
	v_rcp_f64_e32 v[28:29], v[26:27]
	v_fma_f64 v[30:31], -v[26:27], v[28:29], 1.0
	s_delay_alu instid0(VALU_DEP_1) | instskip(NEXT) | instid1(VALU_DEP_1)
	v_fma_f64 v[28:29], v[28:29], v[30:31], v[28:29]
	v_fma_f64 v[30:31], -v[26:27], v[28:29], 1.0
	s_delay_alu instid0(VALU_DEP_1) | instskip(SKIP_1) | instid1(VALU_DEP_1)
	v_fma_f64 v[28:29], v[28:29], v[30:31], v[28:29]
	v_div_scale_f64 v[30:31], vcc_lo, 1.0, v[24:25], 1.0
	v_mul_f64_e32 v[32:33], v[30:31], v[28:29]
	s_delay_alu instid0(VALU_DEP_1) | instskip(SKIP_1) | instid1(VALU_DEP_1)
	v_fma_f64 v[26:27], -v[26:27], v[32:33], v[30:31]
	s_wait_alu 0xfffd
	v_div_fmas_f64 v[26:27], v[26:27], v[28:29], v[32:33]
	s_delay_alu instid0(VALU_DEP_1) | instskip(NEXT) | instid1(VALU_DEP_1)
	v_div_fixup_f64 v[24:25], v[26:27], v[24:25], 1.0
	v_mul_f64_e32 v[20:21], v[20:21], v[24:25]
	s_delay_alu instid0(VALU_DEP_1) | instskip(NEXT) | instid1(VALU_DEP_1)
	v_fma_f64 v[20:21], v[20:21], v[20:21], 1.0
	v_div_scale_f64 v[24:25], null, v[20:21], v[20:21], 1.0
	s_delay_alu instid0(VALU_DEP_1) | instskip(NEXT) | instid1(TRANS32_DEP_1)
	v_rcp_f64_e32 v[26:27], v[24:25]
	v_fma_f64 v[28:29], -v[24:25], v[26:27], 1.0
	s_delay_alu instid0(VALU_DEP_1) | instskip(NEXT) | instid1(VALU_DEP_1)
	v_fma_f64 v[26:27], v[26:27], v[28:29], v[26:27]
	v_fma_f64 v[28:29], -v[24:25], v[26:27], 1.0
	s_delay_alu instid0(VALU_DEP_1) | instskip(SKIP_1) | instid1(VALU_DEP_1)
	v_fma_f64 v[26:27], v[26:27], v[28:29], v[26:27]
	v_div_scale_f64 v[28:29], vcc_lo, 1.0, v[20:21], 1.0
	v_mul_f64_e32 v[30:31], v[28:29], v[26:27]
	s_delay_alu instid0(VALU_DEP_1) | instskip(SKIP_1) | instid1(VALU_DEP_1)
	v_fma_f64 v[24:25], -v[24:25], v[30:31], v[28:29]
	s_wait_alu 0xfffd
	v_div_fmas_f64 v[24:25], v[24:25], v[26:27], v[30:31]
	s_delay_alu instid0(VALU_DEP_1) | instskip(NEXT) | instid1(VALU_DEP_1)
	v_div_fixup_f64 v[20:21], v[24:25], v[20:21], 1.0
	v_mul_f64_e32 v[20:21], v[22:23], v[20:21]
	s_delay_alu instid0(VALU_DEP_1) | instskip(SKIP_2) | instid1(VALU_DEP_3)
	v_mul_f64_e32 v[22:23], s[60:61], v[20:21]
	v_cmp_nlt_f64_e32 vcc_lo, 0x40900000, v[20:21]
	v_cmp_ngt_f64_e64 s0, 0xc090cc00, v[20:21]
	v_rndne_f64_e32 v[22:23], v[22:23]
	s_delay_alu instid0(VALU_DEP_1) | instskip(SKIP_1) | instid1(VALU_DEP_2)
	v_fma_f64 v[24:25], v[22:23], s[66:67], v[20:21]
	v_cvt_i32_f64_e32 v2, v[22:23]
	v_fma_f64 v[24:25], v[22:23], s[64:65], v[24:25]
	s_delay_alu instid0(VALU_DEP_1) | instskip(NEXT) | instid1(VALU_DEP_1)
	v_mul_f64_e32 v[26:27], s[68:69], v[24:25]
	v_fma_f64 v[24:25], v[24:25], s[74:75], v[26:27]
	s_delay_alu instid0(VALU_DEP_1) | instskip(NEXT) | instid1(VALU_DEP_1)
	v_fma_f64 v[26:27], v[24:25], s[4:5], s[2:3]
	v_fma_f64 v[26:27], v[24:25], v[26:27], s[6:7]
	s_delay_alu instid0(VALU_DEP_1) | instskip(NEXT) | instid1(VALU_DEP_1)
	v_fma_f64 v[26:27], v[24:25], v[26:27], s[14:15]
	;; [unrolled: 3-line block ×5, first 2 shown]
	v_fma_f64 v[26:27], v[24:25], v[26:27], 1.0
	s_delay_alu instid0(VALU_DEP_1) | instskip(NEXT) | instid1(VALU_DEP_1)
	v_fma_f64 v[24:25], v[24:25], v[26:27], 1.0
	v_ldexp_f64 v[22:23], v[24:25], v2
	s_wait_alu 0xfffd
	s_delay_alu instid0(VALU_DEP_1) | instskip(SKIP_2) | instid1(VALU_DEP_2)
	v_cndmask_b32_e32 v2, 0x7ff00000, v23, vcc_lo
	s_and_b32 vcc_lo, s0, vcc_lo
	s_wait_alu 0xfffe
	v_cndmask_b32_e32 v20, 0, v22, vcc_lo
	v_add_co_u32 v14, vcc_lo, s10, v14
	v_cndmask_b32_e64 v21, 0, v2, s0
	s_wait_alu 0xfffd
	v_add_co_ci_u32_e64 v15, null, s11, v15, vcc_lo
	v_add_nc_u32_e32 v2, s84, v8
	v_add_co_u32 v4, vcc_lo, s12, v4
	v_mul_f64_e32 v[9:10], v[9:10], v[20:21]
	s_wait_alu 0xfffd
	v_add_co_ci_u32_e64 v5, null, s13, v5, vcc_lo
	v_lshlrev_b64_e32 v[2:3], 3, v[2:3]
	s_delay_alu instid0(VALU_DEP_3)
	v_mul_f64_e32 v[18:19], v[18:19], v[9:10]
	global_store_b64 v[16:17], v[18:19], off
	global_load_b64 v[16:17], v[14:15], off
	s_wait_loadcnt 0x0
	v_mul_f64_e32 v[9:10], v[16:17], v[9:10]
	global_store_b64 v[14:15], v[9:10], off
	global_load_b64 v[10:11], v[4:5], off
	v_add_co_u32 v4, vcc_lo, s8, v2
	s_wait_alu 0xfffd
	v_add_co_ci_u32_e64 v5, null, s9, v3, vcc_lo
	global_load_b64 v[8:9], v[4:5], off
	s_wait_loadcnt 0x0
	v_div_scale_f64 v[14:15], null, v[8:9], v[8:9], 1.0
	s_delay_alu instid0(VALU_DEP_1) | instskip(NEXT) | instid1(TRANS32_DEP_1)
	v_rcp_f64_e32 v[16:17], v[14:15]
	v_fma_f64 v[18:19], -v[14:15], v[16:17], 1.0
	s_delay_alu instid0(VALU_DEP_1) | instskip(NEXT) | instid1(VALU_DEP_1)
	v_fma_f64 v[16:17], v[16:17], v[18:19], v[16:17]
	v_fma_f64 v[18:19], -v[14:15], v[16:17], 1.0
	s_delay_alu instid0(VALU_DEP_1) | instskip(SKIP_1) | instid1(VALU_DEP_1)
	v_fma_f64 v[16:17], v[16:17], v[18:19], v[16:17]
	v_div_scale_f64 v[18:19], vcc_lo, 1.0, v[8:9], 1.0
	v_mul_f64_e32 v[20:21], v[18:19], v[16:17]
	s_delay_alu instid0(VALU_DEP_1) | instskip(SKIP_1) | instid1(VALU_DEP_1)
	v_fma_f64 v[14:15], -v[14:15], v[20:21], v[18:19]
	s_wait_alu 0xfffd
	v_div_fmas_f64 v[14:15], v[14:15], v[16:17], v[20:21]
	s_delay_alu instid0(VALU_DEP_1) | instskip(NEXT) | instid1(VALU_DEP_1)
	v_div_fixup_f64 v[14:15], v[14:15], v[8:9], 1.0
	v_mul_f64_e32 v[6:7], v[6:7], v[14:15]
	s_delay_alu instid0(VALU_DEP_1) | instskip(SKIP_1) | instid1(VALU_DEP_1)
	v_mul_f64_e32 v[14:15], v[10:11], v[6:7]
	v_fma_f64 v[6:7], v[10:11], v[6:7], 1.0
	v_div_scale_f64 v[10:11], null, v[6:7], v[6:7], 1.0
	s_delay_alu instid0(VALU_DEP_1) | instskip(NEXT) | instid1(TRANS32_DEP_1)
	v_rcp_f64_e32 v[16:17], v[10:11]
	v_fma_f64 v[18:19], -v[10:11], v[16:17], 1.0
	s_delay_alu instid0(VALU_DEP_1) | instskip(NEXT) | instid1(VALU_DEP_1)
	v_fma_f64 v[16:17], v[16:17], v[18:19], v[16:17]
	v_fma_f64 v[18:19], -v[10:11], v[16:17], 1.0
	s_delay_alu instid0(VALU_DEP_1) | instskip(SKIP_1) | instid1(VALU_DEP_1)
	v_fma_f64 v[16:17], v[16:17], v[18:19], v[16:17]
	v_div_scale_f64 v[18:19], vcc_lo, 1.0, v[6:7], 1.0
	v_mul_f64_e32 v[20:21], v[18:19], v[16:17]
	s_delay_alu instid0(VALU_DEP_1) | instskip(SKIP_1) | instid1(VALU_DEP_1)
	v_fma_f64 v[10:11], -v[10:11], v[20:21], v[18:19]
	s_wait_alu 0xfffd
	v_div_fmas_f64 v[10:11], v[10:11], v[16:17], v[20:21]
	s_delay_alu instid0(VALU_DEP_1) | instskip(SKIP_1) | instid1(VALU_DEP_2)
	v_div_fixup_f64 v[6:7], v[10:11], v[6:7], 1.0
	v_max_num_f64_e32 v[10:11], 0x38100000, v[14:15]
	v_mul_f64_e32 v[6:7], v[14:15], v[6:7]
	s_delay_alu instid0(VALU_DEP_2) | instskip(SKIP_1) | instid1(VALU_DEP_2)
	v_frexp_mant_f64_e32 v[14:15], v[10:11]
	v_frexp_exp_i32_f64_e32 v16, v[10:11]
	v_cmp_gt_f64_e32 vcc_lo, s[52:53], v[14:15]
	s_wait_alu 0xfffd
	v_cndmask_b32_e64 v17, 0, 1, vcc_lo
	s_delay_alu instid0(VALU_DEP_3) | instskip(SKIP_1) | instid1(VALU_DEP_3)
	v_subrev_co_ci_u32_e64 v28, null, 0, v16, vcc_lo
	v_cmp_neq_f64_e32 vcc_lo, 0x7ff00000, v[10:11]
	v_ldexp_f64 v[14:15], v[14:15], v17
	s_delay_alu instid0(VALU_DEP_1) | instskip(SKIP_1) | instid1(VALU_DEP_2)
	v_add_f64_e32 v[18:19], 1.0, v[14:15]
	v_add_f64_e32 v[16:17], -1.0, v[14:15]
	v_add_f64_e32 v[20:21], -1.0, v[18:19]
	s_delay_alu instid0(VALU_DEP_1) | instskip(SKIP_1) | instid1(TRANS32_DEP_1)
	v_add_f64_e64 v[14:15], v[14:15], -v[20:21]
	v_rcp_f64_e32 v[20:21], v[18:19]
	v_fma_f64 v[22:23], -v[18:19], v[20:21], 1.0
	s_delay_alu instid0(VALU_DEP_1) | instskip(NEXT) | instid1(VALU_DEP_1)
	v_fma_f64 v[20:21], v[22:23], v[20:21], v[20:21]
	v_fma_f64 v[22:23], -v[18:19], v[20:21], 1.0
	s_delay_alu instid0(VALU_DEP_1) | instskip(NEXT) | instid1(VALU_DEP_1)
	v_fma_f64 v[20:21], v[22:23], v[20:21], v[20:21]
	v_mul_f64_e32 v[22:23], v[16:17], v[20:21]
	s_delay_alu instid0(VALU_DEP_1) | instskip(NEXT) | instid1(VALU_DEP_1)
	v_mul_f64_e32 v[24:25], v[18:19], v[22:23]
	v_fma_f64 v[18:19], v[22:23], v[18:19], -v[24:25]
	s_delay_alu instid0(VALU_DEP_1) | instskip(NEXT) | instid1(VALU_DEP_1)
	v_fma_f64 v[14:15], v[22:23], v[14:15], v[18:19]
	v_add_f64_e32 v[18:19], v[24:25], v[14:15]
	s_delay_alu instid0(VALU_DEP_1) | instskip(SKIP_1) | instid1(VALU_DEP_2)
	v_add_f64_e64 v[26:27], v[16:17], -v[18:19]
	v_add_f64_e64 v[24:25], v[18:19], -v[24:25]
	v_add_f64_e64 v[16:17], v[16:17], -v[26:27]
	s_delay_alu instid0(VALU_DEP_2) | instskip(NEXT) | instid1(VALU_DEP_2)
	v_add_f64_e64 v[14:15], v[24:25], -v[14:15]
	v_add_f64_e64 v[16:17], v[16:17], -v[18:19]
	s_delay_alu instid0(VALU_DEP_1) | instskip(NEXT) | instid1(VALU_DEP_1)
	v_add_f64_e32 v[14:15], v[14:15], v[16:17]
	v_add_f64_e32 v[14:15], v[26:27], v[14:15]
	s_delay_alu instid0(VALU_DEP_1) | instskip(NEXT) | instid1(VALU_DEP_1)
	v_mul_f64_e32 v[14:15], v[20:21], v[14:15]
	v_add_f64_e32 v[16:17], v[22:23], v[14:15]
	s_delay_alu instid0(VALU_DEP_1) | instskip(SKIP_1) | instid1(VALU_DEP_2)
	v_add_f64_e64 v[18:19], v[16:17], -v[22:23]
	v_ldexp_f64 v[22:23], v[16:17], 1
	v_add_f64_e64 v[14:15], v[14:15], -v[18:19]
	v_mul_f64_e32 v[18:19], v[16:17], v[16:17]
	s_delay_alu instid0(VALU_DEP_2) | instskip(NEXT) | instid1(VALU_DEP_2)
	v_ldexp_f64 v[14:15], v[14:15], 1
	v_fma_f64 v[20:21], v[18:19], s[40:41], s[38:39]
	v_mul_f64_e32 v[16:17], v[16:17], v[18:19]
	s_delay_alu instid0(VALU_DEP_2) | instskip(NEXT) | instid1(VALU_DEP_1)
	v_fma_f64 v[20:21], v[18:19], v[20:21], s[42:43]
	v_fma_f64 v[20:21], v[18:19], v[20:21], s[44:45]
	s_delay_alu instid0(VALU_DEP_1) | instskip(NEXT) | instid1(VALU_DEP_1)
	v_fma_f64 v[20:21], v[18:19], v[20:21], s[46:47]
	v_fma_f64 v[20:21], v[18:19], v[20:21], s[48:49]
	s_delay_alu instid0(VALU_DEP_1) | instskip(NEXT) | instid1(VALU_DEP_1)
	v_fma_f64 v[20:21], v[18:19], v[20:21], s[50:51]
	v_mul_f64_e32 v[16:17], v[16:17], v[20:21]
	s_delay_alu instid0(VALU_DEP_1) | instskip(NEXT) | instid1(VALU_DEP_1)
	v_add_f64_e32 v[18:19], v[22:23], v[16:17]
	v_add_f64_e64 v[20:21], v[18:19], -v[22:23]
	s_delay_alu instid0(VALU_DEP_1) | instskip(NEXT) | instid1(VALU_DEP_1)
	v_add_f64_e64 v[16:17], v[16:17], -v[20:21]
	v_add_f64_e32 v[14:15], v[14:15], v[16:17]
	s_delay_alu instid0(VALU_DEP_1) | instskip(NEXT) | instid1(VALU_DEP_1)
	v_add_f64_e32 v[16:17], v[18:19], v[14:15]
	v_add_f64_e64 v[18:19], v[16:17], -v[18:19]
	s_delay_alu instid0(VALU_DEP_1) | instskip(SKIP_1) | instid1(VALU_DEP_1)
	v_add_f64_e64 v[14:15], v[14:15], -v[18:19]
	v_cvt_f64_i32_e32 v[18:19], v28
	v_mul_f64_e32 v[20:21], s[34:35], v[18:19]
	s_delay_alu instid0(VALU_DEP_1) | instskip(NEXT) | instid1(VALU_DEP_1)
	v_fma_f64 v[22:23], v[18:19], s[34:35], -v[20:21]
	v_fma_f64 v[18:19], v[18:19], s[36:37], v[22:23]
	s_delay_alu instid0(VALU_DEP_1) | instskip(NEXT) | instid1(VALU_DEP_1)
	v_add_f64_e32 v[22:23], v[20:21], v[18:19]
	v_add_f64_e64 v[20:21], v[22:23], -v[20:21]
	s_delay_alu instid0(VALU_DEP_1) | instskip(SKIP_1) | instid1(VALU_DEP_1)
	v_add_f64_e64 v[18:19], v[18:19], -v[20:21]
	v_mul_f64_e32 v[20:21], s[28:29], v[16:17]
	v_fma_f64 v[24:25], v[16:17], s[28:29], -v[20:21]
	s_delay_alu instid0(VALU_DEP_1) | instskip(NEXT) | instid1(VALU_DEP_1)
	v_fma_f64 v[14:15], v[14:15], s[28:29], v[24:25]
	v_fma_f64 v[14:15], v[16:17], s[30:31], v[14:15]
	s_delay_alu instid0(VALU_DEP_1) | instskip(NEXT) | instid1(VALU_DEP_1)
	v_add_f64_e32 v[16:17], v[20:21], v[14:15]
	v_add_f64_e64 v[20:21], v[16:17], -v[20:21]
	s_delay_alu instid0(VALU_DEP_1) | instskip(SKIP_1) | instid1(VALU_DEP_1)
	v_add_f64_e64 v[14:15], v[14:15], -v[20:21]
	v_add_f64_e32 v[20:21], v[22:23], v[16:17]
	v_add_f64_e64 v[24:25], v[20:21], -v[22:23]
	s_delay_alu instid0(VALU_DEP_1) | instskip(SKIP_1) | instid1(VALU_DEP_2)
	v_add_f64_e64 v[26:27], v[20:21], -v[24:25]
	v_add_f64_e64 v[16:17], v[16:17], -v[24:25]
	;; [unrolled: 1-line block ×3, first 2 shown]
	s_delay_alu instid0(VALU_DEP_1) | instskip(SKIP_1) | instid1(VALU_DEP_1)
	v_add_f64_e32 v[16:17], v[16:17], v[22:23]
	v_add_f64_e32 v[22:23], v[18:19], v[14:15]
	v_add_f64_e64 v[24:25], v[22:23], -v[18:19]
	s_delay_alu instid0(VALU_DEP_3) | instskip(NEXT) | instid1(VALU_DEP_2)
	v_add_f64_e32 v[16:17], v[22:23], v[16:17]
	v_add_f64_e64 v[26:27], v[22:23], -v[24:25]
	v_add_f64_e64 v[14:15], v[14:15], -v[24:25]
	s_delay_alu instid0(VALU_DEP_2) | instskip(NEXT) | instid1(VALU_DEP_1)
	v_add_f64_e64 v[18:19], v[18:19], -v[26:27]
	v_add_f64_e32 v[14:15], v[14:15], v[18:19]
	v_add_f64_e32 v[18:19], v[20:21], v[16:17]
	s_delay_alu instid0(VALU_DEP_1) | instskip(NEXT) | instid1(VALU_DEP_1)
	v_add_f64_e64 v[20:21], v[18:19], -v[20:21]
	v_add_f64_e64 v[16:17], v[16:17], -v[20:21]
	s_delay_alu instid0(VALU_DEP_1) | instskip(NEXT) | instid1(VALU_DEP_1)
	v_add_f64_e32 v[14:15], v[14:15], v[16:17]
	v_add_f64_e32 v[14:15], v[18:19], v[14:15]
	s_wait_alu 0xfffd
	s_delay_alu instid0(VALU_DEP_1) | instskip(NEXT) | instid1(VALU_DEP_2)
	v_cndmask_b32_e32 v11, 0x7ff00000, v15, vcc_lo
	v_cndmask_b32_e32 v10, 0, v14, vcc_lo
	v_mul_f64_e32 v[14:15], s[80:81], v[0:1]
	s_delay_alu instid0(VALU_DEP_1) | instskip(SKIP_2) | instid1(VALU_DEP_3)
	v_mul_f64_e32 v[16:17], s[56:57], v[14:15]
	v_cmp_nlt_f64_e32 vcc_lo, 0x40900000, v[14:15]
	v_cmp_ngt_f64_e64 s0, 0xc090cc00, v[14:15]
	v_rndne_f64_e32 v[16:17], v[16:17]
	s_delay_alu instid0(VALU_DEP_1) | instskip(NEXT) | instid1(VALU_DEP_1)
	v_fma_f64 v[18:19], v[16:17], s[54:55], v[14:15]
	v_fma_f64 v[18:19], v[16:17], s[58:59], v[18:19]
	v_cvt_i32_f64_e32 v16, v[16:17]
	s_delay_alu instid0(VALU_DEP_2) | instskip(NEXT) | instid1(VALU_DEP_1)
	v_fma_f64 v[20:21], v[18:19], s[4:5], s[2:3]
	v_fma_f64 v[20:21], v[18:19], v[20:21], s[6:7]
	s_delay_alu instid0(VALU_DEP_1) | instskip(NEXT) | instid1(VALU_DEP_1)
	v_fma_f64 v[20:21], v[18:19], v[20:21], s[14:15]
	v_fma_f64 v[20:21], v[18:19], v[20:21], s[16:17]
	s_delay_alu instid0(VALU_DEP_1) | instskip(NEXT) | instid1(VALU_DEP_1)
	;; [unrolled: 3-line block ×4, first 2 shown]
	v_fma_f64 v[20:21], v[18:19], v[20:21], s[26:27]
	v_fma_f64 v[20:21], v[18:19], v[20:21], 1.0
	s_delay_alu instid0(VALU_DEP_1) | instskip(NEXT) | instid1(VALU_DEP_1)
	v_fma_f64 v[18:19], v[18:19], v[20:21], 1.0
	v_ldexp_f64 v[16:17], v[18:19], v16
	s_delay_alu instid0(VALU_DEP_1) | instskip(SKIP_1) | instid1(VALU_DEP_1)
	v_mul_f64_e32 v[16:17], 0, v[16:17]
	s_wait_alu 0xfffd
	v_cndmask_b32_e32 v17, 0x7ff80000, v17, vcc_lo
	s_and_b32 vcc_lo, s0, vcc_lo
	s_wait_alu 0xfffe
	s_delay_alu instid0(VALU_DEP_2) | instskip(NEXT) | instid1(VALU_DEP_2)
	v_cndmask_b32_e32 v14, 0, v16, vcc_lo
	v_cndmask_b32_e64 v15, 0, v17, s0
	s_mov_b32 s0, 0x7ea1cec1
	s_mov_b32 s1, 0xbf490384
	s_wait_alu 0xfffe
	v_mul_f64_e32 v[0:1], s[0:1], v[0:1]
	s_delay_alu instid0(VALU_DEP_1) | instskip(SKIP_2) | instid1(VALU_DEP_3)
	v_mul_f64_e32 v[16:17], s[56:57], v[0:1]
	v_cmp_nlt_f64_e32 vcc_lo, 0x40900000, v[0:1]
	v_cmp_ngt_f64_e64 s0, 0xc090cc00, v[0:1]
	v_rndne_f64_e32 v[16:17], v[16:17]
	s_delay_alu instid0(VALU_DEP_1) | instskip(NEXT) | instid1(VALU_DEP_1)
	v_fma_f64 v[18:19], v[16:17], s[54:55], v[0:1]
	v_fma_f64 v[18:19], v[16:17], s[58:59], v[18:19]
	v_cvt_i32_f64_e32 v16, v[16:17]
	s_delay_alu instid0(VALU_DEP_2) | instskip(NEXT) | instid1(VALU_DEP_1)
	v_fma_f64 v[20:21], v[18:19], s[4:5], s[2:3]
	v_fma_f64 v[20:21], v[18:19], v[20:21], s[6:7]
	s_delay_alu instid0(VALU_DEP_1) | instskip(NEXT) | instid1(VALU_DEP_1)
	v_fma_f64 v[20:21], v[18:19], v[20:21], s[14:15]
	v_fma_f64 v[20:21], v[18:19], v[20:21], s[16:17]
	s_delay_alu instid0(VALU_DEP_1) | instskip(NEXT) | instid1(VALU_DEP_1)
	;; [unrolled: 3-line block ×4, first 2 shown]
	v_fma_f64 v[20:21], v[18:19], v[20:21], s[26:27]
	v_fma_f64 v[20:21], v[18:19], v[20:21], 1.0
	s_delay_alu instid0(VALU_DEP_1) | instskip(NEXT) | instid1(VALU_DEP_1)
	v_fma_f64 v[18:19], v[18:19], v[20:21], 1.0
	v_ldexp_f64 v[16:17], v[18:19], v16
	s_wait_alu 0xfffd
	s_delay_alu instid0(VALU_DEP_1) | instskip(SKIP_2) | instid1(VALU_DEP_2)
	v_cndmask_b32_e32 v17, 0x7ff00000, v17, vcc_lo
	s_and_b32 vcc_lo, s0, vcc_lo
	s_wait_alu 0xfffe
	v_cndmask_b32_e32 v0, 0, v16, vcc_lo
	v_cmp_nlt_f64_e32 vcc_lo, 0x40900000, v[12:13]
	v_cndmask_b32_e64 v1, 0, v17, s0
	v_cmp_ngt_f64_e64 s0, 0xc090cc00, v[12:13]
	s_delay_alu instid0(VALU_DEP_2) | instskip(SKIP_1) | instid1(VALU_DEP_1)
	v_add_f64_e32 v[0:1], v[0:1], v[14:15]
	v_mul_f64_e32 v[14:15], s[56:57], v[12:13]
	v_rndne_f64_e32 v[14:15], v[14:15]
	s_delay_alu instid0(VALU_DEP_1) | instskip(NEXT) | instid1(VALU_DEP_1)
	v_fma_f64 v[16:17], v[14:15], s[54:55], v[12:13]
	v_fma_f64 v[16:17], v[14:15], s[58:59], v[16:17]
	v_cvt_i32_f64_e32 v14, v[14:15]
	s_delay_alu instid0(VALU_DEP_2) | instskip(NEXT) | instid1(VALU_DEP_1)
	v_fma_f64 v[18:19], v[16:17], s[4:5], s[2:3]
	v_fma_f64 v[18:19], v[16:17], v[18:19], s[6:7]
	s_delay_alu instid0(VALU_DEP_1) | instskip(NEXT) | instid1(VALU_DEP_1)
	v_fma_f64 v[18:19], v[16:17], v[18:19], s[14:15]
	v_fma_f64 v[18:19], v[16:17], v[18:19], s[16:17]
	s_delay_alu instid0(VALU_DEP_1) | instskip(NEXT) | instid1(VALU_DEP_1)
	;; [unrolled: 3-line block ×4, first 2 shown]
	v_fma_f64 v[18:19], v[16:17], v[18:19], s[26:27]
	v_fma_f64 v[18:19], v[16:17], v[18:19], 1.0
	s_delay_alu instid0(VALU_DEP_1) | instskip(NEXT) | instid1(VALU_DEP_1)
	v_fma_f64 v[16:17], v[16:17], v[18:19], 1.0
	v_ldexp_f64 v[14:15], v[16:17], v14
	s_wait_alu 0xfffd
	s_delay_alu instid0(VALU_DEP_1) | instskip(SKIP_2) | instid1(VALU_DEP_2)
	v_cndmask_b32_e32 v15, 0x7ff00000, v15, vcc_lo
	s_and_b32 vcc_lo, s0, vcc_lo
	s_wait_alu 0xfffe
	v_cndmask_b32_e32 v12, 0, v14, vcc_lo
	s_delay_alu instid0(VALU_DEP_2) | instskip(NEXT) | instid1(VALU_DEP_1)
	v_cndmask_b32_e64 v13, 0, v15, s0
	v_add_f64_e32 v[0:1], v[12:13], v[0:1]
	s_delay_alu instid0(VALU_DEP_1) | instskip(NEXT) | instid1(VALU_DEP_1)
	v_max_num_f64_e32 v[0:1], 0x38100000, v[0:1]
	v_frexp_mant_f64_e32 v[12:13], v[0:1]
	v_frexp_exp_i32_f64_e32 v14, v[0:1]
	s_delay_alu instid0(VALU_DEP_2) | instskip(SKIP_2) | instid1(VALU_DEP_3)
	v_cmp_gt_f64_e32 vcc_lo, s[52:53], v[12:13]
	s_wait_alu 0xfffd
	v_cndmask_b32_e64 v15, 0, 1, vcc_lo
	v_subrev_co_ci_u32_e64 v26, null, 0, v14, vcc_lo
	v_cmp_neq_f64_e32 vcc_lo, 0x7ff00000, v[0:1]
	s_delay_alu instid0(VALU_DEP_3) | instskip(NEXT) | instid1(VALU_DEP_1)
	v_ldexp_f64 v[12:13], v[12:13], v15
	v_add_f64_e32 v[16:17], 1.0, v[12:13]
	v_add_f64_e32 v[14:15], -1.0, v[12:13]
	s_delay_alu instid0(VALU_DEP_2) | instskip(NEXT) | instid1(VALU_DEP_1)
	v_add_f64_e32 v[18:19], -1.0, v[16:17]
	v_add_f64_e64 v[12:13], v[12:13], -v[18:19]
	v_rcp_f64_e32 v[18:19], v[16:17]
	s_delay_alu instid0(TRANS32_DEP_1) | instskip(NEXT) | instid1(VALU_DEP_1)
	v_fma_f64 v[20:21], -v[16:17], v[18:19], 1.0
	v_fma_f64 v[18:19], v[20:21], v[18:19], v[18:19]
	s_delay_alu instid0(VALU_DEP_1) | instskip(NEXT) | instid1(VALU_DEP_1)
	v_fma_f64 v[20:21], -v[16:17], v[18:19], 1.0
	v_fma_f64 v[18:19], v[20:21], v[18:19], v[18:19]
	s_delay_alu instid0(VALU_DEP_1) | instskip(NEXT) | instid1(VALU_DEP_1)
	v_mul_f64_e32 v[20:21], v[14:15], v[18:19]
	v_mul_f64_e32 v[22:23], v[16:17], v[20:21]
	s_delay_alu instid0(VALU_DEP_1) | instskip(NEXT) | instid1(VALU_DEP_1)
	v_fma_f64 v[16:17], v[20:21], v[16:17], -v[22:23]
	v_fma_f64 v[12:13], v[20:21], v[12:13], v[16:17]
	s_delay_alu instid0(VALU_DEP_1) | instskip(NEXT) | instid1(VALU_DEP_1)
	v_add_f64_e32 v[16:17], v[22:23], v[12:13]
	v_add_f64_e64 v[24:25], v[14:15], -v[16:17]
	v_add_f64_e64 v[22:23], v[16:17], -v[22:23]
	s_delay_alu instid0(VALU_DEP_2) | instskip(NEXT) | instid1(VALU_DEP_2)
	v_add_f64_e64 v[14:15], v[14:15], -v[24:25]
	v_add_f64_e64 v[12:13], v[22:23], -v[12:13]
	s_delay_alu instid0(VALU_DEP_2) | instskip(NEXT) | instid1(VALU_DEP_1)
	v_add_f64_e64 v[14:15], v[14:15], -v[16:17]
	v_add_f64_e32 v[12:13], v[12:13], v[14:15]
	s_delay_alu instid0(VALU_DEP_1) | instskip(NEXT) | instid1(VALU_DEP_1)
	v_add_f64_e32 v[12:13], v[24:25], v[12:13]
	v_mul_f64_e32 v[12:13], v[18:19], v[12:13]
	s_delay_alu instid0(VALU_DEP_1) | instskip(NEXT) | instid1(VALU_DEP_1)
	v_add_f64_e32 v[14:15], v[20:21], v[12:13]
	v_add_f64_e64 v[16:17], v[14:15], -v[20:21]
	v_ldexp_f64 v[20:21], v[14:15], 1
	s_delay_alu instid0(VALU_DEP_2) | instskip(SKIP_1) | instid1(VALU_DEP_2)
	v_add_f64_e64 v[12:13], v[12:13], -v[16:17]
	v_mul_f64_e32 v[16:17], v[14:15], v[14:15]
	v_ldexp_f64 v[12:13], v[12:13], 1
	s_delay_alu instid0(VALU_DEP_2) | instskip(SKIP_1) | instid1(VALU_DEP_2)
	v_fma_f64 v[18:19], v[16:17], s[40:41], s[38:39]
	v_mul_f64_e32 v[14:15], v[14:15], v[16:17]
	v_fma_f64 v[18:19], v[16:17], v[18:19], s[42:43]
	s_delay_alu instid0(VALU_DEP_1) | instskip(NEXT) | instid1(VALU_DEP_1)
	v_fma_f64 v[18:19], v[16:17], v[18:19], s[44:45]
	v_fma_f64 v[18:19], v[16:17], v[18:19], s[46:47]
	s_delay_alu instid0(VALU_DEP_1) | instskip(NEXT) | instid1(VALU_DEP_1)
	v_fma_f64 v[18:19], v[16:17], v[18:19], s[48:49]
	v_fma_f64 v[18:19], v[16:17], v[18:19], s[50:51]
	s_delay_alu instid0(VALU_DEP_1) | instskip(NEXT) | instid1(VALU_DEP_1)
	v_mul_f64_e32 v[14:15], v[14:15], v[18:19]
	v_add_f64_e32 v[16:17], v[20:21], v[14:15]
	s_delay_alu instid0(VALU_DEP_1) | instskip(NEXT) | instid1(VALU_DEP_1)
	v_add_f64_e64 v[18:19], v[16:17], -v[20:21]
	v_add_f64_e64 v[14:15], v[14:15], -v[18:19]
	s_delay_alu instid0(VALU_DEP_1) | instskip(NEXT) | instid1(VALU_DEP_1)
	v_add_f64_e32 v[12:13], v[12:13], v[14:15]
	v_add_f64_e32 v[14:15], v[16:17], v[12:13]
	s_delay_alu instid0(VALU_DEP_1) | instskip(NEXT) | instid1(VALU_DEP_1)
	v_add_f64_e64 v[16:17], v[14:15], -v[16:17]
	v_add_f64_e64 v[12:13], v[12:13], -v[16:17]
	v_cvt_f64_i32_e32 v[16:17], v26
	s_delay_alu instid0(VALU_DEP_1) | instskip(NEXT) | instid1(VALU_DEP_1)
	v_mul_f64_e32 v[18:19], s[34:35], v[16:17]
	v_fma_f64 v[20:21], v[16:17], s[34:35], -v[18:19]
	s_delay_alu instid0(VALU_DEP_1) | instskip(NEXT) | instid1(VALU_DEP_1)
	v_fma_f64 v[16:17], v[16:17], s[36:37], v[20:21]
	v_add_f64_e32 v[20:21], v[18:19], v[16:17]
	s_delay_alu instid0(VALU_DEP_1) | instskip(NEXT) | instid1(VALU_DEP_1)
	v_add_f64_e64 v[18:19], v[20:21], -v[18:19]
	v_add_f64_e64 v[16:17], v[16:17], -v[18:19]
	v_mul_f64_e32 v[18:19], s[28:29], v[14:15]
	s_delay_alu instid0(VALU_DEP_1) | instskip(NEXT) | instid1(VALU_DEP_1)
	v_fma_f64 v[22:23], v[14:15], s[28:29], -v[18:19]
	v_fma_f64 v[12:13], v[12:13], s[28:29], v[22:23]
	s_delay_alu instid0(VALU_DEP_1) | instskip(NEXT) | instid1(VALU_DEP_1)
	v_fma_f64 v[12:13], v[14:15], s[30:31], v[12:13]
	v_add_f64_e32 v[14:15], v[18:19], v[12:13]
	s_delay_alu instid0(VALU_DEP_1) | instskip(NEXT) | instid1(VALU_DEP_1)
	v_add_f64_e64 v[18:19], v[14:15], -v[18:19]
	v_add_f64_e64 v[12:13], v[12:13], -v[18:19]
	v_add_f64_e32 v[18:19], v[20:21], v[14:15]
	s_delay_alu instid0(VALU_DEP_1) | instskip(NEXT) | instid1(VALU_DEP_1)
	v_add_f64_e64 v[22:23], v[18:19], -v[20:21]
	v_add_f64_e64 v[24:25], v[18:19], -v[22:23]
	;; [unrolled: 1-line block ×3, first 2 shown]
	s_delay_alu instid0(VALU_DEP_2) | instskip(NEXT) | instid1(VALU_DEP_1)
	v_add_f64_e64 v[20:21], v[20:21], -v[24:25]
	v_add_f64_e32 v[14:15], v[14:15], v[20:21]
	v_add_f64_e32 v[20:21], v[16:17], v[12:13]
	s_delay_alu instid0(VALU_DEP_1) | instskip(NEXT) | instid1(VALU_DEP_3)
	v_add_f64_e64 v[22:23], v[20:21], -v[16:17]
	v_add_f64_e32 v[14:15], v[20:21], v[14:15]
	s_delay_alu instid0(VALU_DEP_2) | instskip(SKIP_1) | instid1(VALU_DEP_2)
	v_add_f64_e64 v[24:25], v[20:21], -v[22:23]
	v_add_f64_e64 v[12:13], v[12:13], -v[22:23]
	;; [unrolled: 1-line block ×3, first 2 shown]
	s_delay_alu instid0(VALU_DEP_1) | instskip(SKIP_1) | instid1(VALU_DEP_1)
	v_add_f64_e32 v[12:13], v[12:13], v[16:17]
	v_add_f64_e32 v[16:17], v[18:19], v[14:15]
	v_add_f64_e64 v[18:19], v[16:17], -v[18:19]
	s_delay_alu instid0(VALU_DEP_1) | instskip(NEXT) | instid1(VALU_DEP_1)
	v_add_f64_e64 v[14:15], v[14:15], -v[18:19]
	v_add_f64_e32 v[12:13], v[12:13], v[14:15]
	s_delay_alu instid0(VALU_DEP_1) | instskip(SKIP_1) | instid1(VALU_DEP_1)
	v_add_f64_e32 v[12:13], v[16:17], v[12:13]
	s_wait_alu 0xfffd
	v_cndmask_b32_e32 v1, 0x7ff00000, v13, vcc_lo
	s_delay_alu instid0(VALU_DEP_2) | instskip(NEXT) | instid1(VALU_DEP_1)
	v_cndmask_b32_e32 v0, 0, v12, vcc_lo
	v_fma_f64 v[14:15], v[0:1], s[72:73], s[70:71]
	v_fma_f64 v[12:13], v[0:1], s[62:63], 0x3fe80000
	s_delay_alu instid0(VALU_DEP_2) | instskip(NEXT) | instid1(VALU_DEP_1)
	v_add_f64_e64 v[10:11], v[10:11], -v[14:15]
	v_fma_f64 v[12:13], v[10:11], s[76:77], v[12:13]
	s_delay_alu instid0(VALU_DEP_1) | instskip(NEXT) | instid1(VALU_DEP_1)
	v_div_scale_f64 v[14:15], null, v[12:13], v[12:13], 1.0
	v_rcp_f64_e32 v[16:17], v[14:15]
	s_delay_alu instid0(TRANS32_DEP_1) | instskip(NEXT) | instid1(VALU_DEP_1)
	v_fma_f64 v[18:19], -v[14:15], v[16:17], 1.0
	v_fma_f64 v[16:17], v[16:17], v[18:19], v[16:17]
	s_delay_alu instid0(VALU_DEP_1) | instskip(NEXT) | instid1(VALU_DEP_1)
	v_fma_f64 v[18:19], -v[14:15], v[16:17], 1.0
	v_fma_f64 v[16:17], v[16:17], v[18:19], v[16:17]
	v_div_scale_f64 v[18:19], vcc_lo, 1.0, v[12:13], 1.0
	s_delay_alu instid0(VALU_DEP_1) | instskip(NEXT) | instid1(VALU_DEP_1)
	v_mul_f64_e32 v[20:21], v[18:19], v[16:17]
	v_fma_f64 v[14:15], -v[14:15], v[20:21], v[18:19]
	s_wait_alu 0xfffd
	s_delay_alu instid0(VALU_DEP_1) | instskip(NEXT) | instid1(VALU_DEP_1)
	v_div_fmas_f64 v[14:15], v[14:15], v[16:17], v[20:21]
	v_div_fixup_f64 v[12:13], v[14:15], v[12:13], 1.0
	s_delay_alu instid0(VALU_DEP_1) | instskip(NEXT) | instid1(VALU_DEP_1)
	v_mul_f64_e32 v[10:11], v[10:11], v[12:13]
	v_fma_f64 v[10:11], v[10:11], v[10:11], 1.0
	s_delay_alu instid0(VALU_DEP_1) | instskip(NEXT) | instid1(VALU_DEP_1)
	v_div_scale_f64 v[12:13], null, v[10:11], v[10:11], 1.0
	v_rcp_f64_e32 v[14:15], v[12:13]
	s_delay_alu instid0(TRANS32_DEP_1) | instskip(NEXT) | instid1(VALU_DEP_1)
	v_fma_f64 v[16:17], -v[12:13], v[14:15], 1.0
	v_fma_f64 v[14:15], v[14:15], v[16:17], v[14:15]
	s_delay_alu instid0(VALU_DEP_1) | instskip(NEXT) | instid1(VALU_DEP_1)
	v_fma_f64 v[16:17], -v[12:13], v[14:15], 1.0
	v_fma_f64 v[14:15], v[14:15], v[16:17], v[14:15]
	v_div_scale_f64 v[16:17], vcc_lo, 1.0, v[10:11], 1.0
	s_delay_alu instid0(VALU_DEP_1) | instskip(NEXT) | instid1(VALU_DEP_1)
	v_mul_f64_e32 v[18:19], v[16:17], v[14:15]
	v_fma_f64 v[12:13], -v[12:13], v[18:19], v[16:17]
	s_wait_alu 0xfffd
	s_delay_alu instid0(VALU_DEP_1) | instskip(NEXT) | instid1(VALU_DEP_1)
	v_div_fmas_f64 v[12:13], v[12:13], v[14:15], v[18:19]
	v_div_fixup_f64 v[10:11], v[12:13], v[10:11], 1.0
	s_delay_alu instid0(VALU_DEP_1) | instskip(NEXT) | instid1(VALU_DEP_1)
	v_mul_f64_e32 v[0:1], v[0:1], v[10:11]
	v_mul_f64_e32 v[10:11], s[60:61], v[0:1]
	v_cmp_nlt_f64_e32 vcc_lo, 0x40900000, v[0:1]
	v_cmp_ngt_f64_e64 s0, 0xc090cc00, v[0:1]
	s_delay_alu instid0(VALU_DEP_3) | instskip(NEXT) | instid1(VALU_DEP_1)
	v_rndne_f64_e32 v[10:11], v[10:11]
	v_fma_f64 v[12:13], v[10:11], s[66:67], v[0:1]
	s_delay_alu instid0(VALU_DEP_1) | instskip(SKIP_1) | instid1(VALU_DEP_2)
	v_fma_f64 v[12:13], v[10:11], s[64:65], v[12:13]
	v_cvt_i32_f64_e32 v10, v[10:11]
	v_mul_f64_e32 v[14:15], s[68:69], v[12:13]
	s_delay_alu instid0(VALU_DEP_1) | instskip(NEXT) | instid1(VALU_DEP_1)
	v_fma_f64 v[12:13], v[12:13], s[74:75], v[14:15]
	v_fma_f64 v[14:15], v[12:13], s[4:5], s[2:3]
	s_delay_alu instid0(VALU_DEP_1) | instskip(NEXT) | instid1(VALU_DEP_1)
	v_fma_f64 v[14:15], v[12:13], v[14:15], s[6:7]
	v_fma_f64 v[14:15], v[12:13], v[14:15], s[14:15]
	;; [unrolled: 3-line block ×5, first 2 shown]
	s_delay_alu instid0(VALU_DEP_1) | instskip(NEXT) | instid1(VALU_DEP_1)
	v_fma_f64 v[14:15], v[12:13], v[14:15], 1.0
	v_fma_f64 v[12:13], v[12:13], v[14:15], 1.0
	s_delay_alu instid0(VALU_DEP_1) | instskip(SKIP_1) | instid1(VALU_DEP_1)
	v_ldexp_f64 v[10:11], v[12:13], v10
	s_wait_alu 0xfffd
	v_cndmask_b32_e32 v11, 0x7ff00000, v11, vcc_lo
	s_and_b32 vcc_lo, s0, vcc_lo
	s_wait_alu 0xfffe
	s_delay_alu instid0(VALU_DEP_2) | instskip(SKIP_4) | instid1(VALU_DEP_2)
	v_cndmask_b32_e32 v0, 0, v10, vcc_lo
	v_add_co_u32 v2, vcc_lo, s10, v2
	v_cndmask_b32_e64 v1, 0, v11, s0
	s_wait_alu 0xfffd
	v_add_co_ci_u32_e64 v3, null, s11, v3, vcc_lo
	v_mul_f64_e32 v[0:1], v[6:7], v[0:1]
	s_delay_alu instid0(VALU_DEP_1)
	v_mul_f64_e32 v[6:7], v[8:9], v[0:1]
	global_store_b64 v[4:5], v[6:7], off
	global_load_b64 v[4:5], v[2:3], off
	s_wait_loadcnt 0x0
	v_mul_f64_e32 v[0:1], v[4:5], v[0:1]
	global_store_b64 v[2:3], v[0:1], off
	s_endpgm
	.section	.rodata,"a",@progbits
	.p2align	6, 0x0
	.amdhsa_kernel _Z12ratxb_kernelIdEvPKT_S2_PS0_S3_S2_S0_
		.amdhsa_group_segment_fixed_size 0
		.amdhsa_private_segment_fixed_size 0
		.amdhsa_kernarg_size 304
		.amdhsa_user_sgpr_count 2
		.amdhsa_user_sgpr_dispatch_ptr 0
		.amdhsa_user_sgpr_queue_ptr 0
		.amdhsa_user_sgpr_kernarg_segment_ptr 1
		.amdhsa_user_sgpr_dispatch_id 0
		.amdhsa_user_sgpr_private_segment_size 0
		.amdhsa_wavefront_size32 1
		.amdhsa_uses_dynamic_stack 0
		.amdhsa_enable_private_segment 0
		.amdhsa_system_sgpr_workgroup_id_x 1
		.amdhsa_system_sgpr_workgroup_id_y 0
		.amdhsa_system_sgpr_workgroup_id_z 0
		.amdhsa_system_sgpr_workgroup_info 0
		.amdhsa_system_vgpr_workitem_id 0
		.amdhsa_next_free_vgpr 72
		.amdhsa_next_free_sgpr 85
		.amdhsa_reserve_vcc 1
		.amdhsa_float_round_mode_32 0
		.amdhsa_float_round_mode_16_64 0
		.amdhsa_float_denorm_mode_32 3
		.amdhsa_float_denorm_mode_16_64 3
		.amdhsa_fp16_overflow 0
		.amdhsa_workgroup_processor_mode 1
		.amdhsa_memory_ordered 1
		.amdhsa_forward_progress 1
		.amdhsa_inst_pref_size 240
		.amdhsa_round_robin_scheduling 0
		.amdhsa_exception_fp_ieee_invalid_op 0
		.amdhsa_exception_fp_denorm_src 0
		.amdhsa_exception_fp_ieee_div_zero 0
		.amdhsa_exception_fp_ieee_overflow 0
		.amdhsa_exception_fp_ieee_underflow 0
		.amdhsa_exception_fp_ieee_inexact 0
		.amdhsa_exception_int_div_zero 0
	.end_amdhsa_kernel
	.section	.text._Z12ratxb_kernelIdEvPKT_S2_PS0_S3_S2_S0_,"axG",@progbits,_Z12ratxb_kernelIdEvPKT_S2_PS0_S3_S2_S0_,comdat
.Lfunc_end40:
	.size	_Z12ratxb_kernelIdEvPKT_S2_PS0_S3_S2_S0_, .Lfunc_end40-_Z12ratxb_kernelIdEvPKT_S2_PS0_S3_S2_S0_
                                        ; -- End function
	.set _Z12ratxb_kernelIdEvPKT_S2_PS0_S3_S2_S0_.num_vgpr, 72
	.set _Z12ratxb_kernelIdEvPKT_S2_PS0_S3_S2_S0_.num_agpr, 0
	.set _Z12ratxb_kernelIdEvPKT_S2_PS0_S3_S2_S0_.numbered_sgpr, 85
	.set _Z12ratxb_kernelIdEvPKT_S2_PS0_S3_S2_S0_.num_named_barrier, 0
	.set _Z12ratxb_kernelIdEvPKT_S2_PS0_S3_S2_S0_.private_seg_size, 0
	.set _Z12ratxb_kernelIdEvPKT_S2_PS0_S3_S2_S0_.uses_vcc, 1
	.set _Z12ratxb_kernelIdEvPKT_S2_PS0_S3_S2_S0_.uses_flat_scratch, 0
	.set _Z12ratxb_kernelIdEvPKT_S2_PS0_S3_S2_S0_.has_dyn_sized_stack, 0
	.set _Z12ratxb_kernelIdEvPKT_S2_PS0_S3_S2_S0_.has_recursion, 0
	.set _Z12ratxb_kernelIdEvPKT_S2_PS0_S3_S2_S0_.has_indirect_call, 0
	.section	.AMDGPU.csdata,"",@progbits
; Kernel info:
; codeLenInByte = 30632
; TotalNumSgprs: 87
; NumVgprs: 72
; ScratchSize: 0
; MemoryBound: 0
; FloatMode: 240
; IeeeMode: 1
; LDSByteSize: 0 bytes/workgroup (compile time only)
; SGPRBlocks: 0
; VGPRBlocks: 8
; NumSGPRsForWavesPerEU: 87
; NumVGPRsForWavesPerEU: 72
; Occupancy: 16
; WaveLimiterHint : 0
; COMPUTE_PGM_RSRC2:SCRATCH_EN: 0
; COMPUTE_PGM_RSRC2:USER_SGPR: 2
; COMPUTE_PGM_RSRC2:TRAP_HANDLER: 0
; COMPUTE_PGM_RSRC2:TGID_X_EN: 1
; COMPUTE_PGM_RSRC2:TGID_Y_EN: 0
; COMPUTE_PGM_RSRC2:TGID_Z_EN: 0
; COMPUTE_PGM_RSRC2:TIDIG_COMP_CNT: 0
	.section	.text._Z12ratx2_kernelIdEvPKT_PS0_S3_,"axG",@progbits,_Z12ratx2_kernelIdEvPKT_PS0_S3_,comdat
	.protected	_Z12ratx2_kernelIdEvPKT_PS0_S3_ ; -- Begin function _Z12ratx2_kernelIdEvPKT_PS0_S3_
	.globl	_Z12ratx2_kernelIdEvPKT_PS0_S3_
	.p2align	8
	.type	_Z12ratx2_kernelIdEvPKT_PS0_S3_,@function
_Z12ratx2_kernelIdEvPKT_PS0_S3_:        ; @_Z12ratx2_kernelIdEvPKT_PS0_S3_
; %bb.0:
	s_clause 0x2
	s_load_b32 s4, s[0:1], 0x24
	s_load_b32 s5, s[0:1], 0x18
	s_load_b128 s[0:3], s[0:1], 0x0
	s_wait_kmcnt 0x0
	s_and_b32 s4, s4, 0xffff
	s_delay_alu instid0(SALU_CYCLE_1) | instskip(SKIP_4) | instid1(VALU_DEP_1)
	v_mad_co_u64_u32 v[0:1], null, ttmp9, s4, v[0:1]
	s_mul_i32 s4, s5, s4
	v_mov_b32_e32 v1, 0
	s_wait_alu 0xfffe
	s_lshl_b32 s5, s4, 1
	v_dual_mov_b32 v3, v1 :: v_dual_add_nc_u32 v2, s4, v0
	v_lshlrev_b64_e32 v[12:13], 3, v[0:1]
	s_wait_alu 0xfffe
	v_add_nc_u32_e32 v0, s5, v0
	s_delay_alu instid0(VALU_DEP_3) | instskip(SKIP_1) | instid1(VALU_DEP_4)
	v_lshlrev_b64_e32 v[16:17], 3, v[2:3]
	v_add_nc_u32_e32 v2, s5, v2
	v_add_co_u32 v14, vcc_lo, s2, v12
	s_delay_alu instid0(VALU_DEP_1) | instskip(NEXT) | instid1(VALU_DEP_4)
	v_add_co_ci_u32_e64 v15, null, s3, v13, vcc_lo
	v_add_co_u32 v4, vcc_lo, s0, v16
	s_wait_alu 0xfffd
	v_add_co_ci_u32_e64 v5, null, s1, v17, vcc_lo
	v_lshlrev_b64_e32 v[10:11], 3, v[2:3]
	global_load_b64 v[24:25], v[14:15], off
	global_load_b64 v[6:7], v[4:5], off
	v_lshlrev_b64_e32 v[32:33], 3, v[0:1]
	v_add_nc_u32_e32 v0, s5, v0
	v_add_co_u32 v2, vcc_lo, s0, v10
	s_wait_alu 0xfffd
	v_add_co_ci_u32_e64 v3, null, s1, v11, vcc_lo
	s_clause 0x3
	global_load_b64 v[8:9], v[2:3], off
	global_load_b64 v[18:19], v[4:5], off
	;; [unrolled: 1-line block ×4, first 2 shown]
	v_add_co_u32 v36, vcc_lo, s0, v32
	s_wait_alu 0xfffd
	v_add_co_ci_u32_e64 v37, null, s1, v33, vcc_lo
	v_add_co_u32 v16, vcc_lo, s2, v16
	s_wait_alu 0xfffd
	v_add_co_ci_u32_e64 v17, null, s3, v17, vcc_lo
	;; [unrolled: 3-line block ×3, first 2 shown]
	s_wait_loadcnt 0x4
	v_mul_f64_e32 v[30:31], v[24:25], v[6:7]
	s_clause 0x3
	global_load_b64 v[26:27], v[2:3], off
	global_load_b64 v[24:25], v[2:3], off
	global_load_b64 v[28:29], v[4:5], off
	global_load_b64 v[48:49], v[36:37], off
	s_wait_loadcnt 0x7
	v_mul_f64_e32 v[30:31], v[30:31], v[8:9]
	global_store_b64 v[14:15], v[30:31], off
	global_load_b64 v[14:15], v[16:17], off
	s_clause 0x5
	global_load_b64 v[30:31], v[12:13], off
	global_load_b64 v[52:53], v[36:37], off
	;; [unrolled: 1-line block ×6, first 2 shown]
	v_lshlrev_b64_e32 v[12:13], 3, v[0:1]
	v_add_nc_u32_e32 v0, s4, v0
	s_delay_alu instid0(VALU_DEP_2) | instskip(SKIP_1) | instid1(VALU_DEP_3)
	v_add_co_u32 v12, vcc_lo, s0, v12
	s_wait_alu 0xfffd
	v_add_co_ci_u32_e64 v13, null, s1, v13, vcc_lo
	v_add_co_u32 v32, vcc_lo, s2, v32
	s_wait_alu 0xfffd
	v_add_co_ci_u32_e64 v33, null, s3, v33, vcc_lo
	global_load_b64 v[56:57], v[12:13], off
	v_add_co_u32 v10, vcc_lo, s2, v10
	s_wait_alu 0xfffd
	v_add_co_ci_u32_e64 v11, null, s3, v11, vcc_lo
	s_wait_loadcnt 0x7
	v_mul_f64_e32 v[14:15], v[14:15], v[48:49]
	s_wait_loadcnt 0x6
	s_delay_alu instid0(VALU_DEP_1)
	v_mul_f64_e32 v[14:15], v[14:15], v[30:31]
	global_store_b64 v[16:17], v[14:15], off
	global_load_b64 v[14:15], v[32:33], off
	v_lshlrev_b64_e32 v[16:17], 3, v[0:1]
	v_add_nc_u32_e32 v0, s4, v0
	s_wait_loadcnt 0x0
	v_mul_f64_e32 v[14:15], v[14:15], v[56:57]
	s_delay_alu instid0(VALU_DEP_1)
	v_mul_f64_e32 v[14:15], v[30:31], v[14:15]
	global_store_b64 v[32:33], v[14:15], off
	global_load_b64 v[14:15], v[10:11], off
	v_add_co_u32 v32, vcc_lo, s2, v16
	s_wait_alu 0xfffd
	v_add_co_ci_u32_e64 v33, null, s3, v17, vcc_lo
	s_wait_loadcnt 0x0
	v_mul_f64_e32 v[14:15], v[56:57], v[14:15]
	s_delay_alu instid0(VALU_DEP_1) | instskip(SKIP_4) | instid1(VALU_DEP_1)
	v_mul_f64_e32 v[14:15], v[56:57], v[14:15]
	global_store_b64 v[10:11], v[14:15], off
	global_load_b64 v[10:11], v[32:33], off
	s_wait_loadcnt 0x0
	v_mul_f64_e32 v[10:11], v[6:7], v[10:11]
	v_mul_f64_e32 v[10:11], v[6:7], v[10:11]
	s_delay_alu instid0(VALU_DEP_1) | instskip(SKIP_2) | instid1(VALU_DEP_1)
	v_mul_f64_e32 v[10:11], v[30:31], v[10:11]
	v_lshlrev_b64_e32 v[30:31], 3, v[0:1]
	v_add_nc_u32_e32 v0, s4, v0
	v_lshlrev_b64_e32 v[34:35], 3, v[0:1]
	s_delay_alu instid0(VALU_DEP_3) | instskip(SKIP_1) | instid1(VALU_DEP_4)
	v_add_co_u32 v14, vcc_lo, s2, v30
	s_wait_alu 0xfffd
	v_add_co_ci_u32_e64 v15, null, s3, v31, vcc_lo
	v_add_co_u32 v16, vcc_lo, s0, v16
	s_wait_alu 0xfffd
	v_add_co_ci_u32_e64 v17, null, s1, v17, vcc_lo
	v_lshl_add_u32 v0, s4, 2, v0
	global_store_b64 v[32:33], v[10:11], off
	global_load_b64 v[10:11], v[14:15], off
	s_clause 0x2
	global_load_b64 v[32:33], v[16:17], off
	global_load_b64 v[64:65], v[16:17], off
	;; [unrolled: 1-line block ×3, first 2 shown]
	v_add_co_u32 v16, vcc_lo, s2, v34
	s_wait_alu 0xfffd
	v_add_co_ci_u32_e64 v17, null, s3, v35, vcc_lo
	s_wait_loadcnt 0x3
	v_mul_f64_e32 v[10:11], v[6:7], v[10:11]
	s_delay_alu instid0(VALU_DEP_1) | instskip(SKIP_1) | instid1(VALU_DEP_1)
	v_mul_f64_e32 v[10:11], v[6:7], v[10:11]
	s_wait_loadcnt 0x2
	v_mul_f64_e32 v[10:11], v[32:33], v[10:11]
	global_store_b64 v[14:15], v[10:11], off
	global_load_b64 v[10:11], v[16:17], off
	v_lshlrev_b64_e32 v[14:15], 3, v[0:1]
	v_add_nc_u32_e32 v0, s4, v0
	s_delay_alu instid0(VALU_DEP_1) | instskip(NEXT) | instid1(VALU_DEP_3)
	v_lshlrev_b64_e32 v[68:69], 3, v[0:1]
	v_add_co_u32 v66, vcc_lo, s0, v14
	s_wait_alu 0xfffd
	s_delay_alu instid0(VALU_DEP_4)
	v_add_co_ci_u32_e64 v67, null, s1, v15, vcc_lo
	v_add_nc_u32_e32 v0, s4, v0
	global_load_b64 v[14:15], v[66:67], off
	v_lshlrev_b64_e32 v[40:41], 3, v[0:1]
	v_add_nc_u32_e32 v0, s4, v0
	s_wait_loadcnt 0x1
	v_mul_f64_e32 v[10:11], v[6:7], v[10:11]
	s_delay_alu instid0(VALU_DEP_1) | instskip(SKIP_1) | instid1(VALU_DEP_1)
	v_mul_f64_e32 v[10:11], v[6:7], v[10:11]
	s_wait_loadcnt 0x0
	v_mul_f64_e32 v[10:11], v[14:15], v[10:11]
	v_add_co_u32 v14, vcc_lo, s2, v68
	s_wait_alu 0xfffd
	v_add_co_ci_u32_e64 v15, null, s3, v69, vcc_lo
	global_store_b64 v[16:17], v[10:11], off
	global_load_b64 v[10:11], v[14:15], off
	v_add_co_u32 v16, vcc_lo, s2, v40
	s_wait_alu 0xfffd
	v_add_co_ci_u32_e64 v17, null, s3, v41, vcc_lo
	s_wait_loadcnt 0x0
	v_mul_f64_e32 v[10:11], v[6:7], v[10:11]
	s_delay_alu instid0(VALU_DEP_1) | instskip(NEXT) | instid1(VALU_DEP_1)
	v_mul_f64_e32 v[10:11], v[8:9], v[10:11]
	v_mul_f64_e32 v[10:11], v[8:9], v[10:11]
	global_store_b64 v[14:15], v[10:11], off
	global_load_b64 v[10:11], v[16:17], off
	v_lshlrev_b64_e32 v[14:15], 3, v[0:1]
	s_wait_loadcnt 0x0
	v_mul_f64_e32 v[10:11], v[6:7], v[10:11]
	s_delay_alu instid0(VALU_DEP_1) | instskip(NEXT) | instid1(VALU_DEP_1)
	v_mul_f64_e32 v[10:11], v[8:9], v[10:11]
	v_mul_f64_e32 v[10:11], v[32:33], v[10:11]
	s_delay_alu instid0(VALU_DEP_4)
	v_add_co_u32 v32, vcc_lo, s2, v14
	s_wait_alu 0xfffd
	v_add_co_ci_u32_e64 v33, null, s3, v15, vcc_lo
	global_store_b64 v[16:17], v[10:11], off
	global_load_b64 v[10:11], v[32:33], off
	v_mad_co_u64_u32 v[16:17], null, s4, 7, v[0:1]
	v_mov_b32_e32 v17, v1
	s_delay_alu instid0(VALU_DEP_1) | instskip(NEXT) | instid1(VALU_DEP_1)
	v_lshlrev_b64_e32 v[54:55], 3, v[16:17]
	v_add_co_u32 v42, vcc_lo, s0, v54
	s_wait_alu 0xfffd
	s_delay_alu instid0(VALU_DEP_2) | instskip(SKIP_3) | instid1(VALU_DEP_1)
	v_add_co_ci_u32_e64 v43, null, s1, v55, vcc_lo
	global_load_b64 v[46:47], v[42:43], off
	s_wait_loadcnt 0x1
	v_mul_f64_e32 v[10:11], v[6:7], v[10:11]
	v_mul_f64_e32 v[10:11], v[8:9], v[10:11]
	v_add_co_u32 v8, vcc_lo, s0, v30
	s_wait_alu 0xfffd
	v_add_co_ci_u32_e64 v9, null, s1, v31, vcc_lo
	v_mad_co_u64_u32 v[30:31], null, s4, -6, v[16:17]
	v_mov_b32_e32 v31, v1
	s_clause 0x2
	global_load_b64 v[70:71], v[8:9], off
	global_load_b64 v[72:73], v[42:43], off
	global_load_b64 v[60:61], v[8:9], off
	v_lshlrev_b64_e32 v[16:17], 3, v[30:31]
	v_add_nc_u32_e32 v0, s4, v30
	s_delay_alu instid0(VALU_DEP_2) | instskip(SKIP_1) | instid1(VALU_DEP_3)
	v_add_co_u32 v42, vcc_lo, s2, v16
	s_wait_alu 0xfffd
	v_add_co_ci_u32_e64 v43, null, s3, v17, vcc_lo
	s_wait_loadcnt 0x3
	v_mul_f64_e32 v[10:11], v[46:47], v[10:11]
	v_lshlrev_b64_e32 v[46:47], 3, v[0:1]
	v_add_nc_u32_e32 v0, s4, v0
	s_delay_alu instid0(VALU_DEP_2) | instskip(SKIP_1) | instid1(VALU_DEP_3)
	v_add_co_u32 v30, vcc_lo, s2, v46
	s_wait_alu 0xfffd
	v_add_co_ci_u32_e64 v31, null, s3, v47, vcc_lo
	global_store_b64 v[32:33], v[10:11], off
	global_load_b64 v[10:11], v[42:43], off
	s_wait_loadcnt 0x0
	v_mul_f64_e32 v[10:11], v[56:57], v[10:11]
	s_delay_alu instid0(VALU_DEP_1) | instskip(SKIP_4) | instid1(VALU_DEP_2)
	v_mul_f64_e32 v[10:11], v[56:57], v[10:11]
	global_store_b64 v[42:43], v[10:11], off
	global_load_b64 v[10:11], v[30:31], off
	v_lshlrev_b64_e32 v[42:43], 3, v[0:1]
	v_add_nc_u32_e32 v0, s4, v0
	v_add_co_u32 v32, vcc_lo, s2, v42
	s_wait_alu 0xfffd
	s_delay_alu instid0(VALU_DEP_3) | instskip(SKIP_2) | instid1(VALU_DEP_1)
	v_add_co_ci_u32_e64 v33, null, s3, v43, vcc_lo
	s_wait_loadcnt 0x0
	v_mul_f64_e32 v[10:11], v[10:11], v[60:61]
	v_mul_f64_e32 v[10:11], v[6:7], v[10:11]
	global_store_b64 v[30:31], v[10:11], off
	global_load_b64 v[10:11], v[32:33], off
	v_lshlrev_b64_e32 v[30:31], 3, v[0:1]
	v_add_nc_u32_e32 v0, s4, v0
	s_delay_alu instid0(VALU_DEP_2) | instskip(SKIP_1) | instid1(VALU_DEP_3)
	v_add_co_u32 v74, vcc_lo, s2, v30
	s_wait_alu 0xfffd
	v_add_co_ci_u32_e64 v75, null, s3, v31, vcc_lo
	s_delay_alu instid0(VALU_DEP_3) | instskip(SKIP_1) | instid1(VALU_DEP_2)
	v_lshlrev_b64_e32 v[30:31], 3, v[0:1]
	v_add_nc_u32_e32 v0, s4, v0
	v_add_co_u32 v76, vcc_lo, s2, v30
	s_wait_alu 0xfffd
	s_delay_alu instid0(VALU_DEP_3) | instskip(SKIP_2) | instid1(VALU_DEP_1)
	v_add_co_ci_u32_e64 v77, null, s3, v31, vcc_lo
	s_wait_loadcnt 0x0
	v_mul_f64_e32 v[10:11], v[60:61], v[10:11]
	v_mul_f64_e32 v[10:11], v[6:7], v[10:11]
	global_store_b64 v[32:33], v[10:11], off
	global_load_b64 v[10:11], v[74:75], off
	v_lshlrev_b64_e32 v[32:33], 3, v[0:1]
	v_add_nc_u32_e32 v0, s5, v0
	s_wait_loadcnt 0x0
	v_mul_f64_e32 v[10:11], v[60:61], v[10:11]
	s_delay_alu instid0(VALU_DEP_1)
	v_mul_f64_e32 v[10:11], v[6:7], v[10:11]
	global_store_b64 v[74:75], v[10:11], off
	global_load_b64 v[10:11], v[76:77], off
	v_add_co_u32 v74, vcc_lo, s2, v32
	s_wait_alu 0xfffd
	v_add_co_ci_u32_e64 v75, null, s3, v33, vcc_lo
	v_add_co_u32 v54, vcc_lo, s2, v54
	s_wait_alu 0xfffd
	v_add_co_ci_u32_e64 v55, null, s3, v55, vcc_lo
	s_wait_loadcnt 0x0
	v_mul_f64_e32 v[10:11], v[60:61], v[10:11]
	s_delay_alu instid0(VALU_DEP_1) | instskip(SKIP_4) | instid1(VALU_DEP_1)
	v_mul_f64_e32 v[10:11], v[48:49], v[10:11]
	global_store_b64 v[76:77], v[10:11], off
	global_load_b64 v[10:11], v[74:75], off
	s_wait_loadcnt 0x0
	v_mul_f64_e32 v[10:11], v[60:61], v[10:11]
	v_mul_f64_e32 v[10:11], v[56:57], v[10:11]
	global_store_b64 v[74:75], v[10:11], off
	global_load_b64 v[10:11], v[54:55], off
	v_lshlrev_b64_e32 v[74:75], 3, v[0:1]
	v_add_nc_u32_e32 v0, s4, v0
	s_delay_alu instid0(VALU_DEP_2) | instskip(SKIP_1) | instid1(VALU_DEP_3)
	v_add_co_u32 v74, vcc_lo, s2, v74
	s_wait_alu 0xfffd
	v_add_co_ci_u32_e64 v75, null, s3, v75, vcc_lo
	s_wait_loadcnt 0x0
	v_mul_f64_e32 v[10:11], v[60:61], v[10:11]
	s_delay_alu instid0(VALU_DEP_1)
	v_mul_f64_e32 v[10:11], v[60:61], v[10:11]
	global_store_b64 v[54:55], v[10:11], off
	global_load_b64 v[10:11], v[74:75], off
	v_lshlrev_b64_e32 v[54:55], 3, v[0:1]
	v_add_nc_u32_e32 v0, s4, v0
	s_wait_loadcnt 0x0
	v_mul_f64_e32 v[10:11], v[60:61], v[10:11]
	s_delay_alu instid0(VALU_DEP_1) | instskip(NEXT) | instid1(VALU_DEP_4)
	v_mul_f64_e32 v[10:11], v[60:61], v[10:11]
	v_add_co_u32 v60, vcc_lo, s2, v54
	s_wait_alu 0xfffd
	v_add_co_ci_u32_e64 v61, null, s3, v55, vcc_lo
	v_add_co_u32 v76, vcc_lo, s0, v34
	s_wait_alu 0xfffd
	v_add_co_ci_u32_e64 v77, null, s1, v35, vcc_lo
	global_store_b64 v[74:75], v[10:11], off
	global_load_b64 v[74:75], v[60:61], off
	s_clause 0x3
	global_load_b64 v[78:79], v[76:77], off
	global_load_b64 v[54:55], v[76:77], off
	;; [unrolled: 1-line block ×4, first 2 shown]
	v_lshlrev_b64_e32 v[76:77], 3, v[0:1]
	v_add_nc_u32_e32 v0, s4, v0
	s_delay_alu instid0(VALU_DEP_2) | instskip(SKIP_1) | instid1(VALU_DEP_3)
	v_add_co_u32 v76, vcc_lo, s2, v76
	s_wait_alu 0xfffd
	v_add_co_ci_u32_e64 v77, null, s3, v77, vcc_lo
	s_wait_loadcnt 0x3
	v_mul_f64_e32 v[74:75], v[74:75], v[78:79]
	s_delay_alu instid0(VALU_DEP_1) | instskip(SKIP_4) | instid1(VALU_DEP_1)
	v_mul_f64_e32 v[74:75], v[6:7], v[74:75]
	global_store_b64 v[60:61], v[74:75], off
	global_load_b64 v[60:61], v[76:77], off
	s_wait_loadcnt 0x0
	v_mul_f64_e32 v[60:61], v[78:79], v[60:61]
	v_mul_f64_e32 v[6:7], v[6:7], v[60:61]
	v_lshlrev_b64_e32 v[60:61], 3, v[0:1]
	v_add_nc_u32_e32 v0, s4, v0
	s_delay_alu instid0(VALU_DEP_2) | instskip(SKIP_1) | instid1(VALU_DEP_3)
	v_add_co_u32 v60, vcc_lo, s2, v60
	s_wait_alu 0xfffd
	v_add_co_ci_u32_e64 v61, null, s3, v61, vcc_lo
	global_store_b64 v[76:77], v[6:7], off
	global_load_b64 v[6:7], v[60:61], off
	s_wait_loadcnt 0x0
	v_mul_f64_e32 v[6:7], v[78:79], v[6:7]
	s_delay_alu instid0(VALU_DEP_1) | instskip(SKIP_2) | instid1(VALU_DEP_2)
	v_mul_f64_e32 v[6:7], v[48:49], v[6:7]
	v_lshlrev_b64_e32 v[48:49], 3, v[0:1]
	v_add_nc_u32_e32 v0, s4, v0
	v_add_co_u32 v48, vcc_lo, s2, v48
	s_wait_alu 0xfffd
	s_delay_alu instid0(VALU_DEP_3) | instskip(SKIP_4) | instid1(VALU_DEP_1)
	v_add_co_ci_u32_e64 v49, null, s3, v49, vcc_lo
	global_store_b64 v[60:61], v[6:7], off
	global_load_b64 v[6:7], v[48:49], off
	s_wait_loadcnt 0x0
	v_mul_f64_e32 v[6:7], v[78:79], v[6:7]
	v_mul_f64_e32 v[6:7], v[56:57], v[6:7]
	v_lshlrev_b64_e32 v[56:57], 3, v[0:1]
	v_add_nc_u32_e32 v0, s5, v0
	s_delay_alu instid0(VALU_DEP_1) | instskip(NEXT) | instid1(VALU_DEP_3)
	v_lshlrev_b64_e32 v[81:82], 3, v[0:1]
	v_add_co_u32 v56, vcc_lo, s2, v56
	s_wait_alu 0xfffd
	s_delay_alu instid0(VALU_DEP_4)
	v_add_co_ci_u32_e64 v57, null, s3, v57, vcc_lo
	global_store_b64 v[48:49], v[6:7], off
	global_load_b64 v[6:7], v[56:57], off
	s_clause 0x3
	global_load_b64 v[74:75], v[12:13], off
	global_load_b64 v[76:77], v[12:13], off
	;; [unrolled: 1-line block ×4, first 2 shown]
	s_wait_loadcnt 0x4
	v_mul_f64_e32 v[6:7], v[6:7], v[78:79]
	v_mad_co_u64_u32 v[78:79], null, 0xffffffed, s4, v[0:1]
	v_mov_b32_e32 v79, v1
	s_delay_alu instid0(VALU_DEP_1) | instskip(NEXT) | instid1(VALU_DEP_1)
	v_lshlrev_b64_e32 v[79:80], 3, v[78:79]
	v_add_co_u32 v79, vcc_lo, s0, v79
	s_wait_alu 0xfffd
	s_delay_alu instid0(VALU_DEP_2)
	v_add_co_ci_u32_e64 v80, null, s1, v80, vcc_lo
	v_add_co_u32 v81, vcc_lo, s2, v81
	s_wait_alu 0xfffd
	v_add_co_ci_u32_e64 v82, null, s3, v82, vcc_lo
	global_load_b64 v[83:84], v[79:80], off
	s_wait_loadcnt 0x4
	v_mul_f64_e32 v[6:7], v[6:7], v[74:75]
	global_store_b64 v[56:57], v[6:7], off
	global_load_b64 v[6:7], v[81:82], off
	v_add_co_u32 v56, vcc_lo, s0, v68
	s_wait_alu 0xfffd
	v_add_co_ci_u32_e64 v57, null, s1, v69, vcc_lo
	s_clause 0x2
	global_load_b64 v[68:69], v[79:80], off
	global_load_b64 v[79:80], v[56:57], off
	;; [unrolled: 1-line block ×3, first 2 shown]
	s_wait_loadcnt 0x3
	v_mul_f64_e32 v[6:7], v[6:7], v[83:84]
	s_wait_loadcnt 0x1
	v_mad_co_u64_u32 v[85:86], null, s4, 20, v[78:79]
	v_mov_b32_e32 v86, v1
	s_delay_alu instid0(VALU_DEP_1) | instskip(SKIP_1) | instid1(VALU_DEP_2)
	v_lshlrev_b64_e32 v[86:87], 3, v[85:86]
	v_add_nc_u32_e32 v0, s4, v85
	v_add_co_u32 v86, vcc_lo, s2, v86
	s_wait_alu 0xfffd
	s_delay_alu instid0(VALU_DEP_3)
	v_add_co_ci_u32_e64 v87, null, s3, v87, vcc_lo
	v_mul_f64_e32 v[6:7], v[6:7], v[74:75]
	global_store_b64 v[81:82], v[6:7], off
	global_load_b64 v[6:7], v[86:87], off
	v_lshlrev_b64_e32 v[81:82], 3, v[0:1]
	v_add_nc_u32_e32 v0, s4, v0
	s_delay_alu instid0(VALU_DEP_2) | instskip(SKIP_1) | instid1(VALU_DEP_3)
	v_add_co_u32 v81, vcc_lo, s2, v81
	s_wait_alu 0xfffd
	v_add_co_ci_u32_e64 v82, null, s3, v82, vcc_lo
	s_wait_loadcnt 0x0
	v_mul_f64_e32 v[6:7], v[6:7], v[83:84]
	s_delay_alu instid0(VALU_DEP_1) | instskip(SKIP_4) | instid1(VALU_DEP_2)
	v_mul_f64_e32 v[6:7], v[6:7], v[62:63]
	global_store_b64 v[86:87], v[6:7], off
	global_load_b64 v[6:7], v[81:82], off
	v_lshlrev_b64_e32 v[85:86], 3, v[0:1]
	v_add_nc_u32_e32 v0, s4, v0
	v_add_co_u32 v85, vcc_lo, s2, v85
	s_wait_alu 0xfffd
	s_delay_alu instid0(VALU_DEP_3) | instskip(SKIP_2) | instid1(VALU_DEP_1)
	v_add_co_ci_u32_e64 v86, null, s3, v86, vcc_lo
	s_wait_loadcnt 0x0
	v_mul_f64_e32 v[6:7], v[6:7], v[83:84]
	v_mul_f64_e32 v[6:7], v[6:7], v[26:27]
	global_store_b64 v[81:82], v[6:7], off
	global_load_b64 v[6:7], v[85:86], off
	s_wait_loadcnt 0x0
	v_mul_f64_e32 v[6:7], v[6:7], v[83:84]
	s_delay_alu instid0(VALU_DEP_1) | instskip(SKIP_2) | instid1(VALU_DEP_1)
	v_mul_f64_e32 v[6:7], v[6:7], v[70:71]
	v_lshlrev_b64_e32 v[70:71], 3, v[0:1]
	v_add_nc_u32_e32 v0, s4, v0
	v_lshlrev_b64_e32 v[81:82], 3, v[0:1]
	s_delay_alu instid0(VALU_DEP_3) | instskip(SKIP_1) | instid1(VALU_DEP_4)
	v_add_co_u32 v70, vcc_lo, s2, v70
	s_wait_alu 0xfffd
	v_add_co_ci_u32_e64 v71, null, s3, v71, vcc_lo
	v_add_nc_u32_e32 v0, s4, v0
	s_delay_alu instid0(VALU_DEP_4)
	v_add_co_u32 v81, vcc_lo, s2, v81
	s_wait_alu 0xfffd
	v_add_co_ci_u32_e64 v82, null, s3, v82, vcc_lo
	global_store_b64 v[85:86], v[6:7], off
	global_load_b64 v[6:7], v[70:71], off
	s_wait_loadcnt 0x0
	v_mul_f64_e32 v[6:7], v[6:7], v[52:53]
	global_store_b64 v[70:71], v[6:7], off
	global_load_b64 v[6:7], v[81:82], off
	v_lshlrev_b64_e32 v[70:71], 3, v[0:1]
	v_add_nc_u32_e32 v0, s4, v0
	s_delay_alu instid0(VALU_DEP_2) | instskip(SKIP_1) | instid1(VALU_DEP_3)
	v_add_co_u32 v70, vcc_lo, s2, v70
	s_wait_alu 0xfffd
	v_add_co_ci_u32_e64 v71, null, s3, v71, vcc_lo
	s_wait_loadcnt 0x0
	v_mul_f64_e32 v[6:7], v[6:7], v[74:75]
	global_store_b64 v[81:82], v[6:7], off
	global_load_b64 v[6:7], v[70:71], off
	s_wait_loadcnt 0x0
	v_mul_f64_e32 v[6:7], v[6:7], v[62:63]
	v_lshlrev_b64_e32 v[62:63], 3, v[0:1]
	v_add_nc_u32_e32 v0, s4, v0
	s_delay_alu instid0(VALU_DEP_2) | instskip(SKIP_1) | instid1(VALU_DEP_3)
	v_add_co_u32 v62, vcc_lo, s2, v62
	s_wait_alu 0xfffd
	v_add_co_ci_u32_e64 v63, null, s3, v63, vcc_lo
	global_store_b64 v[70:71], v[6:7], off
	global_load_b64 v[6:7], v[62:63], off
	s_wait_loadcnt 0x0
	v_mul_f64_e32 v[6:7], v[6:7], v[64:65]
	v_lshlrev_b64_e32 v[64:65], 3, v[0:1]
	v_add_nc_u32_e32 v0, s4, v0
	s_delay_alu instid0(VALU_DEP_2) | instskip(SKIP_1) | instid1(VALU_DEP_3)
	v_add_co_u32 v64, vcc_lo, s2, v64
	s_wait_alu 0xfffd
	v_add_co_ci_u32_e64 v65, null, s3, v65, vcc_lo
	global_store_b64 v[62:63], v[6:7], off
	global_load_b64 v[6:7], v[64:65], off
	v_lshlrev_b64_e32 v[62:63], 3, v[0:1]
	v_add_nc_u32_e32 v0, s4, v0
	s_delay_alu instid0(VALU_DEP_2) | instskip(SKIP_1) | instid1(VALU_DEP_3)
	v_add_co_u32 v62, vcc_lo, s2, v62
	s_wait_alu 0xfffd
	v_add_co_ci_u32_e64 v63, null, s3, v63, vcc_lo
	s_wait_loadcnt 0x0
	v_mul_f64_e32 v[6:7], v[6:7], v[26:27]
	global_store_b64 v[64:65], v[6:7], off
	global_load_b64 v[6:7], v[62:63], off
	v_lshlrev_b64_e32 v[64:65], 3, v[0:1]
	v_add_nc_u32_e32 v0, s4, v0
	s_delay_alu instid0(VALU_DEP_2) | instskip(SKIP_1) | instid1(VALU_DEP_3)
	v_add_co_u32 v64, vcc_lo, s2, v64
	s_wait_alu 0xfffd
	v_add_co_ci_u32_e64 v65, null, s3, v65, vcc_lo
	s_wait_loadcnt 0x0
	v_mul_f64_e32 v[6:7], v[6:7], v[83:84]
	global_store_b64 v[62:63], v[6:7], off
	global_load_b64 v[6:7], v[64:65], off
	s_clause 0x1
	global_load_b64 v[62:63], v[66:67], off
	global_load_b64 v[66:67], v[66:67], off
	s_wait_loadcnt 0x1
	v_mul_f64_e32 v[6:7], v[6:7], v[62:63]
	v_lshlrev_b64_e32 v[62:63], 3, v[0:1]
	v_add_nc_u32_e32 v0, s4, v0
	s_delay_alu instid0(VALU_DEP_2) | instskip(SKIP_1) | instid1(VALU_DEP_3)
	v_add_co_u32 v62, vcc_lo, s2, v62
	s_wait_alu 0xfffd
	v_add_co_ci_u32_e64 v63, null, s3, v63, vcc_lo
	global_store_b64 v[64:65], v[6:7], off
	global_load_b64 v[6:7], v[62:63], off
	v_lshlrev_b64_e32 v[64:65], 3, v[0:1]
	v_add_nc_u32_e32 v0, s4, v0
	s_delay_alu instid0(VALU_DEP_2) | instskip(SKIP_1) | instid1(VALU_DEP_3)
	v_add_co_u32 v64, vcc_lo, s2, v64
	s_wait_alu 0xfffd
	v_add_co_ci_u32_e64 v65, null, s3, v65, vcc_lo
	s_wait_loadcnt 0x0
	v_mul_f64_e32 v[6:7], v[6:7], v[18:19]
	global_store_b64 v[62:63], v[6:7], off
	global_load_b64 v[6:7], v[64:65], off
	v_lshlrev_b64_e32 v[62:63], 3, v[0:1]
	v_add_nc_u32_e32 v0, s4, v0
	s_delay_alu instid0(VALU_DEP_2) | instskip(SKIP_1) | instid1(VALU_DEP_3)
	v_add_co_u32 v62, vcc_lo, s2, v62
	s_wait_alu 0xfffd
	v_add_co_ci_u32_e64 v63, null, s3, v63, vcc_lo
	s_wait_loadcnt 0x0
	v_mul_f64_e32 v[6:7], v[6:7], v[18:19]
	;; [unrolled: 10-line block ×6, first 2 shown]
	global_store_b64 v[64:65], v[6:7], off
	global_load_b64 v[6:7], v[62:63], off
	s_wait_loadcnt 0x0
	v_mul_f64_e32 v[6:7], v[6:7], v[18:19]
	v_lshlrev_b64_e32 v[18:19], 3, v[0:1]
	v_add_nc_u32_e32 v0, s4, v0
	s_delay_alu instid0(VALU_DEP_2) | instskip(SKIP_1) | instid1(VALU_DEP_3)
	v_add_co_u32 v18, vcc_lo, s2, v18
	s_wait_alu 0xfffd
	v_add_co_ci_u32_e64 v19, null, s3, v19, vcc_lo
	global_store_b64 v[62:63], v[6:7], off
	global_load_b64 v[6:7], v[18:19], off
	v_lshlrev_b64_e32 v[62:63], 3, v[0:1]
	v_add_nc_u32_e32 v0, s4, v0
	s_delay_alu instid0(VALU_DEP_2) | instskip(SKIP_1) | instid1(VALU_DEP_3)
	v_add_co_u32 v62, vcc_lo, s2, v62
	s_wait_alu 0xfffd
	v_add_co_ci_u32_e64 v63, null, s3, v63, vcc_lo
	s_wait_loadcnt 0x0
	v_mul_f64_e32 v[6:7], v[6:7], v[50:51]
	global_store_b64 v[18:19], v[6:7], off
	global_load_b64 v[6:7], v[62:63], off
	v_lshlrev_b64_e32 v[18:19], 3, v[0:1]
	v_add_nc_u32_e32 v0, s4, v0
	s_delay_alu instid0(VALU_DEP_2) | instskip(SKIP_1) | instid1(VALU_DEP_3)
	v_add_co_u32 v18, vcc_lo, s2, v18
	s_wait_alu 0xfffd
	v_add_co_ci_u32_e64 v19, null, s3, v19, vcc_lo
	s_wait_loadcnt 0x0
	v_mul_f64_e32 v[6:7], v[6:7], v[52:53]
	;; [unrolled: 10-line block ×4, first 2 shown]
	v_lshlrev_b64_e32 v[26:27], 3, v[0:1]
	v_add_nc_u32_e32 v0, s4, v0
	s_delay_alu instid0(VALU_DEP_2) | instskip(SKIP_1) | instid1(VALU_DEP_3)
	v_add_co_u32 v26, vcc_lo, s2, v26
	s_wait_alu 0xfffd
	v_add_co_ci_u32_e64 v27, null, s3, v27, vcc_lo
	global_store_b64 v[62:63], v[6:7], off
	global_load_b64 v[6:7], v[18:19], off
	s_wait_loadcnt 0x0
	v_mul_f64_e32 v[6:7], v[6:7], v[76:77]
	global_store_b64 v[18:19], v[6:7], off
	global_load_b64 v[6:7], v[26:27], off
	v_lshlrev_b64_e32 v[18:19], 3, v[0:1]
	v_add_nc_u32_e32 v0, s4, v0
	s_delay_alu instid0(VALU_DEP_2) | instskip(SKIP_1) | instid1(VALU_DEP_3)
	v_add_co_u32 v18, vcc_lo, s2, v18
	s_wait_alu 0xfffd
	v_add_co_ci_u32_e64 v19, null, s3, v19, vcc_lo
	s_wait_loadcnt 0x0
	v_mul_f64_e32 v[6:7], v[6:7], v[76:77]
	global_store_b64 v[26:27], v[6:7], off
	global_load_b64 v[62:63], v[18:19], off
	s_clause 0x3
	global_load_b64 v[64:65], v[8:9], off
	global_load_b64 v[70:71], v[8:9], off
	;; [unrolled: 1-line block ×4, first 2 shown]
	s_wait_loadcnt 0x3
	v_mul_f64_e32 v[62:63], v[62:63], v[64:65]
	v_lshlrev_b64_e32 v[64:65], 3, v[0:1]
	s_delay_alu instid0(VALU_DEP_1) | instskip(SKIP_1) | instid1(VALU_DEP_2)
	v_add_co_u32 v64, vcc_lo, s2, v64
	s_wait_alu 0xfffd
	v_add_co_ci_u32_e64 v65, null, s3, v65, vcc_lo
	global_store_b64 v[18:19], v[62:63], off
	global_load_b64 v[18:19], v[64:65], off
	v_mad_co_u64_u32 v[62:63], null, s4, 3, v[0:1]
	v_mov_b32_e32 v63, v1
	s_delay_alu instid0(VALU_DEP_1) | instskip(SKIP_1) | instid1(VALU_DEP_1)
	v_lshlrev_b64_e32 v[74:75], 3, v[62:63]
	v_add_nc_u32_e32 v0, s4, v62
	v_lshlrev_b64_e32 v[62:63], 3, v[0:1]
	s_delay_alu instid0(VALU_DEP_3) | instskip(SKIP_1) | instid1(VALU_DEP_4)
	v_add_co_u32 v74, vcc_lo, s2, v74
	s_wait_alu 0xfffd
	v_add_co_ci_u32_e64 v75, null, s3, v75, vcc_lo
	v_add_nc_u32_e32 v0, s4, v0
	s_delay_alu instid0(VALU_DEP_4)
	v_add_co_u32 v62, vcc_lo, s2, v62
	s_wait_alu 0xfffd
	v_add_co_ci_u32_e64 v63, null, s3, v63, vcc_lo
	s_wait_loadcnt 0x0
	v_mul_f64_e32 v[18:19], v[18:19], v[68:69]
	global_store_b64 v[64:65], v[18:19], off
	global_load_b64 v[18:19], v[74:75], off
	v_lshlrev_b64_e32 v[64:65], 3, v[0:1]
	v_add_nc_u32_e32 v0, s4, v0
	s_delay_alu instid0(VALU_DEP_2) | instskip(SKIP_1) | instid1(VALU_DEP_3)
	v_add_co_u32 v64, vcc_lo, s2, v64
	s_wait_alu 0xfffd
	v_add_co_ci_u32_e64 v65, null, s3, v65, vcc_lo
	s_wait_loadcnt 0x0
	v_mul_f64_e32 v[18:19], v[18:19], v[72:73]
	global_store_b64 v[74:75], v[18:19], off
	global_load_b64 v[18:19], v[62:63], off
	s_wait_loadcnt 0x0
	v_mul_f64_e32 v[18:19], v[18:19], v[20:21]
	global_store_b64 v[62:63], v[18:19], off
	global_load_b64 v[18:19], v[64:65], off
	v_lshlrev_b64_e32 v[62:63], 3, v[0:1]
	v_add_nc_u32_e32 v0, s4, v0
	s_delay_alu instid0(VALU_DEP_2) | instskip(SKIP_1) | instid1(VALU_DEP_3)
	v_add_co_u32 v62, vcc_lo, s2, v62
	s_wait_alu 0xfffd
	v_add_co_ci_u32_e64 v63, null, s3, v63, vcc_lo
	s_wait_loadcnt 0x0
	v_mul_f64_e32 v[18:19], v[18:19], v[52:53]
	global_store_b64 v[64:65], v[18:19], off
	global_load_b64 v[18:19], v[62:63], off
	s_wait_loadcnt 0x0
	v_mul_f64_e32 v[18:19], v[18:19], v[52:53]
	v_lshlrev_b64_e32 v[52:53], 3, v[0:1]
	v_add_nc_u32_e32 v0, s4, v0
	s_delay_alu instid0(VALU_DEP_2) | instskip(SKIP_1) | instid1(VALU_DEP_3)
	v_add_co_u32 v52, vcc_lo, s2, v52
	s_wait_alu 0xfffd
	v_add_co_ci_u32_e64 v53, null, s3, v53, vcc_lo
	global_store_b64 v[62:63], v[18:19], off
	global_load_b64 v[18:19], v[52:53], off
	v_lshlrev_b64_e32 v[62:63], 3, v[0:1]
	v_add_nc_u32_e32 v0, s4, v0
	s_delay_alu instid0(VALU_DEP_2) | instskip(SKIP_1) | instid1(VALU_DEP_3)
	v_add_co_u32 v62, vcc_lo, s2, v62
	s_wait_alu 0xfffd
	v_add_co_ci_u32_e64 v63, null, s3, v63, vcc_lo
	s_wait_loadcnt 0x0
	v_mul_f64_e32 v[18:19], v[18:19], v[76:77]
	global_store_b64 v[52:53], v[18:19], off
	global_load_b64 v[18:19], v[62:63], off
	s_wait_loadcnt 0x0
	v_mul_f64_e32 v[18:19], v[18:19], v[50:51]
	v_lshlrev_b64_e32 v[50:51], 3, v[0:1]
	v_add_nc_u32_e32 v0, s4, v0
	s_delay_alu instid0(VALU_DEP_1) | instskip(NEXT) | instid1(VALU_DEP_3)
	v_lshlrev_b64_e32 v[52:53], 3, v[0:1]
	v_add_co_u32 v50, vcc_lo, s2, v50
	s_wait_alu 0xfffd
	s_delay_alu instid0(VALU_DEP_4) | instskip(SKIP_1) | instid1(VALU_DEP_4)
	v_add_co_ci_u32_e64 v51, null, s3, v51, vcc_lo
	v_add_nc_u32_e32 v0, s4, v0
	v_add_co_u32 v52, vcc_lo, s2, v52
	s_wait_alu 0xfffd
	v_add_co_ci_u32_e64 v53, null, s3, v53, vcc_lo
	global_store_b64 v[62:63], v[18:19], off
	global_load_b64 v[18:19], v[50:51], off
	s_wait_loadcnt 0x0
	v_mul_f64_e32 v[18:19], v[18:19], v[24:25]
	global_store_b64 v[50:51], v[18:19], off
	global_load_b64 v[18:19], v[52:53], off
	v_lshlrev_b64_e32 v[50:51], 3, v[0:1]
	v_add_nc_u32_e32 v0, s4, v0
	s_delay_alu instid0(VALU_DEP_2) | instskip(SKIP_1) | instid1(VALU_DEP_3)
	v_add_co_u32 v50, vcc_lo, s2, v50
	s_wait_alu 0xfffd
	v_add_co_ci_u32_e64 v51, null, s3, v51, vcc_lo
	s_wait_loadcnt 0x0
	v_mul_f64_e32 v[18:19], v[18:19], v[24:25]
	global_store_b64 v[52:53], v[18:19], off
	global_load_b64 v[18:19], v[50:51], off
	v_lshlrev_b64_e32 v[52:53], 3, v[0:1]
	v_add_nc_u32_e32 v0, s4, v0
	s_delay_alu instid0(VALU_DEP_2) | instskip(SKIP_1) | instid1(VALU_DEP_3)
	v_add_co_u32 v52, vcc_lo, s2, v52
	s_wait_alu 0xfffd
	v_add_co_ci_u32_e64 v53, null, s3, v53, vcc_lo
	;; [unrolled: 10-line block ×6, first 2 shown]
	s_wait_loadcnt 0x0
	v_mul_f64_e32 v[18:19], v[18:19], v[79:80]
	s_delay_alu instid0(VALU_DEP_1) | instskip(SKIP_4) | instid1(VALU_DEP_1)
	v_mul_f64_e32 v[18:19], v[18:19], v[20:21]
	global_store_b64 v[50:51], v[18:19], off
	global_load_b64 v[18:19], v[52:53], off
	s_wait_loadcnt 0x0
	v_mul_f64_e32 v[18:19], v[18:19], v[79:80]
	v_mul_f64_e32 v[18:19], v[18:19], v[20:21]
	v_lshlrev_b64_e32 v[20:21], 3, v[0:1]
	v_add_nc_u32_e32 v0, s4, v0
	s_delay_alu instid0(VALU_DEP_1) | instskip(NEXT) | instid1(VALU_DEP_3)
	v_lshlrev_b64_e32 v[50:51], 3, v[0:1]
	v_add_co_u32 v20, vcc_lo, s2, v20
	s_wait_alu 0xfffd
	s_delay_alu instid0(VALU_DEP_4) | instskip(SKIP_1) | instid1(VALU_DEP_4)
	v_add_co_ci_u32_e64 v21, null, s3, v21, vcc_lo
	v_add_nc_u32_e32 v0, s4, v0
	v_add_co_u32 v50, vcc_lo, s2, v50
	s_wait_alu 0xfffd
	v_add_co_ci_u32_e64 v51, null, s3, v51, vcc_lo
	global_store_b64 v[52:53], v[18:19], off
	global_load_b64 v[18:19], v[20:21], off
	s_wait_loadcnt 0x0
	v_mul_f64_e32 v[18:19], v[18:19], v[79:80]
	s_delay_alu instid0(VALU_DEP_1) | instskip(SKIP_4) | instid1(VALU_DEP_2)
	v_mul_f64_e32 v[18:19], v[18:19], v[44:45]
	global_store_b64 v[20:21], v[18:19], off
	global_load_b64 v[18:19], v[50:51], off
	v_lshlrev_b64_e32 v[20:21], 3, v[0:1]
	v_add_nc_u32_e32 v0, s4, v0
	v_add_co_u32 v20, vcc_lo, s2, v20
	s_wait_alu 0xfffd
	s_delay_alu instid0(VALU_DEP_3) | instskip(SKIP_2) | instid1(VALU_DEP_1)
	v_add_co_ci_u32_e64 v21, null, s3, v21, vcc_lo
	s_wait_loadcnt 0x0
	v_mul_f64_e32 v[18:19], v[18:19], v[79:80]
	v_mul_f64_e32 v[18:19], v[18:19], v[76:77]
	global_store_b64 v[50:51], v[18:19], off
	global_load_b64 v[18:19], v[20:21], off
	s_wait_loadcnt 0x0
	v_mul_f64_e32 v[18:19], v[18:19], v[79:80]
	s_delay_alu instid0(VALU_DEP_1) | instskip(SKIP_2) | instid1(VALU_DEP_2)
	v_mul_f64_e32 v[18:19], v[18:19], v[24:25]
	v_lshlrev_b64_e32 v[24:25], 3, v[0:1]
	v_add_nc_u32_e32 v0, s4, v0
	v_add_co_u32 v24, vcc_lo, s2, v24
	s_wait_alu 0xfffd
	s_delay_alu instid0(VALU_DEP_3) | instskip(SKIP_4) | instid1(VALU_DEP_1)
	v_add_co_ci_u32_e64 v25, null, s3, v25, vcc_lo
	global_store_b64 v[20:21], v[18:19], off
	global_load_b64 v[18:19], v[24:25], off
	v_lshlrev_b64_e32 v[20:21], 3, v[0:1]
	v_add_nc_u32_e32 v0, s4, v0
	v_mad_co_u64_u32 v[50:51], null, 0xffffffbb, s4, v[0:1]
	s_delay_alu instid0(VALU_DEP_3) | instskip(SKIP_1) | instid1(VALU_DEP_4)
	v_add_co_u32 v20, vcc_lo, s2, v20
	s_wait_alu 0xfffd
	v_add_co_ci_u32_e64 v21, null, s3, v21, vcc_lo
	v_mov_b32_e32 v51, v1
	s_delay_alu instid0(VALU_DEP_1) | instskip(SKIP_2) | instid1(VALU_DEP_1)
	v_lshlrev_b64_e32 v[51:52], 3, v[50:51]
	s_wait_loadcnt 0x0
	v_mul_f64_e32 v[18:19], v[18:19], v[79:80]
	v_mul_f64_e32 v[18:19], v[18:19], v[70:71]
	global_store_b64 v[24:25], v[18:19], off
	global_load_b64 v[18:19], v[20:21], off
	s_wait_loadcnt 0x0
	v_mul_f64_e32 v[24:25], v[18:19], v[79:80]
	v_lshlrev_b64_e32 v[18:19], 3, v[0:1]
	s_delay_alu instid0(VALU_DEP_1) | instskip(SKIP_1) | instid1(VALU_DEP_2)
	v_add_co_u32 v58, vcc_lo, s2, v18
	s_wait_alu 0xfffd
	v_add_co_ci_u32_e64 v59, null, s3, v19, vcc_lo
	v_add_co_u32 v18, vcc_lo, s0, v51
	s_wait_alu 0xfffd
	v_add_co_ci_u32_e64 v19, null, s1, v52, vcc_lo
	v_mad_co_u64_u32 v[50:51], null, 0x46, s4, v[50:51]
	s_delay_alu instid0(VALU_DEP_1)
	v_dual_mov_b32 v51, v1 :: v_dual_add_nc_u32 v0, s4, v50
	global_store_b64 v[20:21], v[24:25], off
	global_load_b64 v[62:63], v[58:59], off
	s_clause 0x3
	global_load_b64 v[64:65], v[18:19], off
	global_load_b64 v[52:53], v[18:19], off
	;; [unrolled: 1-line block ×4, first 2 shown]
	s_wait_loadcnt 0x3
	v_mul_f64_e32 v[62:63], v[62:63], v[64:65]
	s_delay_alu instid0(VALU_DEP_1) | instskip(SKIP_1) | instid1(VALU_DEP_1)
	v_mul_f64_e32 v[22:23], v[62:63], v[22:23]
	v_lshlrev_b64_e32 v[62:63], 3, v[50:51]
	v_add_co_u32 v62, vcc_lo, s2, v62
	s_wait_alu 0xfffd
	s_delay_alu instid0(VALU_DEP_2) | instskip(SKIP_4) | instid1(VALU_DEP_1)
	v_add_co_ci_u32_e64 v63, null, s3, v63, vcc_lo
	global_store_b64 v[58:59], v[22:23], off
	global_load_b64 v[22:23], v[62:63], off
	s_wait_loadcnt 0x0
	v_mul_f64_e32 v[22:23], v[22:23], v[64:65]
	v_mul_f64_e32 v[22:23], v[22:23], v[44:45]
	v_lshlrev_b64_e32 v[44:45], 3, v[0:1]
	v_add_nc_u32_e32 v0, s4, v0
	s_delay_alu instid0(VALU_DEP_1) | instskip(NEXT) | instid1(VALU_DEP_3)
	v_lshlrev_b64_e32 v[50:51], 3, v[0:1]
	v_add_co_u32 v44, vcc_lo, s2, v44
	s_wait_alu 0xfffd
	s_delay_alu instid0(VALU_DEP_4) | instskip(SKIP_1) | instid1(VALU_DEP_4)
	v_add_co_ci_u32_e64 v45, null, s3, v45, vcc_lo
	v_add_nc_u32_e32 v0, s4, v0
	v_add_co_u32 v50, vcc_lo, s2, v50
	s_wait_alu 0xfffd
	v_add_co_ci_u32_e64 v51, null, s3, v51, vcc_lo
	global_store_b64 v[62:63], v[22:23], off
	global_load_b64 v[22:23], v[44:45], off
	s_wait_loadcnt 0x0
	v_mul_f64_e32 v[22:23], v[22:23], v[64:65]
	s_delay_alu instid0(VALU_DEP_1) | instskip(SKIP_4) | instid1(VALU_DEP_1)
	v_mul_f64_e32 v[22:23], v[22:23], v[60:61]
	global_store_b64 v[44:45], v[22:23], off
	global_load_b64 v[22:23], v[50:51], off
	v_lshlrev_b64_e32 v[44:45], 3, v[0:1]
	v_add_nc_u32_e32 v0, s4, v0
	v_lshlrev_b64_e32 v[66:67], 3, v[0:1]
	s_delay_alu instid0(VALU_DEP_3) | instskip(SKIP_1) | instid1(VALU_DEP_4)
	v_add_co_u32 v58, vcc_lo, s2, v44
	s_wait_alu 0xfffd
	v_add_co_ci_u32_e64 v59, null, s3, v45, vcc_lo
	v_add_nc_u32_e32 v0, s4, v0
	s_delay_alu instid0(VALU_DEP_4) | instskip(SKIP_4) | instid1(VALU_DEP_1)
	v_add_co_u32 v66, vcc_lo, s2, v66
	s_wait_alu 0xfffd
	v_add_co_ci_u32_e64 v67, null, s3, v67, vcc_lo
	s_wait_loadcnt 0x0
	v_mul_f64_e32 v[22:23], v[22:23], v[64:65]
	v_mul_f64_e32 v[22:23], v[22:23], v[60:61]
	global_store_b64 v[50:51], v[22:23], off
	global_load_b64 v[22:23], v[58:59], off
	s_clause 0x3
	global_load_b64 v[60:61], v[2:3], off
	global_load_b64 v[62:63], v[2:3], off
	;; [unrolled: 1-line block ×4, first 2 shown]
	s_wait_loadcnt 0x4
	v_mul_f64_e32 v[22:23], v[22:23], v[64:65]
	s_wait_loadcnt 0x3
	s_delay_alu instid0(VALU_DEP_1) | instskip(SKIP_4) | instid1(VALU_DEP_2)
	v_mul_f64_e32 v[22:23], v[22:23], v[60:61]
	global_store_b64 v[58:59], v[22:23], off
	global_load_b64 v[22:23], v[66:67], off
	v_lshlrev_b64_e32 v[58:59], 3, v[0:1]
	v_add_nc_u32_e32 v0, s4, v0
	v_add_co_u32 v58, vcc_lo, s2, v58
	s_wait_alu 0xfffd
	s_delay_alu instid0(VALU_DEP_3) | instskip(SKIP_2) | instid1(VALU_DEP_1)
	v_add_co_ci_u32_e64 v59, null, s3, v59, vcc_lo
	s_wait_loadcnt 0x0
	v_mul_f64_e32 v[22:23], v[22:23], v[64:65]
	v_mul_f64_e32 v[22:23], v[22:23], v[60:61]
	v_lshlrev_b64_e32 v[60:61], 3, v[0:1]
	v_add_nc_u32_e32 v0, s4, v0
	s_delay_alu instid0(VALU_DEP_2) | instskip(SKIP_1) | instid1(VALU_DEP_3)
	v_add_co_u32 v60, vcc_lo, s2, v60
	s_wait_alu 0xfffd
	v_add_co_ci_u32_e64 v61, null, s3, v61, vcc_lo
	global_store_b64 v[66:67], v[22:23], off
	global_load_b64 v[22:23], v[58:59], off
	s_wait_loadcnt 0x0
	v_mul_f64_e32 v[22:23], v[22:23], v[64:65]
	s_delay_alu instid0(VALU_DEP_1) | instskip(SKIP_4) | instid1(VALU_DEP_2)
	v_mul_f64_e32 v[22:23], v[22:23], v[70:71]
	global_store_b64 v[58:59], v[22:23], off
	global_load_b64 v[22:23], v[60:61], off
	v_lshlrev_b64_e32 v[58:59], 3, v[0:1]
	v_add_nc_u32_e32 v0, s4, v0
	v_add_co_u32 v58, vcc_lo, s2, v58
	s_wait_alu 0xfffd
	s_delay_alu instid0(VALU_DEP_3) | instskip(SKIP_2) | instid1(VALU_DEP_1)
	v_add_co_ci_u32_e64 v59, null, s3, v59, vcc_lo
	s_wait_loadcnt 0x0
	v_mul_f64_e32 v[22:23], v[22:23], v[64:65]
	v_mul_f64_e32 v[22:23], v[22:23], v[70:71]
	global_store_b64 v[60:61], v[22:23], off
	global_load_b64 v[22:23], v[58:59], off
	s_wait_loadcnt 0x0
	v_mul_f64_e32 v[22:23], v[22:23], v[64:65]
	s_delay_alu instid0(VALU_DEP_1) | instskip(SKIP_2) | instid1(VALU_DEP_2)
	v_mul_f64_e32 v[22:23], v[22:23], v[54:55]
	v_lshlrev_b64_e32 v[54:55], 3, v[0:1]
	v_add_nc_u32_e32 v0, s4, v0
	v_add_co_u32 v54, vcc_lo, s2, v54
	s_wait_alu 0xfffd
	s_delay_alu instid0(VALU_DEP_3) | instskip(SKIP_4) | instid1(VALU_DEP_2)
	v_add_co_ci_u32_e64 v55, null, s3, v55, vcc_lo
	global_store_b64 v[58:59], v[22:23], off
	global_load_b64 v[22:23], v[54:55], off
	v_lshlrev_b64_e32 v[58:59], 3, v[0:1]
	v_add_nc_u32_e32 v0, s4, v0
	v_add_co_u32 v58, vcc_lo, s2, v58
	s_wait_alu 0xfffd
	s_delay_alu instid0(VALU_DEP_3)
	v_add_co_ci_u32_e64 v59, null, s3, v59, vcc_lo
	s_wait_loadcnt 0x0
	v_mul_f64_e32 v[22:23], v[22:23], v[64:65]
	global_store_b64 v[54:55], v[22:23], off
	global_load_b64 v[22:23], v[58:59], off
	v_lshlrev_b64_e32 v[54:55], 3, v[0:1]
	v_add_nc_u32_e32 v0, s4, v0
	s_delay_alu instid0(VALU_DEP_2) | instskip(SKIP_1) | instid1(VALU_DEP_3)
	v_add_co_u32 v54, vcc_lo, s2, v54
	s_wait_alu 0xfffd
	v_add_co_ci_u32_e64 v55, null, s3, v55, vcc_lo
	s_wait_loadcnt 0x0
	v_mul_f64_e32 v[22:23], v[22:23], v[64:65]
	global_store_b64 v[58:59], v[22:23], off
	global_load_b64 v[22:23], v[54:55], off
	v_lshlrev_b64_e32 v[58:59], 3, v[0:1]
	v_add_nc_u32_e32 v0, s4, v0
	s_delay_alu instid0(VALU_DEP_2) | instskip(SKIP_1) | instid1(VALU_DEP_3)
	v_add_co_u32 v58, vcc_lo, s2, v58
	s_wait_alu 0xfffd
	;; [unrolled: 10-line block ×3, first 2 shown]
	v_add_co_ci_u32_e64 v55, null, s3, v55, vcc_lo
	s_wait_loadcnt 0x0
	v_mul_f64_e32 v[22:23], v[22:23], v[64:65]
	s_delay_alu instid0(VALU_DEP_1) | instskip(SKIP_2) | instid1(VALU_DEP_2)
	v_mul_f64_e32 v[22:23], v[22:23], v[56:57]
	v_lshlrev_b64_e32 v[56:57], 3, v[0:1]
	v_add_nc_u32_e32 v0, s4, v0
	v_add_co_u32 v56, vcc_lo, s2, v56
	s_wait_alu 0xfffd
	s_delay_alu instid0(VALU_DEP_3)
	v_add_co_ci_u32_e64 v57, null, s3, v57, vcc_lo
	global_store_b64 v[58:59], v[22:23], off
	global_load_b64 v[22:23], v[54:55], off
	s_wait_loadcnt 0x0
	v_mul_f64_e32 v[22:23], v[22:23], v[64:65]
	global_store_b64 v[54:55], v[22:23], off
	global_load_b64 v[22:23], v[56:57], off
	v_lshlrev_b64_e32 v[54:55], 3, v[0:1]
	v_add_nc_u32_e32 v0, s4, v0
	s_delay_alu instid0(VALU_DEP_2) | instskip(SKIP_1) | instid1(VALU_DEP_3)
	v_add_co_u32 v54, vcc_lo, s2, v54
	s_wait_alu 0xfffd
	v_add_co_ci_u32_e64 v55, null, s3, v55, vcc_lo
	s_wait_loadcnt 0x0
	v_mul_f64_e32 v[22:23], v[22:23], v[64:65]
	global_store_b64 v[56:57], v[22:23], off
	global_load_b64 v[22:23], v[54:55], off
	v_lshlrev_b64_e32 v[56:57], 3, v[0:1]
	v_add_nc_u32_e32 v0, s4, v0
	s_delay_alu instid0(VALU_DEP_2) | instskip(SKIP_1) | instid1(VALU_DEP_3)
	v_add_co_u32 v56, vcc_lo, s2, v56
	s_wait_alu 0xfffd
	v_add_co_ci_u32_e64 v57, null, s3, v57, vcc_lo
	s_wait_loadcnt 0x0
	v_mul_f64_e32 v[22:23], v[22:23], v[64:65]
	s_delay_alu instid0(VALU_DEP_1) | instskip(SKIP_4) | instid1(VALU_DEP_2)
	v_mul_f64_e32 v[22:23], v[64:65], v[22:23]
	global_store_b64 v[54:55], v[22:23], off
	global_load_b64 v[22:23], v[56:57], off
	v_lshlrev_b64_e32 v[54:55], 3, v[0:1]
	v_add_nc_u32_e32 v0, s4, v0
	v_add_co_u32 v54, vcc_lo, s2, v54
	s_wait_alu 0xfffd
	s_delay_alu instid0(VALU_DEP_3)
	v_add_co_ci_u32_e64 v55, null, s3, v55, vcc_lo
	v_add_co_u32 v46, vcc_lo, s0, v46
	s_wait_alu 0xfffd
	v_add_co_ci_u32_e64 v47, null, s1, v47, vcc_lo
	v_add_co_u32 v40, vcc_lo, s0, v40
	s_wait_alu 0xfffd
	v_add_co_ci_u32_e64 v41, null, s1, v41, vcc_lo
	global_load_b64 v[46:47], v[46:47], off
	s_wait_loadcnt 0x1
	v_mul_f64_e32 v[22:23], v[22:23], v[64:65]
	s_delay_alu instid0(VALU_DEP_1) | instskip(SKIP_4) | instid1(VALU_DEP_1)
	v_mul_f64_e32 v[22:23], v[64:65], v[22:23]
	global_store_b64 v[56:57], v[22:23], off
	global_load_b64 v[22:23], v[54:55], off
	v_lshlrev_b64_e32 v[56:57], 3, v[0:1]
	v_add_nc_u32_e32 v0, s4, v0
	v_lshlrev_b64_e32 v[58:59], 3, v[0:1]
	v_add_nc_u32_e32 v0, s4, v0
	s_delay_alu instid0(VALU_DEP_1) | instskip(SKIP_1) | instid1(VALU_DEP_1)
	v_lshlrev_b64_e32 v[60:61], 3, v[0:1]
	v_add_nc_u32_e32 v0, s4, v0
	v_lshlrev_b64_e32 v[66:67], 3, v[0:1]
	v_add_nc_u32_e32 v0, s4, v0
	s_delay_alu instid0(VALU_DEP_1) | instskip(SKIP_3) | instid1(VALU_DEP_2)
	v_lshlrev_b64_e32 v[68:69], 3, v[0:1]
	v_add_nc_u32_e32 v0, s4, v0
	s_wait_loadcnt 0x0
	v_mul_f64_e32 v[22:23], v[22:23], v[64:65]
	v_lshlrev_b64_e32 v[64:65], 3, v[0:1]
	v_add_nc_u32_e32 v0, s4, v0
	s_delay_alu instid0(VALU_DEP_1) | instskip(SKIP_1) | instid1(VALU_DEP_1)
	v_mad_co_u64_u32 v[70:71], null, 0xffffffa4, s4, v[0:1]
	v_mov_b32_e32 v71, v1
	v_lshlrev_b64_e32 v[71:72], 3, v[70:71]
	s_delay_alu instid0(VALU_DEP_1) | instskip(SKIP_1) | instid1(VALU_DEP_2)
	v_add_co_u32 v71, vcc_lo, s0, v71
	s_wait_alu 0xfffd
	v_add_co_ci_u32_e64 v72, null, s1, v72, vcc_lo
	v_add_co_u32 v42, vcc_lo, s0, v42
	s_wait_alu 0xfffd
	v_add_co_ci_u32_e64 v43, null, s1, v43, vcc_lo
	;; [unrolled: 3-line block ×3, first 2 shown]
	s_clause 0x2
	global_load_b64 v[71:72], v[71:72], off
	global_load_b64 v[73:74], v[40:41], off
	;; [unrolled: 1-line block ×3, first 2 shown]
	v_add_co_u32 v58, vcc_lo, s2, v58
	s_wait_alu 0xfffd
	v_add_co_ci_u32_e64 v59, null, s3, v59, vcc_lo
	v_mul_f64_e32 v[22:23], v[22:23], v[46:47]
	global_store_b64 v[54:55], v[22:23], off
	global_load_b64 v[22:23], v[56:57], off
	s_clause 0x3
	global_load_b64 v[54:55], v[4:5], off
	global_load_b64 v[75:76], v[4:5], off
	;; [unrolled: 1-line block ×4, first 2 shown]
	s_wait_loadcnt 0x3
	v_mul_f64_e32 v[22:23], v[22:23], v[54:55]
	global_store_b64 v[56:57], v[22:23], off
	global_load_b64 v[22:23], v[58:59], off
	v_add_co_u32 v56, vcc_lo, s2, v60
	s_wait_alu 0xfffd
	v_add_co_ci_u32_e64 v57, null, s3, v61, vcc_lo
	s_wait_loadcnt 0x0
	v_mul_f64_e32 v[22:23], v[22:23], v[54:55]
	global_store_b64 v[58:59], v[22:23], off
	global_load_b64 v[22:23], v[56:57], off
	v_add_co_u32 v58, vcc_lo, s2, v66
	s_wait_alu 0xfffd
	v_add_co_ci_u32_e64 v59, null, s3, v67, vcc_lo
	;; [unrolled: 7-line block ×4, first 2 shown]
	s_wait_loadcnt 0x0
	v_mul_f64_e32 v[22:23], v[22:23], v[48:49]
	global_store_b64 v[56:57], v[22:23], off
	global_load_b64 v[22:23], v[58:59], off
	v_lshlrev_b64_e32 v[56:57], 3, v[0:1]
	s_delay_alu instid0(VALU_DEP_1) | instskip(SKIP_1) | instid1(VALU_DEP_2)
	v_add_co_u32 v56, vcc_lo, s2, v56
	s_wait_alu 0xfffd
	v_add_co_ci_u32_e64 v57, null, s3, v57, vcc_lo
	s_wait_loadcnt 0x0
	v_mul_f64_e32 v[22:23], v[22:23], v[62:63]
	global_store_b64 v[58:59], v[22:23], off
	global_load_b64 v[22:23], v[56:57], off
	v_mad_co_u64_u32 v[58:59], null, 0x5d, s4, v[70:71]
	v_mov_b32_e32 v59, v1
	s_delay_alu instid0(VALU_DEP_1) | instskip(SKIP_1) | instid1(VALU_DEP_2)
	v_lshlrev_b64_e32 v[59:60], 3, v[58:59]
	v_add_nc_u32_e32 v0, s4, v58
	v_add_co_u32 v59, vcc_lo, s2, v59
	s_wait_alu 0xfffd
	s_delay_alu instid0(VALU_DEP_3) | instskip(SKIP_2) | instid1(VALU_DEP_1)
	v_add_co_ci_u32_e64 v60, null, s3, v60, vcc_lo
	s_wait_loadcnt 0x0
	v_mul_f64_e32 v[22:23], v[22:23], v[71:72]
	v_mul_f64_e32 v[22:23], v[22:23], v[54:55]
	global_store_b64 v[56:57], v[22:23], off
	global_load_b64 v[22:23], v[59:60], off
	v_lshlrev_b64_e32 v[56:57], 3, v[0:1]
	v_add_nc_u32_e32 v0, s4, v0
	s_delay_alu instid0(VALU_DEP_2) | instskip(SKIP_1) | instid1(VALU_DEP_3)
	v_add_co_u32 v56, vcc_lo, s2, v56
	s_wait_alu 0xfffd
	v_add_co_ci_u32_e64 v57, null, s3, v57, vcc_lo
	s_wait_loadcnt 0x0
	v_mul_f64_e32 v[22:23], v[22:23], v[71:72]
	s_delay_alu instid0(VALU_DEP_1) | instskip(SKIP_4) | instid1(VALU_DEP_1)
	v_mul_f64_e32 v[22:23], v[22:23], v[38:39]
	global_store_b64 v[59:60], v[22:23], off
	global_load_b64 v[22:23], v[56:57], off
	s_wait_loadcnt 0x0
	v_mul_f64_e32 v[22:23], v[22:23], v[71:72]
	v_mul_f64_e32 v[22:23], v[22:23], v[48:49]
	v_lshlrev_b64_e32 v[48:49], 3, v[0:1]
	v_add_nc_u32_e32 v0, s4, v0
	s_delay_alu instid0(VALU_DEP_2) | instskip(SKIP_1) | instid1(VALU_DEP_3)
	v_add_co_u32 v48, vcc_lo, s2, v48
	s_wait_alu 0xfffd
	v_add_co_ci_u32_e64 v49, null, s3, v49, vcc_lo
	global_store_b64 v[56:57], v[22:23], off
	global_load_b64 v[22:23], v[48:49], off
	v_lshlrev_b64_e32 v[56:57], 3, v[0:1]
	v_add_nc_u32_e32 v0, s4, v0
	s_delay_alu instid0(VALU_DEP_2) | instskip(SKIP_1) | instid1(VALU_DEP_3)
	v_add_co_u32 v56, vcc_lo, s2, v56
	s_wait_alu 0xfffd
	v_add_co_ci_u32_e64 v57, null, s3, v57, vcc_lo
	s_wait_loadcnt 0x0
	v_mul_f64_e32 v[22:23], v[22:23], v[71:72]
	global_store_b64 v[48:49], v[22:23], off
	global_load_b64 v[22:23], v[56:57], off
	v_lshlrev_b64_e32 v[48:49], 3, v[0:1]
	v_add_nc_u32_e32 v0, s4, v0
	s_delay_alu instid0(VALU_DEP_2) | instskip(SKIP_1) | instid1(VALU_DEP_3)
	v_add_co_u32 v48, vcc_lo, s2, v48
	s_wait_alu 0xfffd
	v_add_co_ci_u32_e64 v49, null, s3, v49, vcc_lo
	s_wait_loadcnt 0x0
	v_mul_f64_e32 v[22:23], v[22:23], v[71:72]
	global_store_b64 v[56:57], v[22:23], off
	global_load_b64 v[22:23], v[48:49], off
	v_lshlrev_b64_e32 v[56:57], 3, v[0:1]
	v_add_nc_u32_e32 v0, s4, v0
	s_delay_alu instid0(VALU_DEP_2) | instskip(SKIP_1) | instid1(VALU_DEP_3)
	v_add_co_u32 v56, vcc_lo, s2, v56
	s_wait_alu 0xfffd
	v_add_co_ci_u32_e64 v57, null, s3, v57, vcc_lo
	s_wait_loadcnt 0x0
	v_mul_f64_e32 v[22:23], v[22:23], v[71:72]
	global_store_b64 v[48:49], v[22:23], off
	global_load_b64 v[22:23], v[56:57], off
	v_lshlrev_b64_e32 v[48:49], 3, v[0:1]
	v_add_nc_u32_e32 v0, s4, v0
	s_delay_alu instid0(VALU_DEP_2) | instskip(SKIP_1) | instid1(VALU_DEP_3)
	v_add_co_u32 v48, vcc_lo, s2, v48
	s_wait_alu 0xfffd
	v_add_co_ci_u32_e64 v49, null, s3, v49, vcc_lo
	s_wait_loadcnt 0x0
	v_mul_f64_e32 v[22:23], v[22:23], v[46:47]
	s_delay_alu instid0(VALU_DEP_1) | instskip(SKIP_4) | instid1(VALU_DEP_1)
	v_mul_f64_e32 v[22:23], v[22:23], v[54:55]
	global_store_b64 v[56:57], v[22:23], off
	global_load_b64 v[22:23], v[48:49], off
	s_wait_loadcnt 0x0
	v_mul_f64_e32 v[22:23], v[22:23], v[46:47]
	v_mul_f64_e32 v[22:23], v[22:23], v[38:39]
	v_lshlrev_b64_e32 v[38:39], 3, v[0:1]
	v_add_nc_u32_e32 v0, s4, v0
	s_delay_alu instid0(VALU_DEP_2) | instskip(SKIP_1) | instid1(VALU_DEP_3)
	v_add_co_u32 v38, vcc_lo, s2, v38
	s_wait_alu 0xfffd
	v_add_co_ci_u32_e64 v39, null, s3, v39, vcc_lo
	global_store_b64 v[48:49], v[22:23], off
	global_load_b64 v[22:23], v[38:39], off
	v_lshlrev_b64_e32 v[48:49], 3, v[0:1]
	v_add_nc_u32_e32 v0, s4, v0
	s_delay_alu instid0(VALU_DEP_2) | instskip(SKIP_1) | instid1(VALU_DEP_3)
	v_add_co_u32 v48, vcc_lo, s2, v48
	s_wait_alu 0xfffd
	v_add_co_ci_u32_e64 v49, null, s3, v49, vcc_lo
	s_wait_loadcnt 0x0
	v_mul_f64_e32 v[22:23], v[22:23], v[46:47]
	s_delay_alu instid0(VALU_DEP_1) | instskip(SKIP_4) | instid1(VALU_DEP_2)
	v_mul_f64_e32 v[22:23], v[22:23], v[62:63]
	global_store_b64 v[38:39], v[22:23], off
	global_load_b64 v[22:23], v[48:49], off
	v_lshlrev_b64_e32 v[38:39], 3, v[0:1]
	v_add_nc_u32_e32 v0, s4, v0
	v_add_co_u32 v38, vcc_lo, s2, v38
	s_wait_alu 0xfffd
	s_delay_alu instid0(VALU_DEP_3)
	v_add_co_ci_u32_e64 v39, null, s3, v39, vcc_lo
	s_wait_loadcnt 0x0
	v_mul_f64_e32 v[22:23], v[22:23], v[46:47]
	global_store_b64 v[48:49], v[22:23], off
	global_load_b64 v[22:23], v[38:39], off
	v_lshlrev_b64_e32 v[48:49], 3, v[0:1]
	v_add_nc_u32_e32 v0, s4, v0
	s_delay_alu instid0(VALU_DEP_2) | instskip(SKIP_1) | instid1(VALU_DEP_3)
	v_add_co_u32 v48, vcc_lo, s2, v48
	s_wait_alu 0xfffd
	v_add_co_ci_u32_e64 v49, null, s3, v49, vcc_lo
	s_wait_loadcnt 0x0
	v_mul_f64_e32 v[22:23], v[22:23], v[46:47]
	global_store_b64 v[38:39], v[22:23], off
	global_load_b64 v[22:23], v[48:49], off
	v_lshlrev_b64_e32 v[38:39], 3, v[0:1]
	v_add_nc_u32_e32 v0, s5, v0
	s_delay_alu instid0(VALU_DEP_2) | instskip(SKIP_1) | instid1(VALU_DEP_3)
	v_add_co_u32 v38, vcc_lo, s2, v38
	s_wait_alu 0xfffd
	v_add_co_ci_u32_e64 v39, null, s3, v39, vcc_lo
	s_wait_loadcnt 0x0
	v_mul_f64_e32 v[22:23], v[22:23], v[46:47]
	s_delay_alu instid0(VALU_DEP_1) | instskip(SKIP_2) | instid1(VALU_DEP_2)
	v_mul_f64_e32 v[22:23], v[46:47], v[22:23]
	v_lshlrev_b64_e32 v[46:47], 3, v[0:1]
	v_add_nc_u32_e32 v0, s4, v0
	v_add_co_u32 v46, vcc_lo, s2, v46
	s_wait_alu 0xfffd
	s_delay_alu instid0(VALU_DEP_3)
	v_add_co_ci_u32_e64 v47, null, s3, v47, vcc_lo
	global_store_b64 v[48:49], v[22:23], off
	global_load_b64 v[22:23], v[38:39], off
	s_wait_loadcnt 0x0
	v_mul_f64_e32 v[22:23], v[22:23], v[73:74]
	global_store_b64 v[38:39], v[22:23], off
	global_load_b64 v[22:23], v[46:47], off
	global_load_b64 v[48:49], v[36:37], off
	s_wait_loadcnt 0x1
	v_mul_f64_e32 v[54:55], v[22:23], v[73:74]
	s_clause 0x2
	global_load_b64 v[56:57], v[36:37], off
	global_load_b64 v[38:39], v[36:37], off
	;; [unrolled: 1-line block ×3, first 2 shown]
	s_wait_loadcnt 0x3
	v_mul_f64_e32 v[36:37], v[54:55], v[48:49]
	v_lshlrev_b64_e32 v[54:55], 3, v[0:1]
	v_add_nc_u32_e32 v0, s4, v0
	s_delay_alu instid0(VALU_DEP_2) | instskip(SKIP_1) | instid1(VALU_DEP_3)
	v_add_co_u32 v54, vcc_lo, s2, v54
	s_wait_alu 0xfffd
	v_add_co_ci_u32_e64 v55, null, s3, v55, vcc_lo
	global_store_b64 v[46:47], v[36:37], off
	global_load_b64 v[36:37], v[54:55], off
	v_lshlrev_b64_e32 v[46:47], 3, v[0:1]
	v_add_nc_u32_e32 v0, s4, v0
	s_delay_alu instid0(VALU_DEP_1) | instskip(NEXT) | instid1(VALU_DEP_3)
	v_lshlrev_b64_e32 v[64:65], 3, v[0:1]
	v_add_co_u32 v46, vcc_lo, s2, v46
	s_wait_alu 0xfffd
	s_delay_alu instid0(VALU_DEP_4) | instskip(SKIP_1) | instid1(VALU_DEP_4)
	v_add_co_ci_u32_e64 v47, null, s3, v47, vcc_lo
	v_add_nc_u32_e32 v0, s4, v0
	v_add_co_u32 v64, vcc_lo, s2, v64
	s_wait_alu 0xfffd
	v_add_co_ci_u32_e64 v65, null, s3, v65, vcc_lo
	s_wait_loadcnt 0x0
	v_mul_f64_e32 v[36:37], v[36:37], v[73:74]
	s_delay_alu instid0(VALU_DEP_1)
	v_mul_f64_e32 v[36:37], v[36:37], v[48:49]
	global_store_b64 v[54:55], v[36:37], off
	global_load_b64 v[36:37], v[46:47], off
	global_load_b64 v[54:55], v[12:13], off
	s_wait_loadcnt 0x1
	v_mul_f64_e32 v[58:59], v[36:37], v[73:74]
	s_clause 0x2
	global_load_b64 v[60:61], v[12:13], off
	global_load_b64 v[62:63], v[12:13], off
	;; [unrolled: 1-line block ×3, first 2 shown]
	s_wait_loadcnt 0x3
	v_mul_f64_e32 v[58:59], v[58:59], v[54:55]
	global_store_b64 v[46:47], v[58:59], off
	global_load_b64 v[46:47], v[64:65], off
	v_lshlrev_b64_e32 v[58:59], 3, v[0:1]
	v_add_nc_u32_e32 v0, s5, v0
	s_delay_alu instid0(VALU_DEP_2) | instskip(SKIP_1) | instid1(VALU_DEP_3)
	v_add_co_u32 v58, vcc_lo, s2, v58
	s_wait_alu 0xfffd
	v_add_co_ci_u32_e64 v59, null, s3, v59, vcc_lo
	s_wait_loadcnt 0x0
	v_mul_f64_e32 v[46:47], v[46:47], v[73:74]
	s_delay_alu instid0(VALU_DEP_1) | instskip(SKIP_4) | instid1(VALU_DEP_2)
	v_mul_f64_e32 v[46:47], v[46:47], v[54:55]
	global_store_b64 v[64:65], v[46:47], off
	global_load_b64 v[46:47], v[58:59], off
	v_lshlrev_b64_e32 v[64:65], 3, v[0:1]
	v_add_nc_u32_e32 v0, s4, v0
	v_add_co_u32 v64, vcc_lo, s2, v64
	s_wait_alu 0xfffd
	s_delay_alu instid0(VALU_DEP_3)
	v_add_co_ci_u32_e64 v65, null, s3, v65, vcc_lo
	s_wait_loadcnt 0x0
	v_mul_f64_e32 v[46:47], v[46:47], v[73:74]
	global_store_b64 v[58:59], v[46:47], off
	global_load_b64 v[46:47], v[64:65], off
	v_lshlrev_b64_e32 v[58:59], 3, v[0:1]
	v_add_nc_u32_e32 v0, s4, v0
	s_delay_alu instid0(VALU_DEP_2) | instskip(SKIP_1) | instid1(VALU_DEP_3)
	v_add_co_u32 v58, vcc_lo, s2, v58
	s_wait_alu 0xfffd
	v_add_co_ci_u32_e64 v59, null, s3, v59, vcc_lo
	s_wait_loadcnt 0x0
	v_mul_f64_e32 v[46:47], v[46:47], v[75:76]
	global_store_b64 v[64:65], v[46:47], off
	global_load_b64 v[46:47], v[58:59], off
	v_lshlrev_b64_e32 v[64:65], 3, v[0:1]
	v_add_nc_u32_e32 v0, s4, v0
	s_delay_alu instid0(VALU_DEP_2) | instskip(SKIP_1) | instid1(VALU_DEP_3)
	v_add_co_u32 v64, vcc_lo, s2, v64
	s_wait_alu 0xfffd
	;; [unrolled: 10-line block ×5, first 2 shown]
	v_add_co_ci_u32_e64 v59, null, s3, v59, vcc_lo
	s_wait_loadcnt 0x0
	v_mul_f64_e32 v[46:47], v[46:47], v[42:43]
	s_delay_alu instid0(VALU_DEP_1) | instskip(SKIP_4) | instid1(VALU_DEP_2)
	v_mul_f64_e32 v[46:47], v[46:47], v[75:76]
	global_store_b64 v[64:65], v[46:47], off
	global_load_b64 v[46:47], v[58:59], off
	v_lshlrev_b64_e32 v[64:65], 3, v[0:1]
	v_add_nc_u32_e32 v0, s4, v0
	v_add_co_u32 v64, vcc_lo, s2, v64
	s_wait_alu 0xfffd
	s_delay_alu instid0(VALU_DEP_3) | instskip(SKIP_2) | instid1(VALU_DEP_1)
	v_add_co_ci_u32_e64 v65, null, s3, v65, vcc_lo
	s_wait_loadcnt 0x0
	v_mul_f64_e32 v[46:47], v[46:47], v[42:43]
	v_mul_f64_e32 v[46:47], v[46:47], v[75:76]
	global_store_b64 v[58:59], v[46:47], off
	global_load_b64 v[46:47], v[64:65], off
	v_lshlrev_b64_e32 v[58:59], 3, v[0:1]
	v_add_nc_u32_e32 v0, s4, v0
	s_delay_alu instid0(VALU_DEP_2) | instskip(SKIP_1) | instid1(VALU_DEP_3)
	v_add_co_u32 v58, vcc_lo, s2, v58
	s_wait_alu 0xfffd
	v_add_co_ci_u32_e64 v59, null, s3, v59, vcc_lo
	s_wait_loadcnt 0x0
	v_mul_f64_e32 v[46:47], v[46:47], v[42:43]
	s_delay_alu instid0(VALU_DEP_1) | instskip(SKIP_4) | instid1(VALU_DEP_2)
	v_mul_f64_e32 v[46:47], v[46:47], v[75:76]
	global_store_b64 v[64:65], v[46:47], off
	global_load_b64 v[46:47], v[58:59], off
	v_lshlrev_b64_e32 v[64:65], 3, v[0:1]
	v_add_nc_u32_e32 v0, s4, v0
	v_add_co_u32 v64, vcc_lo, s2, v64
	s_wait_alu 0xfffd
	s_delay_alu instid0(VALU_DEP_3) | instskip(SKIP_2) | instid1(VALU_DEP_1)
	v_add_co_ci_u32_e64 v65, null, s3, v65, vcc_lo
	s_wait_loadcnt 0x0
	v_mul_f64_e32 v[46:47], v[46:47], v[42:43]
	v_mul_f64_e32 v[46:47], v[46:47], v[48:49]
	global_store_b64 v[58:59], v[46:47], off
	global_load_b64 v[46:47], v[64:65], off
	v_lshlrev_b64_e32 v[58:59], 3, v[0:1]
	v_add_nc_u32_e32 v0, s4, v0
	s_delay_alu instid0(VALU_DEP_2) | instskip(SKIP_1) | instid1(VALU_DEP_3)
	v_add_co_u32 v58, vcc_lo, s2, v58
	s_wait_alu 0xfffd
	v_add_co_ci_u32_e64 v59, null, s3, v59, vcc_lo
	s_wait_loadcnt 0x0
	v_mul_f64_e32 v[46:47], v[46:47], v[42:43]
	s_delay_alu instid0(VALU_DEP_1)
	v_mul_f64_e32 v[46:47], v[46:47], v[48:49]
	global_store_b64 v[64:65], v[46:47], off
	global_load_b64 v[46:47], v[58:59], off
	s_wait_loadcnt 0x0
	v_mul_f64_e32 v[42:43], v[46:47], v[42:43]
	v_lshlrev_b64_e32 v[46:47], 3, v[0:1]
	v_add_nc_u32_e32 v0, s4, v0
	s_delay_alu instid0(VALU_DEP_2) | instskip(SKIP_1) | instid1(VALU_DEP_3)
	v_add_co_u32 v46, vcc_lo, s2, v46
	s_wait_alu 0xfffd
	v_add_co_ci_u32_e64 v47, null, s3, v47, vcc_lo
	v_mul_f64_e32 v[42:43], v[42:43], v[54:55]
	v_lshlrev_b64_e32 v[54:55], 3, v[0:1]
	v_add_nc_u32_e32 v0, s4, v0
	s_delay_alu instid0(VALU_DEP_2) | instskip(SKIP_1) | instid1(VALU_DEP_3)
	v_add_co_u32 v54, vcc_lo, s2, v54
	s_wait_alu 0xfffd
	v_add_co_ci_u32_e64 v55, null, s3, v55, vcc_lo
	global_store_b64 v[58:59], v[42:43], off
	global_load_b64 v[42:43], v[46:47], off
	s_wait_loadcnt 0x0
	v_mul_f64_e32 v[42:43], v[42:43], v[75:76]
	global_store_b64 v[46:47], v[42:43], off
	global_load_b64 v[42:43], v[54:55], off
	v_lshlrev_b64_e32 v[46:47], 3, v[0:1]
	v_add_nc_u32_e32 v0, s4, v0
	s_delay_alu instid0(VALU_DEP_2) | instskip(SKIP_1) | instid1(VALU_DEP_3)
	v_add_co_u32 v46, vcc_lo, s2, v46
	s_wait_alu 0xfffd
	v_add_co_ci_u32_e64 v47, null, s3, v47, vcc_lo
	s_wait_loadcnt 0x0
	v_mul_f64_e32 v[42:43], v[42:43], v[75:76]
	global_store_b64 v[54:55], v[42:43], off
	global_load_b64 v[42:43], v[46:47], off
	v_lshlrev_b64_e32 v[54:55], 3, v[0:1]
	v_add_nc_u32_e32 v0, s4, v0
	s_delay_alu instid0(VALU_DEP_2) | instskip(SKIP_1) | instid1(VALU_DEP_3)
	v_add_co_u32 v54, vcc_lo, s2, v54
	s_wait_alu 0xfffd
	v_add_co_ci_u32_e64 v55, null, s3, v55, vcc_lo
	s_wait_loadcnt 0x0
	v_mul_f64_e32 v[42:43], v[42:43], v[75:76]
	global_store_b64 v[46:47], v[42:43], off
	global_load_b64 v[42:43], v[54:55], off
	v_lshlrev_b64_e32 v[46:47], 3, v[0:1]
	v_add_nc_u32_e32 v0, s4, v0
	s_delay_alu instid0(VALU_DEP_2) | instskip(SKIP_1) | instid1(VALU_DEP_3)
	v_add_co_u32 v46, vcc_lo, s2, v46
	s_wait_alu 0xfffd
	v_add_co_ci_u32_e64 v47, null, s3, v47, vcc_lo
	s_wait_loadcnt 0x0
	v_mul_f64_e32 v[42:43], v[42:43], v[48:49]
	global_store_b64 v[54:55], v[42:43], off
	global_load_b64 v[42:43], v[46:47], off
	s_wait_loadcnt 0x0
	v_mul_f64_e32 v[42:43], v[42:43], v[48:49]
	v_lshlrev_b64_e32 v[48:49], 3, v[0:1]
	v_add_nc_u32_e32 v0, s4, v0
	s_delay_alu instid0(VALU_DEP_2) | instskip(SKIP_1) | instid1(VALU_DEP_3)
	v_add_co_u32 v48, vcc_lo, s2, v48
	s_wait_alu 0xfffd
	v_add_co_ci_u32_e64 v49, null, s3, v49, vcc_lo
	global_store_b64 v[46:47], v[42:43], off
	global_load_b64 v[42:43], v[48:49], off
	v_lshlrev_b64_e32 v[46:47], 3, v[0:1]
	v_add_nc_u32_e32 v0, s4, v0
	s_delay_alu instid0(VALU_DEP_2) | instskip(SKIP_1) | instid1(VALU_DEP_3)
	v_add_co_u32 v46, vcc_lo, s2, v46
	s_wait_alu 0xfffd
	v_add_co_ci_u32_e64 v47, null, s3, v47, vcc_lo
	s_wait_loadcnt 0x0
	v_mul_f64_e32 v[42:43], v[42:43], v[60:61]
	global_store_b64 v[48:49], v[42:43], off
	global_load_b64 v[42:43], v[46:47], off
	v_lshlrev_b64_e32 v[48:49], 3, v[0:1]
	v_add_nc_u32_e32 v0, s4, v0
	s_delay_alu instid0(VALU_DEP_2) | instskip(SKIP_1) | instid1(VALU_DEP_3)
	v_add_co_u32 v48, vcc_lo, s2, v48
	s_wait_alu 0xfffd
	v_add_co_ci_u32_e64 v49, null, s3, v49, vcc_lo
	s_wait_loadcnt 0x0
	v_mul_f64_e32 v[42:43], v[42:43], v[50:51]
	;; [unrolled: 10-line block ×4, first 2 shown]
	global_store_b64 v[46:47], v[42:43], off
	global_load_b64 v[42:43], v[48:49], off
	s_wait_loadcnt 0x0
	v_mul_f64_e32 v[26:27], v[42:43], v[26:27]
	v_lshlrev_b64_e32 v[42:43], 3, v[0:1]
	v_add_nc_u32_e32 v0, s5, v0
	s_delay_alu instid0(VALU_DEP_2) | instskip(SKIP_1) | instid1(VALU_DEP_3)
	v_add_co_u32 v42, vcc_lo, s2, v42
	s_wait_alu 0xfffd
	v_add_co_ci_u32_e64 v43, null, s3, v43, vcc_lo
	global_store_b64 v[48:49], v[26:27], off
	global_load_b64 v[26:27], v[42:43], off
	s_wait_loadcnt 0x0
	v_mul_f64_e32 v[26:27], v[26:27], v[34:35]
	v_lshlrev_b64_e32 v[34:35], 3, v[0:1]
	v_add_nc_u32_e32 v0, s4, v0
	s_delay_alu instid0(VALU_DEP_2) | instskip(SKIP_1) | instid1(VALU_DEP_3)
	v_add_co_u32 v34, vcc_lo, s2, v34
	s_wait_alu 0xfffd
	v_add_co_ci_u32_e64 v35, null, s3, v35, vcc_lo
	global_store_b64 v[42:43], v[26:27], off
	global_load_b64 v[26:27], v[34:35], off
	v_lshlrev_b64_e32 v[42:43], 3, v[0:1]
	v_add_nc_u32_e32 v0, s4, v0
	s_delay_alu instid0(VALU_DEP_2) | instskip(SKIP_1) | instid1(VALU_DEP_3)
	v_add_co_u32 v42, vcc_lo, s2, v42
	s_wait_alu 0xfffd
	v_add_co_ci_u32_e64 v43, null, s3, v43, vcc_lo
	s_wait_loadcnt 0x0
	v_mul_f64_e32 v[26:27], v[26:27], v[52:53]
	global_store_b64 v[34:35], v[26:27], off
	global_load_b64 v[26:27], v[42:43], off
	v_lshlrev_b64_e32 v[34:35], 3, v[0:1]
	v_add_nc_u32_e32 v0, s5, v0
	s_delay_alu instid0(VALU_DEP_2) | instskip(SKIP_1) | instid1(VALU_DEP_3)
	v_add_co_u32 v34, vcc_lo, s2, v34
	s_wait_alu 0xfffd
	v_add_co_ci_u32_e64 v35, null, s3, v35, vcc_lo
	s_wait_loadcnt 0x0
	v_mul_f64_e32 v[26:27], v[26:27], v[52:53]
	;; [unrolled: 10-line block ×8, first 2 shown]
	global_store_b64 v[42:43], v[26:27], off
	global_load_b64 v[26:27], v[34:35], off
	v_lshlrev_b64_e32 v[42:43], 3, v[0:1]
	v_add_nc_u32_e32 v0, s4, v0
	s_delay_alu instid0(VALU_DEP_2) | instskip(SKIP_1) | instid1(VALU_DEP_3)
	v_add_co_u32 v42, vcc_lo, s2, v42
	s_wait_alu 0xfffd
	v_add_co_ci_u32_e64 v43, null, s3, v43, vcc_lo
	v_add_co_u32 v14, vcc_lo, s0, v14
	s_wait_alu 0xfffd
	v_add_co_ci_u32_e64 v15, null, s1, v15, vcc_lo
	global_load_b64 v[14:15], v[14:15], off
	s_wait_loadcnt 0x1
	v_mul_f64_e32 v[26:27], v[26:27], v[50:51]
	global_store_b64 v[34:35], v[26:27], off
	global_load_b64 v[26:27], v[42:43], off
	v_lshlrev_b64_e32 v[34:35], 3, v[0:1]
	v_add_nc_u32_e32 v0, s4, v0
	s_delay_alu instid0(VALU_DEP_2) | instskip(SKIP_1) | instid1(VALU_DEP_3)
	v_add_co_u32 v34, vcc_lo, s2, v34
	s_wait_alu 0xfffd
	v_add_co_ci_u32_e64 v35, null, s3, v35, vcc_lo
	v_add_co_u32 v16, vcc_lo, s0, v16
	s_wait_alu 0xfffd
	v_add_co_ci_u32_e64 v17, null, s1, v17, vcc_lo
	;; [unrolled: 3-line block ×4, first 2 shown]
	s_wait_loadcnt 0x0
	v_mul_f64_e32 v[26:27], v[26:27], v[44:45]
	global_store_b64 v[42:43], v[26:27], off
	global_load_b64 v[26:27], v[34:35], off
	v_lshlrev_b64_e32 v[42:43], 3, v[0:1]
	s_clause 0x2
	global_load_b64 v[16:17], v[16:17], off
	global_load_b64 v[30:31], v[30:31], off
	;; [unrolled: 1-line block ×3, first 2 shown]
	v_add_nc_u32_e32 v0, s4, v0
	v_add_co_u32 v42, vcc_lo, s2, v42
	s_wait_alu 0xfffd
	v_add_co_ci_u32_e64 v43, null, s3, v43, vcc_lo
	s_wait_loadcnt 0x3
	v_mul_f64_e32 v[26:27], v[26:27], v[14:15]
	global_store_b64 v[34:35], v[26:27], off
	global_load_b64 v[26:27], v[42:43], off
	v_lshlrev_b64_e32 v[34:35], 3, v[0:1]
	v_add_nc_u32_e32 v0, s4, v0
	s_delay_alu instid0(VALU_DEP_2) | instskip(SKIP_1) | instid1(VALU_DEP_3)
	v_add_co_u32 v34, vcc_lo, s2, v34
	s_wait_alu 0xfffd
	v_add_co_ci_u32_e64 v35, null, s3, v35, vcc_lo
	s_wait_loadcnt 0x0
	v_mul_f64_e32 v[26:27], v[26:27], v[14:15]
	s_delay_alu instid0(VALU_DEP_1) | instskip(SKIP_4) | instid1(VALU_DEP_1)
	v_mul_f64_e32 v[26:27], v[26:27], v[40:41]
	global_store_b64 v[42:43], v[26:27], off
	global_load_b64 v[26:27], v[34:35], off
	s_wait_loadcnt 0x0
	v_mul_f64_e32 v[26:27], v[26:27], v[14:15]
	v_mul_f64_e32 v[26:27], v[26:27], v[40:41]
	v_lshlrev_b64_e32 v[40:41], 3, v[0:1]
	v_add_nc_u32_e32 v0, s4, v0
	s_delay_alu instid0(VALU_DEP_2) | instskip(SKIP_1) | instid1(VALU_DEP_3)
	v_add_co_u32 v40, vcc_lo, s2, v40
	s_wait_alu 0xfffd
	v_add_co_ci_u32_e64 v41, null, s3, v41, vcc_lo
	global_store_b64 v[34:35], v[26:27], off
	global_load_b64 v[26:27], v[40:41], off
	v_lshlrev_b64_e32 v[34:35], 3, v[0:1]
	v_add_nc_u32_e32 v0, s4, v0
	s_delay_alu instid0(VALU_DEP_2) | instskip(SKIP_1) | instid1(VALU_DEP_3)
	v_add_co_u32 v34, vcc_lo, s2, v34
	s_wait_alu 0xfffd
	v_add_co_ci_u32_e64 v35, null, s3, v35, vcc_lo
	s_wait_loadcnt 0x0
	v_mul_f64_e32 v[26:27], v[26:27], v[14:15]
	s_delay_alu instid0(VALU_DEP_1) | instskip(SKIP_4) | instid1(VALU_DEP_2)
	v_mul_f64_e32 v[26:27], v[26:27], v[56:57]
	global_store_b64 v[40:41], v[26:27], off
	global_load_b64 v[26:27], v[34:35], off
	v_lshlrev_b64_e32 v[40:41], 3, v[0:1]
	v_add_nc_u32_e32 v0, s4, v0
	v_add_co_u32 v40, vcc_lo, s2, v40
	s_wait_alu 0xfffd
	s_delay_alu instid0(VALU_DEP_3) | instskip(SKIP_2) | instid1(VALU_DEP_1)
	v_add_co_ci_u32_e64 v41, null, s3, v41, vcc_lo
	s_wait_loadcnt 0x0
	v_mul_f64_e32 v[26:27], v[26:27], v[14:15]
	v_mul_f64_e32 v[26:27], v[26:27], v[56:57]
	global_store_b64 v[34:35], v[26:27], off
	global_load_b64 v[26:27], v[40:41], off
	v_lshlrev_b64_e32 v[34:35], 3, v[0:1]
	v_add_nc_u32_e32 v0, s4, v0
	s_delay_alu instid0(VALU_DEP_2) | instskip(SKIP_1) | instid1(VALU_DEP_3)
	v_add_co_u32 v34, vcc_lo, s2, v34
	s_wait_alu 0xfffd
	v_add_co_ci_u32_e64 v35, null, s3, v35, vcc_lo
	s_wait_loadcnt 0x0
	v_mul_f64_e32 v[26:27], v[26:27], v[14:15]
	s_delay_alu instid0(VALU_DEP_1) | instskip(SKIP_4) | instid1(VALU_DEP_2)
	v_mul_f64_e32 v[26:27], v[26:27], v[56:57]
	global_store_b64 v[40:41], v[26:27], off
	global_load_b64 v[26:27], v[34:35], off
	v_lshlrev_b64_e32 v[40:41], 3, v[0:1]
	v_add_nc_u32_e32 v0, s4, v0
	v_add_co_u32 v40, vcc_lo, s2, v40
	s_wait_alu 0xfffd
	s_delay_alu instid0(VALU_DEP_3) | instskip(SKIP_2) | instid1(VALU_DEP_1)
	v_add_co_ci_u32_e64 v41, null, s3, v41, vcc_lo
	s_wait_loadcnt 0x0
	v_mul_f64_e32 v[26:27], v[26:27], v[14:15]
	v_mul_f64_e32 v[26:27], v[26:27], v[62:63]
	;; [unrolled: 23-line block ×3, first 2 shown]
	global_store_b64 v[34:35], v[26:27], off
	global_load_b64 v[26:27], v[40:41], off
	v_lshlrev_b64_e32 v[34:35], 3, v[0:1]
	v_add_nc_u32_e32 v0, s4, v0
	s_delay_alu instid0(VALU_DEP_2) | instskip(SKIP_1) | instid1(VALU_DEP_3)
	v_add_co_u32 v34, vcc_lo, s2, v34
	s_wait_alu 0xfffd
	v_add_co_ci_u32_e64 v35, null, s3, v35, vcc_lo
	s_wait_loadcnt 0x0
	v_mul_f64_e32 v[26:27], v[26:27], v[14:15]
	global_store_b64 v[40:41], v[26:27], off
	global_load_b64 v[26:27], v[34:35], off
	v_lshlrev_b64_e32 v[40:41], 3, v[0:1]
	v_add_nc_u32_e32 v0, s4, v0
	s_delay_alu instid0(VALU_DEP_2) | instskip(SKIP_1) | instid1(VALU_DEP_3)
	v_add_co_u32 v40, vcc_lo, s2, v40
	s_wait_alu 0xfffd
	v_add_co_ci_u32_e64 v41, null, s3, v41, vcc_lo
	s_wait_loadcnt 0x0
	v_mul_f64_e32 v[26:27], v[26:27], v[14:15]
	;; [unrolled: 10-line block ×5, first 2 shown]
	s_delay_alu instid0(VALU_DEP_1) | instskip(SKIP_4) | instid1(VALU_DEP_1)
	v_mul_f64_e32 v[26:27], v[26:27], v[24:25]
	global_store_b64 v[40:41], v[26:27], off
	global_load_b64 v[26:27], v[34:35], off
	s_wait_loadcnt 0x0
	v_mul_f64_e32 v[14:15], v[26:27], v[14:15]
	v_mul_f64_e32 v[14:15], v[14:15], v[24:25]
	v_lshlrev_b64_e32 v[24:25], 3, v[0:1]
	v_add_nc_u32_e32 v0, s4, v0
	s_delay_alu instid0(VALU_DEP_1) | instskip(NEXT) | instid1(VALU_DEP_3)
	v_lshlrev_b64_e32 v[26:27], 3, v[0:1]
	v_add_co_u32 v24, vcc_lo, s2, v24
	s_wait_alu 0xfffd
	s_delay_alu instid0(VALU_DEP_4) | instskip(SKIP_1) | instid1(VALU_DEP_4)
	v_add_co_ci_u32_e64 v25, null, s3, v25, vcc_lo
	v_add_nc_u32_e32 v0, s4, v0
	v_add_co_u32 v26, vcc_lo, s2, v26
	s_wait_alu 0xfffd
	v_add_co_ci_u32_e64 v27, null, s3, v27, vcc_lo
	global_store_b64 v[34:35], v[14:15], off
	global_load_b64 v[14:15], v[24:25], off
	s_wait_loadcnt 0x0
	v_mul_f64_e32 v[14:15], v[14:15], v[4:5]
	global_store_b64 v[24:25], v[14:15], off
	global_load_b64 v[14:15], v[26:27], off
	v_lshlrev_b64_e32 v[24:25], 3, v[0:1]
	v_add_nc_u32_e32 v0, s4, v0
	s_delay_alu instid0(VALU_DEP_2) | instskip(SKIP_1) | instid1(VALU_DEP_3)
	v_add_co_u32 v24, vcc_lo, s2, v24
	s_wait_alu 0xfffd
	v_add_co_ci_u32_e64 v25, null, s3, v25, vcc_lo
	s_wait_loadcnt 0x0
	v_mul_f64_e32 v[14:15], v[14:15], v[4:5]
	global_store_b64 v[26:27], v[14:15], off
	global_load_b64 v[14:15], v[24:25], off
	v_lshlrev_b64_e32 v[26:27], 3, v[0:1]
	v_add_nc_u32_e32 v0, s4, v0
	s_delay_alu instid0(VALU_DEP_2) | instskip(SKIP_1) | instid1(VALU_DEP_3)
	v_add_co_u32 v26, vcc_lo, s2, v26
	s_wait_alu 0xfffd
	v_add_co_ci_u32_e64 v27, null, s3, v27, vcc_lo
	;; [unrolled: 10-line block ×3, first 2 shown]
	s_wait_loadcnt 0x0
	v_mul_f64_e32 v[14:15], v[14:15], v[38:39]
	global_store_b64 v[26:27], v[14:15], off
	global_load_b64 v[14:15], v[24:25], off
	s_clause 0x1
	global_load_b64 v[26:27], v[2:3], off
	global_load_b64 v[2:3], v[2:3], off
	s_wait_loadcnt 0x1
	v_mul_f64_e32 v[14:15], v[14:15], v[26:27]
	v_lshlrev_b64_e32 v[26:27], 3, v[0:1]
	v_add_nc_u32_e32 v0, s4, v0
	s_delay_alu instid0(VALU_DEP_2) | instskip(SKIP_1) | instid1(VALU_DEP_3)
	v_add_co_u32 v26, vcc_lo, s2, v26
	s_wait_alu 0xfffd
	v_add_co_ci_u32_e64 v27, null, s3, v27, vcc_lo
	global_store_b64 v[24:25], v[14:15], off
	global_load_b64 v[14:15], v[26:27], off
	v_lshlrev_b64_e32 v[24:25], 3, v[0:1]
	v_add_nc_u32_e32 v0, s4, v0
	s_delay_alu instid0(VALU_DEP_2) | instskip(SKIP_1) | instid1(VALU_DEP_3)
	v_add_co_u32 v24, vcc_lo, s2, v24
	s_wait_alu 0xfffd
	v_add_co_ci_u32_e64 v25, null, s3, v25, vcc_lo
	s_wait_loadcnt 0x0
	v_mul_f64_e32 v[14:15], v[14:15], v[6:7]
	global_store_b64 v[26:27], v[14:15], off
	global_load_b64 v[14:15], v[24:25], off
	v_lshlrev_b64_e32 v[26:27], 3, v[0:1]
	v_add_nc_u32_e32 v0, s4, v0
	s_delay_alu instid0(VALU_DEP_2) | instskip(SKIP_1) | instid1(VALU_DEP_3)
	v_add_co_u32 v26, vcc_lo, s2, v26
	s_wait_alu 0xfffd
	v_add_co_ci_u32_e64 v27, null, s3, v27, vcc_lo
	s_wait_loadcnt 0x0
	v_mul_f64_e32 v[14:15], v[14:15], v[6:7]
	;; [unrolled: 10-line block ×3, first 2 shown]
	global_store_b64 v[26:27], v[14:15], off
	global_load_b64 v[14:15], v[24:25], off
	s_wait_loadcnt 0x0
	v_mul_f64_e32 v[10:11], v[14:15], v[10:11]
	v_lshlrev_b64_e32 v[14:15], 3, v[0:1]
	v_add_nc_u32_e32 v0, s4, v0
	s_delay_alu instid0(VALU_DEP_2) | instskip(SKIP_1) | instid1(VALU_DEP_3)
	v_add_co_u32 v14, vcc_lo, s2, v14
	s_wait_alu 0xfffd
	v_add_co_ci_u32_e64 v15, null, s3, v15, vcc_lo
	global_store_b64 v[24:25], v[10:11], off
	global_load_b64 v[10:11], v[14:15], off
	v_lshlrev_b64_e32 v[24:25], 3, v[0:1]
	v_add_nc_u32_e32 v0, s4, v0
	s_delay_alu instid0(VALU_DEP_2) | instskip(SKIP_1) | instid1(VALU_DEP_3)
	v_add_co_u32 v24, vcc_lo, s2, v24
	s_wait_alu 0xfffd
	v_add_co_ci_u32_e64 v25, null, s3, v25, vcc_lo
	s_wait_loadcnt 0x0
	v_mul_f64_e32 v[10:11], v[10:11], v[16:17]
	s_delay_alu instid0(VALU_DEP_1) | instskip(SKIP_4) | instid1(VALU_DEP_2)
	v_mul_f64_e32 v[10:11], v[10:11], v[4:5]
	global_store_b64 v[14:15], v[10:11], off
	global_load_b64 v[10:11], v[24:25], off
	v_lshlrev_b64_e32 v[14:15], 3, v[0:1]
	v_add_nc_u32_e32 v0, s4, v0
	v_add_co_u32 v14, vcc_lo, s2, v14
	s_wait_alu 0xfffd
	s_delay_alu instid0(VALU_DEP_3) | instskip(SKIP_2) | instid1(VALU_DEP_1)
	v_add_co_ci_u32_e64 v15, null, s3, v15, vcc_lo
	s_wait_loadcnt 0x0
	v_mul_f64_e32 v[10:11], v[10:11], v[16:17]
	v_mul_f64_e32 v[10:11], v[10:11], v[38:39]
	global_store_b64 v[24:25], v[10:11], off
	global_load_b64 v[10:11], v[14:15], off
	v_lshlrev_b64_e32 v[24:25], 3, v[0:1]
	v_add_nc_u32_e32 v0, s4, v0
	s_delay_alu instid0(VALU_DEP_2) | instskip(SKIP_1) | instid1(VALU_DEP_3)
	v_add_co_u32 v24, vcc_lo, s2, v24
	s_wait_alu 0xfffd
	v_add_co_ci_u32_e64 v25, null, s3, v25, vcc_lo
	s_wait_loadcnt 0x0
	v_mul_f64_e32 v[10:11], v[10:11], v[16:17]
	s_delay_alu instid0(VALU_DEP_1) | instskip(SKIP_4) | instid1(VALU_DEP_2)
	v_mul_f64_e32 v[10:11], v[10:11], v[36:37]
	global_store_b64 v[14:15], v[10:11], off
	global_load_b64 v[10:11], v[24:25], off
	v_lshlrev_b64_e32 v[14:15], 3, v[0:1]
	v_add_nc_u32_e32 v0, s4, v0
	v_add_co_u32 v14, vcc_lo, s2, v14
	s_wait_alu 0xfffd
	s_delay_alu instid0(VALU_DEP_3)
	v_add_co_ci_u32_e64 v15, null, s3, v15, vcc_lo
	s_wait_loadcnt 0x0
	v_mul_f64_e32 v[10:11], v[10:11], v[16:17]
	global_store_b64 v[24:25], v[10:11], off
	global_load_b64 v[10:11], v[14:15], off
	s_wait_loadcnt 0x0
	v_mul_f64_e32 v[10:11], v[10:11], v[16:17]
	v_lshlrev_b64_e32 v[16:17], 3, v[0:1]
	v_add_nc_u32_e32 v0, s4, v0
	s_delay_alu instid0(VALU_DEP_2) | instskip(SKIP_1) | instid1(VALU_DEP_3)
	v_add_co_u32 v16, vcc_lo, s2, v16
	s_wait_alu 0xfffd
	v_add_co_ci_u32_e64 v17, null, s3, v17, vcc_lo
	v_mul_f64_e32 v[10:11], v[10:11], v[20:21]
	global_store_b64 v[14:15], v[10:11], off
	global_load_b64 v[10:11], v[16:17], off
	v_lshlrev_b64_e32 v[14:15], 3, v[0:1]
	v_add_nc_u32_e32 v0, s4, v0
	s_delay_alu instid0(VALU_DEP_2) | instskip(SKIP_1) | instid1(VALU_DEP_3)
	v_add_co_u32 v14, vcc_lo, s2, v14
	s_wait_alu 0xfffd
	v_add_co_ci_u32_e64 v15, null, s3, v15, vcc_lo
	s_wait_loadcnt 0x0
	v_mul_f64_e32 v[10:11], v[10:11], v[30:31]
	s_delay_alu instid0(VALU_DEP_1) | instskip(SKIP_4) | instid1(VALU_DEP_2)
	v_mul_f64_e32 v[10:11], v[10:11], v[4:5]
	global_store_b64 v[16:17], v[10:11], off
	global_load_b64 v[10:11], v[14:15], off
	v_lshlrev_b64_e32 v[16:17], 3, v[0:1]
	v_add_nc_u32_e32 v0, s4, v0
	v_add_co_u32 v16, vcc_lo, s2, v16
	s_wait_alu 0xfffd
	s_delay_alu instid0(VALU_DEP_3) | instskip(SKIP_2) | instid1(VALU_DEP_1)
	v_add_co_ci_u32_e64 v17, null, s3, v17, vcc_lo
	s_wait_loadcnt 0x0
	v_mul_f64_e32 v[10:11], v[10:11], v[30:31]
	v_mul_f64_e32 v[10:11], v[10:11], v[4:5]
	global_store_b64 v[14:15], v[10:11], off
	global_load_b64 v[10:11], v[16:17], off
	v_lshlrev_b64_e32 v[14:15], 3, v[0:1]
	v_add_nc_u32_e32 v0, s4, v0
	s_delay_alu instid0(VALU_DEP_2) | instskip(SKIP_1) | instid1(VALU_DEP_3)
	v_add_co_u32 v14, vcc_lo, s2, v14
	s_wait_alu 0xfffd
	v_add_co_ci_u32_e64 v15, null, s3, v15, vcc_lo
	s_wait_loadcnt 0x0
	v_mul_f64_e32 v[10:11], v[10:11], v[30:31]
	s_delay_alu instid0(VALU_DEP_1) | instskip(SKIP_4) | instid1(VALU_DEP_1)
	v_mul_f64_e32 v[10:11], v[10:11], v[6:7]
	global_store_b64 v[16:17], v[10:11], off
	global_load_b64 v[10:11], v[14:15], off
	s_wait_loadcnt 0x0
	v_mul_f64_e32 v[10:11], v[10:11], v[30:31]
	v_mul_f64_e32 v[6:7], v[10:11], v[6:7]
	v_lshlrev_b64_e32 v[10:11], 3, v[0:1]
	v_add_nc_u32_e32 v0, s4, v0
	s_delay_alu instid0(VALU_DEP_2) | instskip(SKIP_1) | instid1(VALU_DEP_3)
	v_add_co_u32 v10, vcc_lo, s2, v10
	s_wait_alu 0xfffd
	v_add_co_ci_u32_e64 v11, null, s3, v11, vcc_lo
	global_store_b64 v[14:15], v[6:7], off
	global_load_b64 v[6:7], v[10:11], off
	v_lshlrev_b64_e32 v[14:15], 3, v[0:1]
	v_add_nc_u32_e32 v0, s4, v0
	s_delay_alu instid0(VALU_DEP_2) | instskip(SKIP_1) | instid1(VALU_DEP_3)
	v_add_co_u32 v14, vcc_lo, s2, v14
	s_wait_alu 0xfffd
	v_add_co_ci_u32_e64 v15, null, s3, v15, vcc_lo
	s_wait_loadcnt 0x0
	v_mul_f64_e32 v[6:7], v[6:7], v[30:31]
	global_store_b64 v[10:11], v[6:7], off
	global_load_b64 v[6:7], v[14:15], off
	v_lshlrev_b64_e32 v[10:11], 3, v[0:1]
	v_add_nc_u32_e32 v0, s4, v0
	s_delay_alu instid0(VALU_DEP_2) | instskip(SKIP_1) | instid1(VALU_DEP_3)
	v_add_co_u32 v10, vcc_lo, s2, v10
	s_wait_alu 0xfffd
	v_add_co_ci_u32_e64 v11, null, s3, v11, vcc_lo
	s_wait_loadcnt 0x0
	v_mul_f64_e32 v[6:7], v[6:7], v[32:33]
	s_delay_alu instid0(VALU_DEP_1) | instskip(SKIP_4) | instid1(VALU_DEP_2)
	v_mul_f64_e32 v[6:7], v[6:7], v[4:5]
	global_store_b64 v[14:15], v[6:7], off
	global_load_b64 v[6:7], v[10:11], off
	v_lshlrev_b64_e32 v[14:15], 3, v[0:1]
	v_add_nc_u32_e32 v0, s4, v0
	v_add_co_u32 v14, vcc_lo, s2, v14
	s_wait_alu 0xfffd
	s_delay_alu instid0(VALU_DEP_3) | instskip(SKIP_2) | instid1(VALU_DEP_1)
	v_add_co_ci_u32_e64 v15, null, s3, v15, vcc_lo
	s_wait_loadcnt 0x0
	v_mul_f64_e32 v[6:7], v[6:7], v[32:33]
	v_mul_f64_e32 v[6:7], v[6:7], v[4:5]
	global_store_b64 v[10:11], v[6:7], off
	global_load_b64 v[6:7], v[14:15], off
	s_wait_loadcnt 0x0
	v_mul_f64_e32 v[6:7], v[6:7], v[32:33]
	s_delay_alu instid0(VALU_DEP_1) | instskip(SKIP_2) | instid1(VALU_DEP_1)
	v_mul_f64_e32 v[4:5], v[6:7], v[4:5]
	v_lshlrev_b64_e32 v[6:7], 3, v[0:1]
	v_add_nc_u32_e32 v0, s4, v0
	v_lshlrev_b64_e32 v[10:11], 3, v[0:1]
	s_delay_alu instid0(VALU_DEP_3) | instskip(SKIP_1) | instid1(VALU_DEP_4)
	v_add_co_u32 v6, vcc_lo, s2, v6
	s_wait_alu 0xfffd
	v_add_co_ci_u32_e64 v7, null, s3, v7, vcc_lo
	v_add_nc_u32_e32 v0, s4, v0
	s_delay_alu instid0(VALU_DEP_4)
	v_add_co_u32 v10, vcc_lo, s2, v10
	s_wait_alu 0xfffd
	v_add_co_ci_u32_e64 v11, null, s3, v11, vcc_lo
	global_store_b64 v[14:15], v[4:5], off
	global_load_b64 v[4:5], v[6:7], off
	s_wait_loadcnt 0x0
	v_mul_f64_e32 v[4:5], v[4:5], v[32:33]
	s_delay_alu instid0(VALU_DEP_1) | instskip(SKIP_4) | instid1(VALU_DEP_2)
	v_mul_f64_e32 v[4:5], v[4:5], v[22:23]
	global_store_b64 v[6:7], v[4:5], off
	global_load_b64 v[4:5], v[10:11], off
	v_lshlrev_b64_e32 v[6:7], 3, v[0:1]
	v_add_nc_u32_e32 v0, s4, v0
	v_add_co_u32 v6, vcc_lo, s2, v6
	s_wait_alu 0xfffd
	s_delay_alu instid0(VALU_DEP_3) | instskip(SKIP_2) | instid1(VALU_DEP_1)
	v_add_co_ci_u32_e64 v7, null, s3, v7, vcc_lo
	s_wait_loadcnt 0x0
	v_mul_f64_e32 v[4:5], v[4:5], v[32:33]
	v_mul_f64_e32 v[4:5], v[4:5], v[22:23]
	global_store_b64 v[10:11], v[4:5], off
	global_load_b64 v[4:5], v[6:7], off
	v_lshlrev_b64_e32 v[10:11], 3, v[0:1]
	v_add_nc_u32_e32 v0, s4, v0
	s_delay_alu instid0(VALU_DEP_2) | instskip(SKIP_1) | instid1(VALU_DEP_3)
	v_add_co_u32 v10, vcc_lo, s2, v10
	s_wait_alu 0xfffd
	v_add_co_ci_u32_e64 v11, null, s3, v11, vcc_lo
	s_wait_loadcnt 0x0
	v_mul_f64_e32 v[4:5], v[4:5], v[32:33]
	s_delay_alu instid0(VALU_DEP_1)
	v_mul_f64_e32 v[4:5], v[4:5], v[22:23]
	global_store_b64 v[6:7], v[4:5], off
	global_load_b64 v[4:5], v[10:11], off
	global_load_b64 v[6:7], v[12:13], off
	v_lshlrev_b64_e32 v[12:13], 3, v[0:1]
	v_add_nc_u32_e32 v0, s4, v0
	s_delay_alu instid0(VALU_DEP_2) | instskip(SKIP_1) | instid1(VALU_DEP_3)
	v_add_co_u32 v12, vcc_lo, s2, v12
	s_wait_alu 0xfffd
	v_add_co_ci_u32_e64 v13, null, s3, v13, vcc_lo
	s_wait_loadcnt 0x1
	v_mul_f64_e32 v[4:5], v[4:5], v[32:33]
	s_wait_loadcnt 0x0
	s_delay_alu instid0(VALU_DEP_1)
	v_mul_f64_e32 v[4:5], v[4:5], v[6:7]
	global_store_b64 v[10:11], v[4:5], off
	global_load_b64 v[4:5], v[12:13], off
	global_load_b64 v[8:9], v[8:9], off
	v_lshlrev_b64_e32 v[10:11], 3, v[0:1]
	v_add_nc_u32_e32 v0, s4, v0
	s_delay_alu instid0(VALU_DEP_1) | instskip(NEXT) | instid1(VALU_DEP_3)
	v_lshlrev_b64_e32 v[14:15], 3, v[0:1]
	v_add_co_u32 v10, vcc_lo, s2, v10
	s_wait_alu 0xfffd
	s_delay_alu instid0(VALU_DEP_4) | instskip(SKIP_1) | instid1(VALU_DEP_4)
	v_add_co_ci_u32_e64 v11, null, s3, v11, vcc_lo
	v_add_nc_u32_e32 v0, s4, v0
	v_add_co_u32 v14, vcc_lo, s2, v14
	s_wait_alu 0xfffd
	v_add_co_ci_u32_e64 v15, null, s3, v15, vcc_lo
	s_wait_loadcnt 0x1
	v_mul_f64_e32 v[4:5], v[4:5], v[32:33]
	s_wait_loadcnt 0x0
	s_delay_alu instid0(VALU_DEP_1)
	v_mul_f64_e32 v[4:5], v[4:5], v[8:9]
	global_store_b64 v[12:13], v[4:5], off
	global_load_b64 v[4:5], v[10:11], off
	global_load_b64 v[12:13], v[18:19], off
	s_wait_loadcnt 0x1
	v_mul_f64_e32 v[4:5], v[4:5], v[32:33]
	s_wait_loadcnt 0x0
	s_delay_alu instid0(VALU_DEP_1) | instskip(SKIP_4) | instid1(VALU_DEP_2)
	v_mul_f64_e32 v[4:5], v[4:5], v[12:13]
	global_store_b64 v[10:11], v[4:5], off
	global_load_b64 v[4:5], v[14:15], off
	v_lshlrev_b64_e32 v[10:11], 3, v[0:1]
	v_add_nc_u32_e32 v0, s4, v0
	v_add_co_u32 v10, vcc_lo, s2, v10
	s_wait_alu 0xfffd
	s_delay_alu instid0(VALU_DEP_3)
	v_add_co_ci_u32_e64 v11, null, s3, v11, vcc_lo
	s_wait_loadcnt 0x0
	v_mul_f64_e32 v[4:5], v[4:5], v[28:29]
	global_store_b64 v[14:15], v[4:5], off
	global_load_b64 v[4:5], v[10:11], off
	v_lshlrev_b64_e32 v[14:15], 3, v[0:1]
	v_add_nc_u32_e32 v0, s4, v0
	s_delay_alu instid0(VALU_DEP_2) | instskip(SKIP_1) | instid1(VALU_DEP_3)
	v_add_co_u32 v14, vcc_lo, s2, v14
	s_wait_alu 0xfffd
	v_add_co_ci_u32_e64 v15, null, s3, v15, vcc_lo
	s_wait_loadcnt 0x0
	v_mul_f64_e32 v[4:5], v[4:5], v[28:29]
	global_store_b64 v[10:11], v[4:5], off
	global_load_b64 v[4:5], v[14:15], off
	v_lshlrev_b64_e32 v[10:11], 3, v[0:1]
	v_add_nc_u32_e32 v0, s4, v0
	s_delay_alu instid0(VALU_DEP_2) | instskip(SKIP_1) | instid1(VALU_DEP_3)
	v_add_co_u32 v10, vcc_lo, s2, v10
	s_wait_alu 0xfffd
	v_add_co_ci_u32_e64 v11, null, s3, v11, vcc_lo
	s_wait_loadcnt 0x0
	v_mul_f64_e32 v[4:5], v[4:5], v[22:23]
	global_store_b64 v[14:15], v[4:5], off
	global_load_b64 v[4:5], v[10:11], off
	s_wait_loadcnt 0x0
	v_mul_f64_e32 v[4:5], v[4:5], v[6:7]
	v_lshlrev_b64_e32 v[6:7], 3, v[0:1]
	v_add_nc_u32_e32 v0, s4, v0
	s_delay_alu instid0(VALU_DEP_2) | instskip(SKIP_1) | instid1(VALU_DEP_3)
	v_add_co_u32 v6, vcc_lo, s2, v6
	s_wait_alu 0xfffd
	v_add_co_ci_u32_e64 v7, null, s3, v7, vcc_lo
	global_store_b64 v[10:11], v[4:5], off
	global_load_b64 v[4:5], v[6:7], off
	s_wait_loadcnt 0x0
	v_mul_f64_e32 v[2:3], v[4:5], v[2:3]
	v_lshlrev_b64_e32 v[4:5], 3, v[0:1]
	v_add_nc_u32_e32 v0, s4, v0
	s_delay_alu instid0(VALU_DEP_1) | instskip(NEXT) | instid1(VALU_DEP_3)
	v_lshlrev_b64_e32 v[0:1], 3, v[0:1]
	v_add_co_u32 v4, vcc_lo, s2, v4
	s_wait_alu 0xfffd
	s_delay_alu instid0(VALU_DEP_4) | instskip(NEXT) | instid1(VALU_DEP_3)
	v_add_co_ci_u32_e64 v5, null, s3, v5, vcc_lo
	v_add_co_u32 v0, vcc_lo, s2, v0
	s_wait_alu 0xfffd
	v_add_co_ci_u32_e64 v1, null, s3, v1, vcc_lo
	global_store_b64 v[6:7], v[2:3], off
	global_load_b64 v[2:3], v[4:5], off
	s_wait_loadcnt 0x0
	v_mul_f64_e32 v[2:3], v[2:3], v[8:9]
	global_store_b64 v[4:5], v[2:3], off
	global_load_b64 v[2:3], v[0:1], off
	s_wait_loadcnt 0x0
	v_mul_f64_e32 v[2:3], v[2:3], v[12:13]
	global_store_b64 v[0:1], v[2:3], off
	s_endpgm
	.section	.rodata,"a",@progbits
	.p2align	6, 0x0
	.amdhsa_kernel _Z12ratx2_kernelIdEvPKT_PS0_S3_
		.amdhsa_group_segment_fixed_size 0
		.amdhsa_private_segment_fixed_size 0
		.amdhsa_kernarg_size 280
		.amdhsa_user_sgpr_count 2
		.amdhsa_user_sgpr_dispatch_ptr 0
		.amdhsa_user_sgpr_queue_ptr 0
		.amdhsa_user_sgpr_kernarg_segment_ptr 1
		.amdhsa_user_sgpr_dispatch_id 0
		.amdhsa_user_sgpr_private_segment_size 0
		.amdhsa_wavefront_size32 1
		.amdhsa_uses_dynamic_stack 0
		.amdhsa_enable_private_segment 0
		.amdhsa_system_sgpr_workgroup_id_x 1
		.amdhsa_system_sgpr_workgroup_id_y 0
		.amdhsa_system_sgpr_workgroup_id_z 0
		.amdhsa_system_sgpr_workgroup_info 0
		.amdhsa_system_vgpr_workitem_id 0
		.amdhsa_next_free_vgpr 88
		.amdhsa_next_free_sgpr 6
		.amdhsa_reserve_vcc 1
		.amdhsa_float_round_mode_32 0
		.amdhsa_float_round_mode_16_64 0
		.amdhsa_float_denorm_mode_32 3
		.amdhsa_float_denorm_mode_16_64 3
		.amdhsa_fp16_overflow 0
		.amdhsa_workgroup_processor_mode 1
		.amdhsa_memory_ordered 1
		.amdhsa_forward_progress 1
		.amdhsa_inst_pref_size 114
		.amdhsa_round_robin_scheduling 0
		.amdhsa_exception_fp_ieee_invalid_op 0
		.amdhsa_exception_fp_denorm_src 0
		.amdhsa_exception_fp_ieee_div_zero 0
		.amdhsa_exception_fp_ieee_overflow 0
		.amdhsa_exception_fp_ieee_underflow 0
		.amdhsa_exception_fp_ieee_inexact 0
		.amdhsa_exception_int_div_zero 0
	.end_amdhsa_kernel
	.section	.text._Z12ratx2_kernelIdEvPKT_PS0_S3_,"axG",@progbits,_Z12ratx2_kernelIdEvPKT_PS0_S3_,comdat
.Lfunc_end41:
	.size	_Z12ratx2_kernelIdEvPKT_PS0_S3_, .Lfunc_end41-_Z12ratx2_kernelIdEvPKT_PS0_S3_
                                        ; -- End function
	.set _Z12ratx2_kernelIdEvPKT_PS0_S3_.num_vgpr, 88
	.set _Z12ratx2_kernelIdEvPKT_PS0_S3_.num_agpr, 0
	.set _Z12ratx2_kernelIdEvPKT_PS0_S3_.numbered_sgpr, 6
	.set _Z12ratx2_kernelIdEvPKT_PS0_S3_.num_named_barrier, 0
	.set _Z12ratx2_kernelIdEvPKT_PS0_S3_.private_seg_size, 0
	.set _Z12ratx2_kernelIdEvPKT_PS0_S3_.uses_vcc, 1
	.set _Z12ratx2_kernelIdEvPKT_PS0_S3_.uses_flat_scratch, 0
	.set _Z12ratx2_kernelIdEvPKT_PS0_S3_.has_dyn_sized_stack, 0
	.set _Z12ratx2_kernelIdEvPKT_PS0_S3_.has_recursion, 0
	.set _Z12ratx2_kernelIdEvPKT_PS0_S3_.has_indirect_call, 0
	.section	.AMDGPU.csdata,"",@progbits
; Kernel info:
; codeLenInByte = 14476
; TotalNumSgprs: 8
; NumVgprs: 88
; ScratchSize: 0
; MemoryBound: 1
; FloatMode: 240
; IeeeMode: 1
; LDSByteSize: 0 bytes/workgroup (compile time only)
; SGPRBlocks: 0
; VGPRBlocks: 10
; NumSGPRsForWavesPerEU: 8
; NumVGPRsForWavesPerEU: 88
; Occupancy: 16
; WaveLimiterHint : 1
; COMPUTE_PGM_RSRC2:SCRATCH_EN: 0
; COMPUTE_PGM_RSRC2:USER_SGPR: 2
; COMPUTE_PGM_RSRC2:TRAP_HANDLER: 0
; COMPUTE_PGM_RSRC2:TGID_X_EN: 1
; COMPUTE_PGM_RSRC2:TGID_Y_EN: 0
; COMPUTE_PGM_RSRC2:TGID_Z_EN: 0
; COMPUTE_PGM_RSRC2:TIDIG_COMP_CNT: 0
	.section	.text._Z12ratx4_kernelIdEvPKT_PS0_S3_,"axG",@progbits,_Z12ratx4_kernelIdEvPKT_PS0_S3_,comdat
	.protected	_Z12ratx4_kernelIdEvPKT_PS0_S3_ ; -- Begin function _Z12ratx4_kernelIdEvPKT_PS0_S3_
	.globl	_Z12ratx4_kernelIdEvPKT_PS0_S3_
	.p2align	8
	.type	_Z12ratx4_kernelIdEvPKT_PS0_S3_,@function
_Z12ratx4_kernelIdEvPKT_PS0_S3_:        ; @_Z12ratx4_kernelIdEvPKT_PS0_S3_
; %bb.0:
	s_clause 0x2
	s_load_b32 s2, s[0:1], 0x24
	s_load_b96 s[4:6], s[0:1], 0x10
	s_load_b64 s[0:1], s[0:1], 0x0
	s_wait_kmcnt 0x0
	s_and_b32 s2, s2, 0xffff
	s_delay_alu instid0(SALU_CYCLE_1)
	v_mad_co_u64_u32 v[0:1], null, ttmp9, s2, v[0:1]
	s_mul_i32 s2, s6, s2
	s_wait_alu 0xfffe
	s_lshl_b32 s3, s2, 1
	v_mov_b32_e32 v1, 0
	s_lshl_b32 s6, s2, 2
	s_wait_alu 0xfffe
	s_delay_alu instid0(VALU_DEP_1) | instskip(SKIP_2) | instid1(VALU_DEP_3)
	v_dual_mov_b32 v3, v1 :: v_dual_add_nc_u32 v2, s3, v0
	v_lshlrev_b64_e32 v[8:9], 3, v[0:1]
	v_add_nc_u32_e32 v0, s2, v0
	v_lshlrev_b64_e32 v[10:11], 3, v[2:3]
	v_add_nc_u32_e32 v2, s3, v2
	s_delay_alu instid0(VALU_DEP_4) | instskip(NEXT) | instid1(VALU_DEP_1)
	v_add_co_u32 v12, vcc_lo, s4, v8
	v_add_co_ci_u32_e64 v13, null, s5, v9, vcc_lo
	s_delay_alu instid0(VALU_DEP_4)
	v_add_co_u32 v14, vcc_lo, s0, v10
	s_wait_alu 0xfffd
	v_add_co_ci_u32_e64 v15, null, s1, v11, vcc_lo
	global_load_b64 v[16:17], v[12:13], off
	global_load_b64 v[6:7], v[14:15], off
	v_lshlrev_b64_e32 v[2:3], 3, v[2:3]
	s_delay_alu instid0(VALU_DEP_1) | instskip(SKIP_1) | instid1(VALU_DEP_2)
	v_add_co_u32 v2, vcc_lo, s0, v2
	s_wait_alu 0xfffd
	v_add_co_ci_u32_e64 v3, null, s1, v3, vcc_lo
	s_clause 0x6
	global_load_b64 v[4:5], v[2:3], off
	global_load_b64 v[18:19], v[14:15], off
	;; [unrolled: 1-line block ×7, first 2 shown]
	s_wait_loadcnt 0x7
	v_mul_f64_e32 v[14:15], v[16:17], v[6:7]
	s_wait_loadcnt 0x6
	s_delay_alu instid0(VALU_DEP_1) | instskip(SKIP_2) | instid1(VALU_DEP_2)
	v_mul_f64_e32 v[16:17], v[14:15], v[4:5]
	v_lshlrev_b64_e32 v[14:15], 3, v[0:1]
	v_add_nc_u32_e32 v0, s6, v0
	v_add_co_u32 v24, vcc_lo, s4, v14
	s_wait_alu 0xfffd
	s_delay_alu instid0(VALU_DEP_3)
	v_add_co_ci_u32_e64 v25, null, s5, v15, vcc_lo
	v_add_co_u32 v14, vcc_lo, s0, v14
	s_wait_alu 0xfffd
	v_add_co_ci_u32_e64 v15, null, s1, v15, vcc_lo
	v_add_co_u32 v10, vcc_lo, s4, v10
	s_wait_alu 0xfffd
	v_add_co_ci_u32_e64 v11, null, s5, v11, vcc_lo
	global_store_b64 v[12:13], v[16:17], off
	global_load_b64 v[12:13], v[24:25], off
	s_clause 0x3
	global_load_b64 v[66:67], v[14:15], off
	global_load_b64 v[60:61], v[14:15], off
	;; [unrolled: 1-line block ×4, first 2 shown]
	s_wait_loadcnt 0x3
	v_mul_f64_e32 v[12:13], v[12:13], v[66:67]
	s_delay_alu instid0(VALU_DEP_1) | instskip(SKIP_4) | instid1(VALU_DEP_2)
	v_mul_f64_e32 v[12:13], v[4:5], v[12:13]
	global_store_b64 v[24:25], v[12:13], off
	global_load_b64 v[16:17], v[10:11], off
	v_lshlrev_b64_e32 v[24:25], 3, v[0:1]
	v_subrev_nc_u32_e32 v0, s3, v0
	v_add_co_u32 v12, vcc_lo, s0, v24
	s_wait_alu 0xfffd
	s_delay_alu instid0(VALU_DEP_3) | instskip(NEXT) | instid1(VALU_DEP_3)
	v_add_co_ci_u32_e64 v13, null, s1, v25, vcc_lo
	v_lshlrev_b64_e32 v[34:35], 3, v[0:1]
	s_clause 0x3
	global_load_b64 v[74:75], v[12:13], off
	global_load_b64 v[56:57], v[12:13], off
	;; [unrolled: 1-line block ×4, first 2 shown]
	v_add_co_u32 v28, vcc_lo, s4, v34
	s_wait_alu 0xfffd
	v_add_co_ci_u32_e64 v29, null, s5, v35, vcc_lo
	s_wait_loadcnt 0x4
	v_mul_f64_e32 v[16:17], v[66:67], v[16:17]
	s_wait_loadcnt 0x3
	s_delay_alu instid0(VALU_DEP_1)
	v_mul_f64_e32 v[16:17], v[16:17], v[74:75]
	global_store_b64 v[10:11], v[16:17], off
	global_load_b64 v[10:11], v[28:29], off
	v_add_co_u32 v16, vcc_lo, s4, v24
	s_wait_alu 0xfffd
	v_add_co_ci_u32_e64 v17, null, s5, v25, vcc_lo
	v_add_co_u32 v26, vcc_lo, s0, v8
	s_wait_alu 0xfffd
	v_add_co_ci_u32_e64 v27, null, s1, v9, vcc_lo
	s_wait_loadcnt 0x0
	v_mul_f64_e32 v[10:11], v[6:7], v[10:11]
	s_delay_alu instid0(VALU_DEP_1)
	v_mul_f64_e32 v[10:11], v[74:75], v[10:11]
	global_store_b64 v[28:29], v[10:11], off
	global_load_b64 v[8:9], v[16:17], off
	s_clause 0x3
	global_load_b64 v[82:83], v[26:27], off
	global_load_b64 v[70:71], v[26:27], off
	;; [unrolled: 1-line block ×4, first 2 shown]
	v_mad_co_u64_u32 v[10:11], null, s2, 3, v[0:1]
	v_mov_b32_e32 v11, v1
	s_delay_alu instid0(VALU_DEP_1) | instskip(SKIP_1) | instid1(VALU_DEP_2)
	v_lshlrev_b64_e32 v[24:25], 3, v[10:11]
	v_add_nc_u32_e32 v0, s2, v10
	v_add_co_u32 v28, vcc_lo, s4, v24
	s_wait_alu 0xfffd
	s_delay_alu instid0(VALU_DEP_3) | instskip(SKIP_2) | instid1(VALU_DEP_1)
	v_add_co_ci_u32_e64 v29, null, s5, v25, vcc_lo
	s_wait_loadcnt 0x3
	v_mul_f64_e32 v[8:9], v[8:9], v[82:83]
	v_mul_f64_e32 v[8:9], v[82:83], v[8:9]
	global_store_b64 v[16:17], v[8:9], off
	global_load_b64 v[8:9], v[28:29], off
	v_lshlrev_b64_e32 v[16:17], 3, v[0:1]
	v_add_nc_u32_e32 v0, s6, v0
	s_delay_alu instid0(VALU_DEP_2) | instskip(SKIP_1) | instid1(VALU_DEP_3)
	v_add_co_u32 v40, vcc_lo, s4, v16
	s_wait_alu 0xfffd
	v_add_co_ci_u32_e64 v41, null, s5, v17, vcc_lo
	s_delay_alu instid0(VALU_DEP_3) | instskip(SKIP_1) | instid1(VALU_DEP_2)
	v_lshlrev_b64_e32 v[10:11], 3, v[0:1]
	v_add_nc_u32_e32 v0, s2, v0
	v_add_co_u32 v10, vcc_lo, s0, v10
	s_wait_alu 0xfffd
	s_delay_alu instid0(VALU_DEP_3) | instskip(NEXT) | instid1(VALU_DEP_3)
	v_add_co_ci_u32_e64 v11, null, s1, v11, vcc_lo
	v_lshlrev_b64_e32 v[80:81], 3, v[0:1]
	v_add_nc_u32_e32 v0, s2, v0
	global_load_b64 v[76:77], v[10:11], off
	v_lshlrev_b64_e32 v[92:93], 3, v[0:1]
	v_add_nc_u32_e32 v0, s2, v0
	s_delay_alu instid0(VALU_DEP_1) | instskip(SKIP_2) | instid1(VALU_DEP_1)
	v_lshlrev_b64_e32 v[68:69], 3, v[0:1]
	s_wait_loadcnt 0x1
	v_mul_f64_e32 v[8:9], v[82:83], v[8:9]
	v_mul_f64_e32 v[8:9], v[74:75], v[8:9]
	global_store_b64 v[28:29], v[8:9], off
	global_load_b64 v[8:9], v[40:41], off
	s_clause 0x2
	global_load_b64 v[62:63], v[10:11], off
	global_load_b64 v[52:53], v[10:11], off
	;; [unrolled: 1-line block ×3, first 2 shown]
	v_add_co_u32 v10, vcc_lo, s0, v24
	s_wait_alu 0xfffd
	v_add_co_ci_u32_e64 v11, null, s1, v25, vcc_lo
	v_add_co_u32 v24, vcc_lo, s4, v80
	s_wait_alu 0xfffd
	v_add_co_ci_u32_e64 v25, null, s5, v81, vcc_lo
	global_load_b64 v[84:85], v[10:11], off
	v_add_co_u32 v46, vcc_lo, s0, v34
	s_wait_alu 0xfffd
	v_add_co_ci_u32_e64 v47, null, s1, v35, vcc_lo
	s_wait_loadcnt 0x4
	v_mul_f64_e32 v[8:9], v[82:83], v[8:9]
	s_delay_alu instid0(VALU_DEP_1)
	v_mul_f64_e32 v[8:9], v[8:9], v[76:77]
	global_store_b64 v[40:41], v[8:9], off
	global_load_b64 v[8:9], v[24:25], off
	s_clause 0x3
	global_load_b64 v[86:87], v[46:47], off
	global_load_b64 v[72:73], v[10:11], off
	;; [unrolled: 1-line block ×4, first 2 shown]
	s_wait_loadcnt 0x4
	v_mul_f64_e32 v[64:65], v[8:9], v[84:85]
	s_clause 0x1
	global_load_b64 v[44:45], v[46:47], off
	global_load_b64 v[8:9], v[46:47], off
	s_wait_loadcnt 0x5
	v_mul_f64_e32 v[46:47], v[64:65], v[86:87]
	v_add_co_u32 v64, vcc_lo, s4, v92
	s_wait_alu 0xfffd
	v_add_co_ci_u32_e64 v65, null, s5, v93, vcc_lo
	global_store_b64 v[24:25], v[46:47], off
	global_load_b64 v[24:25], v[64:65], off
	v_add_co_u32 v46, vcc_lo, s4, v68
	s_wait_alu 0xfffd
	v_add_co_ci_u32_e64 v47, null, s5, v69, vcc_lo
	s_wait_loadcnt 0x0
	v_mul_f64_e32 v[24:25], v[84:85], v[24:25]
	s_delay_alu instid0(VALU_DEP_1) | instskip(SKIP_4) | instid1(VALU_DEP_1)
	v_mul_f64_e32 v[24:25], v[74:75], v[24:25]
	global_store_b64 v[64:65], v[24:25], off
	global_load_b64 v[24:25], v[46:47], off
	v_mad_co_u64_u32 v[64:65], null, s2, 7, v[0:1]
	v_mov_b32_e32 v65, v1
	v_lshlrev_b64_e32 v[96:97], 3, v[64:65]
	v_mad_co_u64_u32 v[88:89], null, s2, -6, v[64:65]
	v_mov_b32_e32 v89, v1
	s_delay_alu instid0(VALU_DEP_3) | instskip(SKIP_1) | instid1(VALU_DEP_4)
	v_add_co_u32 v90, vcc_lo, s0, v96
	s_wait_alu 0xfffd
	v_add_co_ci_u32_e64 v91, null, s1, v97, vcc_lo
	s_delay_alu instid0(VALU_DEP_3)
	v_lshlrev_b64_e32 v[64:65], 3, v[88:89]
	v_add_nc_u32_e32 v0, s2, v88
	global_load_b64 v[78:79], v[90:91], off
	v_add_co_u32 v94, vcc_lo, s4, v64
	s_wait_alu 0xfffd
	v_add_co_ci_u32_e64 v95, null, s5, v65, vcc_lo
	v_add_co_u32 v98, vcc_lo, s0, v16
	s_wait_alu 0xfffd
	v_add_co_ci_u32_e64 v99, null, s1, v17, vcc_lo
	s_wait_loadcnt 0x1
	v_mul_f64_e32 v[24:25], v[84:85], v[24:25]
	s_wait_loadcnt 0x0
	s_delay_alu instid0(VALU_DEP_1)
	v_mul_f64_e32 v[24:25], v[24:25], v[78:79]
	global_store_b64 v[46:47], v[24:25], off
	global_load_b64 v[46:47], v[94:95], off
	s_clause 0x3
	global_load_b64 v[100:101], v[98:99], off
	global_load_b64 v[78:79], v[98:99], off
	;; [unrolled: 1-line block ×4, first 2 shown]
	v_lshlrev_b64_e32 v[98:99], 3, v[0:1]
	v_add_nc_u32_e32 v0, s2, v0
	s_delay_alu instid0(VALU_DEP_1) | instskip(NEXT) | instid1(VALU_DEP_3)
	v_lshlrev_b64_e32 v[102:103], 3, v[0:1]
	v_add_co_u32 v88, vcc_lo, s4, v98
	s_wait_alu 0xfffd
	s_delay_alu instid0(VALU_DEP_4)
	v_add_co_ci_u32_e64 v89, null, s5, v99, vcc_lo
	v_add_nc_u32_e32 v0, s2, v0
	s_wait_loadcnt 0x3
	v_mul_f64_e32 v[46:47], v[46:47], v[100:101]
	global_store_b64 v[94:95], v[46:47], off
	global_load_b64 v[46:47], v[88:89], off
	v_lshlrev_b64_e32 v[94:95], 3, v[0:1]
	v_add_nc_u32_e32 v0, s2, v0
	s_wait_loadcnt 0x0
	v_mul_f64_e32 v[6:7], v[6:7], v[46:47]
	v_add_co_u32 v46, vcc_lo, s4, v102
	s_wait_alu 0xfffd
	v_add_co_ci_u32_e64 v47, null, s5, v103, vcc_lo
	s_delay_alu instid0(VALU_DEP_3)
	v_mul_f64_e32 v[6:7], v[74:75], v[6:7]
	global_store_b64 v[88:89], v[6:7], off
	global_load_b64 v[6:7], v[46:47], off
	v_add_co_u32 v88, vcc_lo, s4, v94
	s_wait_alu 0xfffd
	v_add_co_ci_u32_e64 v89, null, s5, v95, vcc_lo
	s_wait_loadcnt 0x0
	v_mul_f64_e32 v[6:7], v[86:87], v[6:7]
	s_delay_alu instid0(VALU_DEP_1) | instskip(SKIP_4) | instid1(VALU_DEP_2)
	v_mul_f64_e32 v[6:7], v[82:83], v[6:7]
	global_store_b64 v[46:47], v[6:7], off
	global_load_b64 v[6:7], v[88:89], off
	v_lshlrev_b64_e32 v[46:47], 3, v[0:1]
	v_add_nc_u32_e32 v0, s2, v0
	v_add_co_u32 v104, vcc_lo, s4, v46
	s_wait_alu 0xfffd
	s_delay_alu instid0(VALU_DEP_3) | instskip(SKIP_2) | instid1(VALU_DEP_1)
	v_add_co_ci_u32_e64 v105, null, s5, v47, vcc_lo
	s_wait_loadcnt 0x0
	v_mul_f64_e32 v[6:7], v[4:5], v[6:7]
	v_mul_f64_e32 v[6:7], v[4:5], v[6:7]
	global_store_b64 v[88:89], v[6:7], off
	global_load_b64 v[6:7], v[104:105], off
	v_lshlrev_b64_e32 v[88:89], 3, v[0:1]
	v_add_nc_u32_e32 v0, s3, v0
	s_delay_alu instid0(VALU_DEP_2) | instskip(SKIP_1) | instid1(VALU_DEP_3)
	v_add_co_u32 v106, vcc_lo, s4, v88
	s_wait_alu 0xfffd
	v_add_co_ci_u32_e64 v107, null, s5, v89, vcc_lo
	v_add_co_u32 v96, vcc_lo, s4, v96
	s_wait_alu 0xfffd
	v_add_co_ci_u32_e64 v97, null, s5, v97, vcc_lo
	s_wait_loadcnt 0x0
	v_mul_f64_e32 v[6:7], v[4:5], v[6:7]
	s_delay_alu instid0(VALU_DEP_1) | instskip(SKIP_4) | instid1(VALU_DEP_2)
	v_mul_f64_e32 v[6:7], v[86:87], v[6:7]
	global_store_b64 v[104:105], v[6:7], off
	global_load_b64 v[6:7], v[106:107], off
	v_lshlrev_b64_e32 v[104:105], 3, v[0:1]
	v_add_nc_u32_e32 v0, s2, v0
	v_add_co_u32 v104, vcc_lo, s4, v104
	s_wait_alu 0xfffd
	s_delay_alu instid0(VALU_DEP_3) | instskip(SKIP_2) | instid1(VALU_DEP_1)
	v_add_co_ci_u32_e64 v105, null, s5, v105, vcc_lo
	s_wait_loadcnt 0x0
	v_mul_f64_e32 v[6:7], v[86:87], v[6:7]
	v_mul_f64_e32 v[6:7], v[74:75], v[6:7]
	global_store_b64 v[106:107], v[6:7], off
	global_load_b64 v[6:7], v[96:97], off
	s_wait_loadcnt 0x0
	v_mul_f64_e32 v[6:7], v[86:87], v[6:7]
	s_delay_alu instid0(VALU_DEP_1)
	v_mul_f64_e32 v[6:7], v[100:101], v[6:7]
	global_store_b64 v[96:97], v[6:7], off
	global_load_b64 v[6:7], v[104:105], off
	s_wait_loadcnt 0x0
	v_mul_f64_e32 v[6:7], v[86:87], v[6:7]
	v_lshlrev_b64_e32 v[86:87], 3, v[0:1]
	v_add_nc_u32_e32 v0, s2, v0
	s_delay_alu instid0(VALU_DEP_2) | instskip(SKIP_1) | instid1(VALU_DEP_3)
	v_add_co_u32 v86, vcc_lo, s4, v86
	s_wait_alu 0xfffd
	v_add_co_ci_u32_e64 v87, null, s5, v87, vcc_lo
	v_mul_f64_e32 v[6:7], v[100:101], v[6:7]
	global_store_b64 v[104:105], v[6:7], off
	global_load_b64 v[6:7], v[86:87], off
	s_wait_loadcnt 0x0
	v_mul_f64_e32 v[6:7], v[84:85], v[6:7]
	s_delay_alu instid0(VALU_DEP_1) | instskip(SKIP_2) | instid1(VALU_DEP_2)
	v_mul_f64_e32 v[6:7], v[82:83], v[6:7]
	v_lshlrev_b64_e32 v[82:83], 3, v[0:1]
	v_add_nc_u32_e32 v0, s2, v0
	v_add_co_u32 v82, vcc_lo, s4, v82
	s_wait_alu 0xfffd
	s_delay_alu instid0(VALU_DEP_3) | instskip(SKIP_4) | instid1(VALU_DEP_2)
	v_add_co_ci_u32_e64 v83, null, s5, v83, vcc_lo
	global_store_b64 v[86:87], v[6:7], off
	global_load_b64 v[6:7], v[82:83], off
	v_lshlrev_b64_e32 v[86:87], 3, v[0:1]
	v_add_nc_u32_e32 v0, s2, v0
	v_add_co_u32 v86, vcc_lo, s4, v86
	s_wait_alu 0xfffd
	s_delay_alu instid0(VALU_DEP_3) | instskip(SKIP_2) | instid1(VALU_DEP_1)
	v_add_co_ci_u32_e64 v87, null, s5, v87, vcc_lo
	s_wait_loadcnt 0x0
	v_mul_f64_e32 v[6:7], v[4:5], v[6:7]
	v_mul_f64_e32 v[6:7], v[74:75], v[6:7]
	global_store_b64 v[82:83], v[6:7], off
	global_load_b64 v[6:7], v[86:87], off
	s_wait_loadcnt 0x0
	v_mul_f64_e32 v[4:5], v[4:5], v[6:7]
	v_lshlrev_b64_e32 v[6:7], 3, v[0:1]
	v_add_nc_u32_e32 v0, s2, v0
	s_delay_alu instid0(VALU_DEP_1) | instskip(NEXT) | instid1(VALU_DEP_3)
	v_lshlrev_b64_e32 v[82:83], 3, v[0:1]
	v_add_co_u32 v6, vcc_lo, s4, v6
	s_wait_alu 0xfffd
	s_delay_alu instid0(VALU_DEP_4) | instskip(SKIP_1) | instid1(VALU_DEP_4)
	v_add_co_ci_u32_e64 v7, null, s5, v7, vcc_lo
	v_add_nc_u32_e32 v0, s3, v0
	v_add_co_u32 v82, vcc_lo, s4, v82
	s_wait_alu 0xfffd
	v_add_co_ci_u32_e64 v83, null, s5, v83, vcc_lo
	v_mul_f64_e32 v[4:5], v[84:85], v[4:5]
	global_store_b64 v[86:87], v[4:5], off
	global_load_b64 v[4:5], v[6:7], off
	s_wait_loadcnt 0x0
	v_mul_f64_e32 v[4:5], v[84:85], v[4:5]
	s_delay_alu instid0(VALU_DEP_1) | instskip(SKIP_4) | instid1(VALU_DEP_2)
	v_mul_f64_e32 v[4:5], v[74:75], v[4:5]
	global_store_b64 v[6:7], v[4:5], off
	global_load_b64 v[4:5], v[82:83], off
	v_lshlrev_b64_e32 v[6:7], 3, v[0:1]
	v_add_nc_u32_e32 v0, s2, v0
	v_add_co_u32 v6, vcc_lo, s4, v6
	s_wait_alu 0xfffd
	s_delay_alu instid0(VALU_DEP_3) | instskip(SKIP_2) | instid1(VALU_DEP_1)
	v_add_co_ci_u32_e64 v7, null, s5, v7, vcc_lo
	s_wait_loadcnt 0x0
	v_mul_f64_e32 v[4:5], v[84:85], v[4:5]
	v_mul_f64_e32 v[4:5], v[74:75], v[4:5]
	global_store_b64 v[82:83], v[4:5], off
	global_load_b64 v[4:5], v[6:7], off
	s_wait_loadcnt 0x0
	v_mul_f64_e32 v[4:5], v[76:77], v[4:5]
	s_delay_alu instid0(VALU_DEP_1) | instskip(SKIP_2) | instid1(VALU_DEP_2)
	v_mul_f64_e32 v[66:67], v[66:67], v[4:5]
	v_lshlrev_b64_e32 v[4:5], 3, v[0:1]
	v_add_nc_u32_e32 v0, s2, v0
	v_add_co_u32 v74, vcc_lo, s4, v4
	s_wait_alu 0xfffd
	s_delay_alu instid0(VALU_DEP_3)
	v_add_co_ci_u32_e64 v75, null, s5, v5, vcc_lo
	v_add_co_u32 v4, vcc_lo, s0, v80
	s_wait_alu 0xfffd
	v_add_co_ci_u32_e64 v5, null, s1, v81, vcc_lo
	global_store_b64 v[6:7], v[66:67], off
	global_load_b64 v[6:7], v[74:75], off
	s_clause 0x3
	global_load_b64 v[86:87], v[4:5], off
	global_load_b64 v[96:97], v[4:5], off
	;; [unrolled: 1-line block ×4, first 2 shown]
	v_lshlrev_b64_e32 v[66:67], 3, v[0:1]
	v_add_nc_u32_e32 v0, s2, v0
	s_delay_alu instid0(VALU_DEP_2) | instskip(SKIP_1) | instid1(VALU_DEP_3)
	v_add_co_u32 v66, vcc_lo, s4, v66
	s_wait_alu 0xfffd
	v_add_co_ci_u32_e64 v67, null, s5, v67, vcc_lo
	s_wait_loadcnt 0x3
	v_mul_f64_e32 v[6:7], v[6:7], v[86:87]
	global_store_b64 v[74:75], v[6:7], off
	global_load_b64 v[6:7], v[66:67], off
	v_lshlrev_b64_e32 v[74:75], 3, v[0:1]
	v_add_nc_u32_e32 v0, s2, v0
	s_delay_alu instid0(VALU_DEP_2) | instskip(SKIP_1) | instid1(VALU_DEP_3)
	v_add_co_u32 v74, vcc_lo, s4, v74
	s_wait_alu 0xfffd
	v_add_co_ci_u32_e64 v75, null, s5, v75, vcc_lo
	s_delay_alu instid0(VALU_DEP_3) | instskip(SKIP_1) | instid1(VALU_DEP_1)
	v_mad_co_u64_u32 v[76:77], null, 0xffffffe9, s2, v[0:1]
	v_mov_b32_e32 v77, v1
	v_lshlrev_b64_e32 v[82:83], 3, v[76:77]
	v_mad_co_u64_u32 v[76:77], null, s2, 24, v[76:77]
	v_mov_b32_e32 v77, v1
	s_delay_alu instid0(VALU_DEP_1) | instskip(SKIP_2) | instid1(VALU_DEP_1)
	v_lshlrev_b64_e32 v[108:109], 3, v[76:77]
	s_wait_loadcnt 0x0
	v_mul_f64_e32 v[6:7], v[6:7], v[62:63]
	v_mul_f64_e32 v[6:7], v[6:7], v[18:19]
	global_store_b64 v[66:67], v[6:7], off
	global_load_b64 v[6:7], v[74:75], off
	v_lshlrev_b64_e32 v[66:67], 3, v[0:1]
	v_add_nc_u32_e32 v0, s2, v76
	s_delay_alu instid0(VALU_DEP_2) | instskip(SKIP_1) | instid1(VALU_DEP_3)
	v_add_co_u32 v100, vcc_lo, s4, v66
	s_wait_alu 0xfffd
	v_add_co_ci_u32_e64 v101, null, s5, v67, vcc_lo
	v_add_co_u32 v66, vcc_lo, s0, v82
	s_wait_alu 0xfffd
	v_add_co_ci_u32_e64 v67, null, s1, v83, vcc_lo
	;; [unrolled: 3-line block ×3, first 2 shown]
	v_lshlrev_b64_e32 v[76:77], 3, v[0:1]
	v_add_nc_u32_e32 v0, s2, v0
	s_delay_alu instid0(VALU_DEP_2) | instskip(SKIP_1) | instid1(VALU_DEP_3)
	v_add_co_u32 v76, vcc_lo, s4, v76
	s_wait_alu 0xfffd
	v_add_co_ci_u32_e64 v77, null, s5, v77, vcc_lo
	s_wait_loadcnt 0x0
	v_mul_f64_e32 v[6:7], v[6:7], v[62:63]
	s_delay_alu instid0(VALU_DEP_1)
	v_mul_f64_e32 v[6:7], v[6:7], v[58:59]
	global_store_b64 v[74:75], v[6:7], off
	global_load_b64 v[6:7], v[100:101], off
	s_clause 0x3
	global_load_b64 v[104:105], v[66:67], off
	global_load_b64 v[106:107], v[66:67], off
	;; [unrolled: 1-line block ×4, first 2 shown]
	s_wait_loadcnt 0x3
	v_mul_f64_e32 v[6:7], v[6:7], v[104:105]
	s_delay_alu instid0(VALU_DEP_1) | instskip(SKIP_4) | instid1(VALU_DEP_2)
	v_mul_f64_e32 v[6:7], v[6:7], v[60:61]
	global_store_b64 v[100:101], v[6:7], off
	global_load_b64 v[6:7], v[108:109], off
	v_lshlrev_b64_e32 v[100:101], 3, v[0:1]
	v_add_nc_u32_e32 v0, s2, v0
	v_add_co_u32 v100, vcc_lo, s4, v100
	s_wait_alu 0xfffd
	s_delay_alu instid0(VALU_DEP_3)
	v_add_co_ci_u32_e64 v101, null, s5, v101, vcc_lo
	s_wait_loadcnt 0x0
	v_mul_f64_e32 v[6:7], v[6:7], v[60:61]
	global_store_b64 v[108:109], v[6:7], off
	global_load_b64 v[6:7], v[76:77], off
	s_wait_loadcnt 0x0
	v_mul_f64_e32 v[6:7], v[6:7], v[60:61]
	global_store_b64 v[76:77], v[6:7], off
	global_load_b64 v[6:7], v[100:101], off
	v_lshlrev_b64_e32 v[76:77], 3, v[0:1]
	v_add_nc_u32_e32 v0, s2, v0
	s_delay_alu instid0(VALU_DEP_2) | instskip(SKIP_1) | instid1(VALU_DEP_3)
	v_add_co_u32 v76, vcc_lo, s4, v76
	s_wait_alu 0xfffd
	v_add_co_ci_u32_e64 v77, null, s5, v77, vcc_lo
	s_wait_loadcnt 0x0
	v_mul_f64_e32 v[6:7], v[6:7], v[86:87]
	s_delay_alu instid0(VALU_DEP_1)
	v_mul_f64_e32 v[6:7], v[6:7], v[60:61]
	global_store_b64 v[100:101], v[6:7], off
	global_load_b64 v[6:7], v[76:77], off
	s_wait_loadcnt 0x0
	v_mul_f64_e32 v[6:7], v[6:7], v[18:19]
	v_lshlrev_b64_e32 v[18:19], 3, v[0:1]
	v_add_nc_u32_e32 v0, s2, v0
	s_delay_alu instid0(VALU_DEP_1) | instskip(SKIP_1) | instid1(VALU_DEP_1)
	v_lshlrev_b64_e32 v[100:101], 3, v[0:1]
	v_add_nc_u32_e32 v0, s2, v0
	v_lshlrev_b64_e32 v[108:109], 3, v[0:1]
	v_add_nc_u32_e32 v0, s2, v0
	s_delay_alu instid0(VALU_DEP_1) | instskip(SKIP_1) | instid1(VALU_DEP_1)
	v_lshlrev_b64_e32 v[110:111], 3, v[0:1]
	v_add_nc_u32_e32 v0, s2, v0
	;; [unrolled: 5-line block ×3, first 2 shown]
	v_lshlrev_b64_e32 v[116:117], 3, v[0:1]
	v_add_nc_u32_e32 v0, s3, v0
	global_store_b64 v[76:77], v[6:7], off
	v_add_co_u32 v76, vcc_lo, s0, v98
	s_wait_alu 0xfffd
	v_add_co_ci_u32_e64 v77, null, s1, v99, vcc_lo
	v_lshlrev_b64_e32 v[98:99], 3, v[0:1]
	v_add_nc_u32_e32 v0, s2, v0
	s_delay_alu instid0(VALU_DEP_1) | instskip(SKIP_1) | instid1(VALU_DEP_1)
	v_mad_co_u64_u32 v[118:119], null, 0xffffffd9, s2, v[0:1]
	v_mov_b32_e32 v119, v1
	v_lshlrev_b64_e32 v[6:7], 3, v[118:119]
	s_delay_alu instid0(VALU_DEP_1) | instskip(SKIP_1) | instid1(VALU_DEP_2)
	v_add_co_u32 v6, vcc_lo, s0, v6
	s_wait_alu 0xfffd
	v_add_co_ci_u32_e64 v7, null, s1, v7, vcc_lo
	v_add_co_u32 v18, vcc_lo, s4, v18
	s_wait_alu 0xfffd
	v_add_co_ci_u32_e64 v19, null, s5, v19, vcc_lo
	s_clause 0x2
	global_load_b64 v[119:120], v[76:77], off
	global_load_b64 v[121:122], v[6:7], off
	;; [unrolled: 1-line block ×4, first 2 shown]
	s_wait_loadcnt 0x0
	v_mul_f64_e32 v[119:120], v[123:124], v[119:120]
	global_store_b64 v[18:19], v[119:120], off
	v_add_co_u32 v18, vcc_lo, s4, v100
	s_wait_alu 0xfffd
	v_add_co_ci_u32_e64 v19, null, s5, v101, vcc_lo
	global_load_b64 v[100:101], v[18:19], off
	s_wait_loadcnt 0x0
	v_mul_f64_e32 v[100:101], v[100:101], v[104:105]
	global_store_b64 v[18:19], v[100:101], off
	v_add_co_u32 v18, vcc_lo, s4, v108
	s_wait_alu 0xfffd
	v_add_co_ci_u32_e64 v19, null, s5, v109, vcc_lo
	global_load_b64 v[100:101], v[18:19], off
	;; [unrolled: 7-line block ×3, first 2 shown]
	s_wait_loadcnt 0x0
	v_mul_f64_e32 v[86:87], v[86:87], v[104:105]
	s_delay_alu instid0(VALU_DEP_1)
	v_mul_f64_e32 v[70:71], v[86:87], v[70:71]
	v_add_co_u32 v86, vcc_lo, s4, v112
	s_wait_alu 0xfffd
	v_add_co_ci_u32_e64 v87, null, s5, v113, vcc_lo
	global_store_b64 v[18:19], v[70:71], off
	global_load_b64 v[18:19], v[86:87], off
	global_load_b64 v[70:71], v[6:7], off
	s_wait_loadcnt 0x1
	v_mul_f64_e32 v[18:19], v[18:19], v[104:105]
	s_delay_alu instid0(VALU_DEP_1)
	v_mul_f64_e32 v[18:19], v[18:19], v[58:59]
	v_add_co_u32 v58, vcc_lo, s4, v114
	s_wait_alu 0xfffd
	v_add_co_ci_u32_e64 v59, null, s5, v115, vcc_lo
	global_store_b64 v[86:87], v[18:19], off
	global_load_b64 v[18:19], v[58:59], off
	s_wait_loadcnt 0x0
	v_mul_f64_e32 v[18:19], v[18:19], v[62:63]
	s_delay_alu instid0(VALU_DEP_1)
	v_mul_f64_e32 v[18:19], v[18:19], v[60:61]
	v_add_co_u32 v60, vcc_lo, s4, v116
	s_wait_alu 0xfffd
	v_add_co_ci_u32_e64 v61, null, s5, v117, vcc_lo
	global_store_b64 v[58:59], v[18:19], off
	global_load_b64 v[18:19], v[60:61], off
	v_add_co_u32 v58, vcc_lo, s4, v98
	s_wait_alu 0xfffd
	v_add_co_ci_u32_e64 v59, null, s5, v99, vcc_lo
	s_wait_loadcnt 0x0
	v_mul_f64_e32 v[18:19], v[18:19], v[104:105]
	s_delay_alu instid0(VALU_DEP_1) | instskip(SKIP_3) | instid1(VALU_DEP_1)
	v_mul_f64_e32 v[18:19], v[18:19], v[56:57]
	global_store_b64 v[60:61], v[18:19], off
	global_load_b64 v[18:19], v[58:59], off
	v_lshlrev_b64_e32 v[60:61], 3, v[0:1]
	v_add_co_u32 v60, vcc_lo, s4, v60
	s_wait_alu 0xfffd
	s_delay_alu instid0(VALU_DEP_2) | instskip(SKIP_2) | instid1(VALU_DEP_1)
	v_add_co_ci_u32_e64 v61, null, s5, v61, vcc_lo
	s_wait_loadcnt 0x0
	v_mul_f64_e32 v[18:19], v[18:19], v[104:105]
	v_mul_f64_e32 v[18:19], v[18:19], v[72:73]
	global_store_b64 v[58:59], v[18:19], off
	global_load_b64 v[18:19], v[60:61], off
	v_mad_co_u64_u32 v[58:59], null, s2, 40, v[118:119]
	v_mov_b32_e32 v59, v1
	s_delay_alu instid0(VALU_DEP_1) | instskip(SKIP_1) | instid1(VALU_DEP_2)
	v_lshlrev_b64_e32 v[72:73], 3, v[58:59]
	v_add_nc_u32_e32 v0, s2, v58
	v_add_co_u32 v72, vcc_lo, s4, v72
	s_wait_alu 0xfffd
	s_delay_alu instid0(VALU_DEP_3) | instskip(NEXT) | instid1(VALU_DEP_3)
	v_add_co_ci_u32_e64 v73, null, s5, v73, vcc_lo
	v_lshlrev_b64_e32 v[58:59], 3, v[0:1]
	v_add_nc_u32_e32 v0, s2, v0
	s_delay_alu instid0(VALU_DEP_2) | instskip(SKIP_1) | instid1(VALU_DEP_3)
	v_add_co_u32 v58, vcc_lo, s4, v58
	s_wait_alu 0xfffd
	v_add_co_ci_u32_e64 v59, null, s5, v59, vcc_lo
	s_wait_loadcnt 0x0
	v_mul_f64_e32 v[18:19], v[18:19], v[70:71]
	global_store_b64 v[60:61], v[18:19], off
	global_load_b64 v[18:19], v[72:73], off
	v_lshlrev_b64_e32 v[60:61], 3, v[0:1]
	v_add_nc_u32_e32 v0, s2, v0
	s_delay_alu instid0(VALU_DEP_2) | instskip(SKIP_1) | instid1(VALU_DEP_3)
	v_add_co_u32 v60, vcc_lo, s4, v60
	s_wait_alu 0xfffd
	v_add_co_ci_u32_e64 v61, null, s5, v61, vcc_lo
	s_wait_loadcnt 0x0
	v_mul_f64_e32 v[18:19], v[18:19], v[50:51]
	s_delay_alu instid0(VALU_DEP_1)
	v_mul_f64_e32 v[18:19], v[18:19], v[70:71]
	global_store_b64 v[72:73], v[18:19], off
	global_load_b64 v[18:19], v[58:59], off
	s_wait_loadcnt 0x0
	v_mul_f64_e32 v[18:19], v[18:19], v[50:51]
	global_store_b64 v[58:59], v[18:19], off
	global_load_b64 v[18:19], v[60:61], off
	v_lshlrev_b64_e32 v[58:59], 3, v[0:1]
	v_add_nc_u32_e32 v0, s2, v0
	s_delay_alu instid0(VALU_DEP_2) | instskip(SKIP_1) | instid1(VALU_DEP_3)
	v_add_co_u32 v58, vcc_lo, s4, v58
	s_wait_alu 0xfffd
	v_add_co_ci_u32_e64 v59, null, s5, v59, vcc_lo
	s_wait_loadcnt 0x0
	v_mul_f64_e32 v[18:19], v[18:19], v[54:55]
	global_store_b64 v[60:61], v[18:19], off
	global_load_b64 v[18:19], v[58:59], off
	v_lshlrev_b64_e32 v[60:61], 3, v[0:1]
	v_add_nc_u32_e32 v0, s2, v0
	s_delay_alu instid0(VALU_DEP_2) | instskip(SKIP_1) | instid1(VALU_DEP_3)
	v_add_co_u32 v60, vcc_lo, s4, v60
	s_wait_alu 0xfffd
	v_add_co_ci_u32_e64 v61, null, s5, v61, vcc_lo
	s_wait_loadcnt 0x0
	v_mul_f64_e32 v[18:19], v[18:19], v[62:63]
	s_delay_alu instid0(VALU_DEP_1) | instskip(NEXT) | instid1(VALU_DEP_1)
	v_mul_f64_e32 v[18:19], v[18:19], v[50:51]
	v_mul_f64_e32 v[18:19], v[50:51], v[18:19]
	global_store_b64 v[58:59], v[18:19], off
	global_load_b64 v[18:19], v[60:61], off
	v_lshlrev_b64_e32 v[58:59], 3, v[0:1]
	v_add_nc_u32_e32 v0, s2, v0
	s_delay_alu instid0(VALU_DEP_2) | instskip(SKIP_1) | instid1(VALU_DEP_3)
	v_add_co_u32 v58, vcc_lo, s4, v58
	s_wait_alu 0xfffd
	v_add_co_ci_u32_e64 v59, null, s5, v59, vcc_lo
	s_wait_loadcnt 0x0
	v_mul_f64_e32 v[18:19], v[18:19], v[96:97]
	s_delay_alu instid0(VALU_DEP_1)
	v_mul_f64_e32 v[18:19], v[18:19], v[50:51]
	global_store_b64 v[60:61], v[18:19], off
	global_load_b64 v[18:19], v[58:59], off
	s_wait_loadcnt 0x0
	v_mul_f64_e32 v[18:19], v[18:19], v[56:57]
	v_lshlrev_b64_e32 v[56:57], 3, v[0:1]
	v_add_nc_u32_e32 v0, s2, v0
	s_delay_alu instid0(VALU_DEP_2) | instskip(SKIP_1) | instid1(VALU_DEP_3)
	v_add_co_u32 v56, vcc_lo, s4, v56
	s_wait_alu 0xfffd
	v_add_co_ci_u32_e64 v57, null, s5, v57, vcc_lo
	global_store_b64 v[58:59], v[18:19], off
	global_load_b64 v[18:19], v[56:57], off
	s_wait_loadcnt 0x0
	v_mul_f64_e32 v[18:19], v[18:19], v[96:97]
	s_delay_alu instid0(VALU_DEP_1) | instskip(SKIP_2) | instid1(VALU_DEP_2)
	v_mul_f64_e32 v[18:19], v[18:19], v[54:55]
	v_lshlrev_b64_e32 v[54:55], 3, v[0:1]
	v_add_nc_u32_e32 v0, s2, v0
	v_add_co_u32 v62, vcc_lo, s4, v54
	s_wait_alu 0xfffd
	s_delay_alu instid0(VALU_DEP_3)
	v_add_co_ci_u32_e64 v63, null, s5, v55, vcc_lo
	v_add_co_u32 v54, vcc_lo, s0, v102
	s_wait_alu 0xfffd
	v_add_co_ci_u32_e64 v55, null, s1, v103, vcc_lo
	global_store_b64 v[56:57], v[18:19], off
	global_load_b64 v[18:19], v[62:63], off
	s_clause 0x3
	global_load_b64 v[56:57], v[54:55], off
	global_load_b64 v[70:71], v[54:55], off
	;; [unrolled: 1-line block ×4, first 2 shown]
	s_wait_loadcnt 0x3
	v_mul_f64_e32 v[18:19], v[18:19], v[56:57]
	v_lshlrev_b64_e32 v[56:57], 3, v[0:1]
	v_add_nc_u32_e32 v0, s2, v0
	s_delay_alu instid0(VALU_DEP_2) | instskip(SKIP_1) | instid1(VALU_DEP_3)
	v_add_co_u32 v72, vcc_lo, s4, v56
	s_wait_alu 0xfffd
	v_add_co_ci_u32_e64 v73, null, s5, v57, vcc_lo
	v_add_co_u32 v56, vcc_lo, s0, v92
	s_wait_alu 0xfffd
	v_add_co_ci_u32_e64 v57, null, s1, v93, vcc_lo
	v_lshlrev_b64_e32 v[92:93], 3, v[0:1]
	v_add_nc_u32_e32 v0, s2, v0
	s_delay_alu instid0(VALU_DEP_2) | instskip(SKIP_1) | instid1(VALU_DEP_3)
	v_add_co_u32 v92, vcc_lo, s4, v92
	s_wait_alu 0xfffd
	v_add_co_ci_u32_e64 v93, null, s5, v93, vcc_lo
	global_store_b64 v[62:63], v[18:19], off
	global_load_b64 v[18:19], v[72:73], off
	s_clause 0x2
	global_load_b64 v[86:87], v[56:57], off
	global_load_b64 v[62:63], v[56:57], off
	global_load_b64 v[56:57], v[56:57], off
	s_wait_loadcnt 0x2
	v_mul_f64_e32 v[18:19], v[18:19], v[86:87]
	s_delay_alu instid0(VALU_DEP_1) | instskip(SKIP_4) | instid1(VALU_DEP_2)
	v_mul_f64_e32 v[18:19], v[18:19], v[50:51]
	global_store_b64 v[72:73], v[18:19], off
	global_load_b64 v[18:19], v[92:93], off
	v_lshlrev_b64_e32 v[72:73], 3, v[0:1]
	v_add_nc_u32_e32 v0, s2, v0
	v_add_co_u32 v72, vcc_lo, s4, v72
	s_wait_alu 0xfffd
	s_delay_alu instid0(VALU_DEP_3)
	v_add_co_ci_u32_e64 v73, null, s5, v73, vcc_lo
	s_wait_loadcnt 0x0
	v_mul_f64_e32 v[18:19], v[18:19], v[86:87]
	global_load_b64 v[86:87], v[90:91], off
	v_mul_f64_e32 v[18:19], v[18:19], v[48:49]
	global_store_b64 v[92:93], v[18:19], off
	global_load_b64 v[18:19], v[72:73], off
	s_wait_loadcnt 0x0
	v_mul_f64_e32 v[18:19], v[18:19], v[86:87]
	v_lshlrev_b64_e32 v[86:87], 3, v[0:1]
	v_add_nc_u32_e32 v0, s2, v0
	s_delay_alu instid0(VALU_DEP_2) | instskip(SKIP_1) | instid1(VALU_DEP_3)
	v_add_co_u32 v86, vcc_lo, s4, v86
	s_wait_alu 0xfffd
	v_add_co_ci_u32_e64 v87, null, s5, v87, vcc_lo
	global_store_b64 v[72:73], v[18:19], off
	global_load_b64 v[18:19], v[86:87], off
	v_lshlrev_b64_e32 v[72:73], 3, v[0:1]
	v_add_nc_u32_e32 v0, s2, v0
	s_delay_alu instid0(VALU_DEP_2) | instskip(SKIP_1) | instid1(VALU_DEP_3)
	v_add_co_u32 v72, vcc_lo, s4, v72
	s_wait_alu 0xfffd
	v_add_co_ci_u32_e64 v73, null, s5, v73, vcc_lo
	s_wait_loadcnt 0x0
	v_mul_f64_e32 v[18:19], v[18:19], v[48:49]
	global_store_b64 v[86:87], v[18:19], off
	global_load_b64 v[18:19], v[72:73], off
	v_lshlrev_b64_e32 v[86:87], 3, v[0:1]
	v_add_nc_u32_e32 v0, s2, v0
	s_delay_alu instid0(VALU_DEP_2) | instskip(SKIP_1) | instid1(VALU_DEP_3)
	v_add_co_u32 v86, vcc_lo, s4, v86
	s_wait_alu 0xfffd
	v_add_co_ci_u32_e64 v87, null, s5, v87, vcc_lo
	s_wait_loadcnt 0x0
	v_mul_f64_e32 v[18:19], v[18:19], v[106:107]
	s_delay_alu instid0(VALU_DEP_1) | instskip(SKIP_4) | instid1(VALU_DEP_2)
	v_mul_f64_e32 v[18:19], v[18:19], v[48:49]
	global_store_b64 v[72:73], v[18:19], off
	global_load_b64 v[18:19], v[86:87], off
	v_lshlrev_b64_e32 v[72:73], 3, v[0:1]
	v_add_nc_u32_e32 v0, s2, v0
	v_add_co_u32 v72, vcc_lo, s4, v72
	s_wait_alu 0xfffd
	s_delay_alu instid0(VALU_DEP_3)
	v_add_co_ci_u32_e64 v73, null, s5, v73, vcc_lo
	s_wait_loadcnt 0x0
	v_mul_f64_e32 v[18:19], v[18:19], v[50:51]
	global_store_b64 v[86:87], v[18:19], off
	global_load_b64 v[18:19], v[72:73], off
	v_lshlrev_b64_e32 v[86:87], 3, v[0:1]
	v_add_nc_u32_e32 v0, s2, v0
	s_delay_alu instid0(VALU_DEP_2) | instskip(SKIP_1) | instid1(VALU_DEP_3)
	v_add_co_u32 v86, vcc_lo, s4, v86
	s_wait_alu 0xfffd
	v_add_co_ci_u32_e64 v87, null, s5, v87, vcc_lo
	s_wait_loadcnt 0x0
	v_mul_f64_e32 v[18:19], v[18:19], v[96:97]
	s_delay_alu instid0(VALU_DEP_1) | instskip(SKIP_4) | instid1(VALU_DEP_2)
	v_mul_f64_e32 v[18:19], v[18:19], v[50:51]
	global_store_b64 v[72:73], v[18:19], off
	global_load_b64 v[18:19], v[86:87], off
	v_lshlrev_b64_e32 v[72:73], 3, v[0:1]
	v_add_nc_u32_e32 v0, s2, v0
	v_add_co_u32 v72, vcc_lo, s4, v72
	s_wait_alu 0xfffd
	s_delay_alu instid0(VALU_DEP_3) | instskip(SKIP_2) | instid1(VALU_DEP_1)
	v_add_co_ci_u32_e64 v73, null, s5, v73, vcc_lo
	s_wait_loadcnt 0x0
	v_mul_f64_e32 v[18:19], v[18:19], v[121:122]
	v_mul_f64_e32 v[18:19], v[18:19], v[50:51]
	global_store_b64 v[86:87], v[18:19], off
	global_load_b64 v[18:19], v[72:73], off
	s_wait_loadcnt 0x0
	v_mul_f64_e32 v[18:19], v[18:19], v[50:51]
	v_lshlrev_b64_e32 v[50:51], 3, v[0:1]
	v_add_nc_u32_e32 v0, s2, v0
	s_delay_alu instid0(VALU_DEP_2) | instskip(SKIP_1) | instid1(VALU_DEP_3)
	v_add_co_u32 v50, vcc_lo, s4, v50
	s_wait_alu 0xfffd
	v_add_co_ci_u32_e64 v51, null, s5, v51, vcc_lo
	v_mul_f64_e32 v[18:19], v[18:19], v[42:43]
	s_delay_alu instid0(VALU_DEP_1) | instskip(SKIP_4) | instid1(VALU_DEP_2)
	v_mul_f64_e32 v[18:19], v[18:19], v[106:107]
	global_store_b64 v[72:73], v[18:19], off
	global_load_b64 v[18:19], v[50:51], off
	v_lshlrev_b64_e32 v[72:73], 3, v[0:1]
	v_add_nc_u32_e32 v0, s2, v0
	v_add_co_u32 v72, vcc_lo, s4, v72
	s_wait_alu 0xfffd
	s_delay_alu instid0(VALU_DEP_3) | instskip(SKIP_2) | instid1(VALU_DEP_1)
	v_add_co_ci_u32_e64 v73, null, s5, v73, vcc_lo
	s_wait_loadcnt 0x0
	v_mul_f64_e32 v[18:19], v[18:19], v[106:107]
	v_mul_f64_e32 v[18:19], v[18:19], v[38:39]
	global_store_b64 v[50:51], v[18:19], off
	global_load_b64 v[18:19], v[72:73], off
	v_lshlrev_b64_e32 v[50:51], 3, v[0:1]
	v_add_nc_u32_e32 v0, s2, v0
	s_delay_alu instid0(VALU_DEP_2) | instskip(SKIP_1) | instid1(VALU_DEP_3)
	v_add_co_u32 v50, vcc_lo, s4, v50
	s_wait_alu 0xfffd
	v_add_co_ci_u32_e64 v51, null, s5, v51, vcc_lo
	s_wait_loadcnt 0x0
	v_mul_f64_e32 v[18:19], v[18:19], v[38:39]
	global_store_b64 v[72:73], v[18:19], off
	global_load_b64 v[18:19], v[50:51], off
	v_lshlrev_b64_e32 v[72:73], 3, v[0:1]
	v_add_nc_u32_e32 v0, s2, v0
	s_delay_alu instid0(VALU_DEP_2) | instskip(SKIP_1) | instid1(VALU_DEP_3)
	v_add_co_u32 v72, vcc_lo, s4, v72
	s_wait_alu 0xfffd
	v_add_co_ci_u32_e64 v73, null, s5, v73, vcc_lo
	s_wait_loadcnt 0x0
	v_mul_f64_e32 v[18:19], v[18:19], v[106:107]
	global_store_b64 v[50:51], v[18:19], off
	global_load_b64 v[18:19], v[72:73], off
	v_lshlrev_b64_e32 v[50:51], 3, v[0:1]
	v_add_nc_u32_e32 v0, s3, v0
	s_delay_alu instid0(VALU_DEP_2) | instskip(SKIP_1) | instid1(VALU_DEP_3)
	v_add_co_u32 v50, vcc_lo, s4, v50
	s_wait_alu 0xfffd
	v_add_co_ci_u32_e64 v51, null, s5, v51, vcc_lo
	s_wait_loadcnt 0x0
	v_mul_f64_e32 v[18:19], v[18:19], v[52:53]
	v_lshlrev_b64_e32 v[52:53], 3, v[0:1]
	v_add_nc_u32_e32 v0, s2, v0
	s_delay_alu instid0(VALU_DEP_2) | instskip(SKIP_1) | instid1(VALU_DEP_3)
	v_add_co_u32 v52, vcc_lo, s4, v52
	s_wait_alu 0xfffd
	v_add_co_ci_u32_e64 v53, null, s5, v53, vcc_lo
	global_store_b64 v[72:73], v[18:19], off
	global_load_b64 v[18:19], v[50:51], off
	s_wait_loadcnt 0x0
	v_mul_f64_e32 v[18:19], v[18:19], v[84:85]
	s_delay_alu instid0(VALU_DEP_1)
	v_mul_f64_e32 v[18:19], v[18:19], v[106:107]
	global_store_b64 v[50:51], v[18:19], off
	global_load_b64 v[18:19], v[52:53], off
	s_wait_loadcnt 0x0
	v_mul_f64_e32 v[18:19], v[18:19], v[48:49]
	v_lshlrev_b64_e32 v[48:49], 3, v[0:1]
	v_add_nc_u32_e32 v0, s2, v0
	s_delay_alu instid0(VALU_DEP_2) | instskip(SKIP_1) | instid1(VALU_DEP_3)
	v_add_co_u32 v48, vcc_lo, s4, v48
	s_wait_alu 0xfffd
	v_add_co_ci_u32_e64 v49, null, s5, v49, vcc_lo
	global_store_b64 v[52:53], v[18:19], off
	global_load_b64 v[18:19], v[48:49], off
	s_wait_loadcnt 0x0
	v_mul_f64_e32 v[18:19], v[18:19], v[42:43]
	v_lshlrev_b64_e32 v[42:43], 3, v[0:1]
	v_add_nc_u32_e32 v0, s2, v0
	s_delay_alu instid0(VALU_DEP_2) | instskip(SKIP_1) | instid1(VALU_DEP_3)
	v_add_co_u32 v42, vcc_lo, s4, v42
	s_wait_alu 0xfffd
	v_add_co_ci_u32_e64 v43, null, s5, v43, vcc_lo
	global_store_b64 v[48:49], v[18:19], off
	global_load_b64 v[18:19], v[42:43], off
	v_lshlrev_b64_e32 v[48:49], 3, v[0:1]
	v_add_nc_u32_e32 v0, s2, v0
	s_delay_alu instid0(VALU_DEP_2) | instskip(SKIP_1) | instid1(VALU_DEP_3)
	v_add_co_u32 v48, vcc_lo, s4, v48
	s_wait_alu 0xfffd
	v_add_co_ci_u32_e64 v49, null, s5, v49, vcc_lo
	s_wait_loadcnt 0x0
	v_mul_f64_e32 v[18:19], v[18:19], v[38:39]
	global_store_b64 v[42:43], v[18:19], off
	global_load_b64 v[18:19], v[48:49], off
	v_lshlrev_b64_e32 v[42:43], 3, v[0:1]
	v_add_nc_u32_e32 v0, s2, v0
	s_delay_alu instid0(VALU_DEP_2) | instskip(SKIP_1) | instid1(VALU_DEP_3)
	v_add_co_u32 v42, vcc_lo, s4, v42
	s_wait_alu 0xfffd
	v_add_co_ci_u32_e64 v43, null, s5, v43, vcc_lo
	s_wait_loadcnt 0x0
	v_mul_f64_e32 v[18:19], v[18:19], v[40:41]
	global_store_b64 v[48:49], v[18:19], off
	global_load_b64 v[18:19], v[42:43], off
	v_lshlrev_b64_e32 v[48:49], 3, v[0:1]
	v_add_nc_u32_e32 v0, s2, v0
	s_delay_alu instid0(VALU_DEP_2) | instskip(SKIP_1) | instid1(VALU_DEP_3)
	v_add_co_u32 v48, vcc_lo, s4, v48
	s_wait_alu 0xfffd
	v_add_co_ci_u32_e64 v49, null, s5, v49, vcc_lo
	s_delay_alu instid0(VALU_DEP_3)
	v_lshlrev_b64_e32 v[52:53], 3, v[0:1]
	s_wait_loadcnt 0x0
	v_mul_f64_e32 v[18:19], v[18:19], v[78:79]
	global_store_b64 v[42:43], v[18:19], off
	global_load_b64 v[18:19], v[48:49], off
	v_mad_co_u64_u32 v[42:43], null, 0xffffffbc, s2, v[0:1]
	v_mov_b32_e32 v43, v1
	s_delay_alu instid0(VALU_DEP_1) | instskip(SKIP_2) | instid1(VALU_DEP_3)
	v_lshlrev_b64_e32 v[50:51], 3, v[42:43]
	v_mad_co_u64_u32 v[42:43], null, 0x45, s2, v[42:43]
	v_mov_b32_e32 v43, v1
	v_add_co_u32 v50, vcc_lo, s0, v50
	s_wait_alu 0xfffd
	s_delay_alu instid0(VALU_DEP_4)
	v_add_co_ci_u32_e64 v51, null, s1, v51, vcc_lo
	v_add_co_u32 v52, vcc_lo, s4, v52
	s_wait_alu 0xfffd
	v_add_co_ci_u32_e64 v53, null, s5, v53, vcc_lo
	v_add_nc_u32_e32 v0, s2, v42
	s_wait_loadcnt 0x0
	v_mul_f64_e32 v[18:19], v[18:19], v[70:71]
	global_load_b64 v[70:71], v[50:51], off
	v_mul_f64_e32 v[18:19], v[18:19], v[36:37]
	global_store_b64 v[48:49], v[18:19], off
	global_load_b64 v[18:19], v[52:53], off
	v_lshlrev_b64_e32 v[48:49], 3, v[42:43]
	v_lshlrev_b64_e32 v[42:43], 3, v[0:1]
	v_add_nc_u32_e32 v0, s2, v0
	s_delay_alu instid0(VALU_DEP_3) | instskip(SKIP_1) | instid1(VALU_DEP_4)
	v_add_co_u32 v48, vcc_lo, s4, v48
	s_wait_alu 0xfffd
	v_add_co_ci_u32_e64 v49, null, s5, v49, vcc_lo
	s_delay_alu instid0(VALU_DEP_4)
	v_add_co_u32 v42, vcc_lo, s4, v42
	s_wait_alu 0xfffd
	v_add_co_ci_u32_e64 v43, null, s5, v43, vcc_lo
	s_wait_loadcnt 0x0
	v_mul_f64_e32 v[18:19], v[18:19], v[70:71]
	global_store_b64 v[52:53], v[18:19], off
	global_load_b64 v[18:19], v[48:49], off
	s_wait_loadcnt 0x0
	v_mul_f64_e32 v[18:19], v[18:19], v[84:85]
	s_delay_alu instid0(VALU_DEP_1) | instskip(SKIP_4) | instid1(VALU_DEP_2)
	v_mul_f64_e32 v[18:19], v[18:19], v[36:37]
	global_store_b64 v[48:49], v[18:19], off
	global_load_b64 v[18:19], v[42:43], off
	v_lshlrev_b64_e32 v[48:49], 3, v[0:1]
	v_add_nc_u32_e32 v0, s2, v0
	v_add_co_u32 v48, vcc_lo, s4, v48
	s_wait_alu 0xfffd
	s_delay_alu instid0(VALU_DEP_3)
	v_add_co_ci_u32_e64 v49, null, s5, v49, vcc_lo
	s_wait_loadcnt 0x0
	v_mul_f64_e32 v[18:19], v[18:19], v[38:39]
	global_store_b64 v[42:43], v[18:19], off
	global_load_b64 v[18:19], v[48:49], off
	s_wait_loadcnt 0x0
	v_mul_f64_e32 v[18:19], v[18:19], v[38:39]
	v_lshlrev_b64_e32 v[38:39], 3, v[0:1]
	v_add_nc_u32_e32 v0, s2, v0
	s_delay_alu instid0(VALU_DEP_2) | instskip(SKIP_1) | instid1(VALU_DEP_3)
	v_add_co_u32 v38, vcc_lo, s4, v38
	s_wait_alu 0xfffd
	v_add_co_ci_u32_e64 v39, null, s5, v39, vcc_lo
	global_store_b64 v[48:49], v[18:19], off
	global_load_b64 v[18:19], v[38:39], off
	s_wait_loadcnt 0x0
	v_mul_f64_e32 v[18:19], v[18:19], v[20:21]
	v_lshlrev_b64_e32 v[20:21], 3, v[0:1]
	v_add_nc_u32_e32 v0, s2, v0
	s_delay_alu instid0(VALU_DEP_2) | instskip(SKIP_1) | instid1(VALU_DEP_3)
	v_add_co_u32 v20, vcc_lo, s4, v20
	s_wait_alu 0xfffd
	v_add_co_ci_u32_e64 v21, null, s5, v21, vcc_lo
	s_delay_alu instid0(VALU_DEP_3) | instskip(SKIP_1) | instid1(VALU_DEP_2)
	v_lshlrev_b64_e32 v[52:53], 3, v[0:1]
	v_add_nc_u32_e32 v0, s2, v0
	v_add_co_u32 v52, vcc_lo, s4, v52
	s_wait_alu 0xfffd
	s_delay_alu instid0(VALU_DEP_3)
	v_add_co_ci_u32_e64 v53, null, s5, v53, vcc_lo
	global_store_b64 v[38:39], v[18:19], off
	global_load_b64 v[18:19], v[20:21], off
	s_clause 0x3
	global_load_b64 v[38:39], v[2:3], off
	global_load_b64 v[72:73], v[2:3], off
	;; [unrolled: 1-line block ×4, first 2 shown]
	s_wait_loadcnt 0x3
	v_mul_f64_e32 v[18:19], v[18:19], v[38:39]
	s_delay_alu instid0(VALU_DEP_1) | instskip(SKIP_4) | instid1(VALU_DEP_2)
	v_mul_f64_e32 v[18:19], v[18:19], v[84:85]
	global_store_b64 v[20:21], v[18:19], off
	global_load_b64 v[18:19], v[52:53], off
	v_lshlrev_b64_e32 v[20:21], 3, v[0:1]
	v_add_nc_u32_e32 v0, s2, v0
	v_add_co_u32 v20, vcc_lo, s4, v20
	s_wait_alu 0xfffd
	s_delay_alu instid0(VALU_DEP_3) | instskip(SKIP_2) | instid1(VALU_DEP_1)
	v_add_co_ci_u32_e64 v21, null, s5, v21, vcc_lo
	s_wait_loadcnt 0x0
	v_mul_f64_e32 v[18:19], v[18:19], v[70:71]
	v_mul_f64_e32 v[18:19], v[18:19], v[44:45]
	global_store_b64 v[52:53], v[18:19], off
	global_load_b64 v[18:19], v[20:21], off
	s_wait_loadcnt 0x0
	v_mul_f64_e32 v[18:19], v[18:19], v[38:39]
	v_lshlrev_b64_e32 v[38:39], 3, v[0:1]
	v_add_nc_u32_e32 v0, s2, v0
	s_delay_alu instid0(VALU_DEP_2) | instskip(SKIP_1) | instid1(VALU_DEP_3)
	v_add_co_u32 v38, vcc_lo, s4, v38
	s_wait_alu 0xfffd
	v_add_co_ci_u32_e64 v39, null, s5, v39, vcc_lo
	global_store_b64 v[20:21], v[18:19], off
	global_load_b64 v[18:19], v[38:39], off
	v_lshlrev_b64_e32 v[20:21], 3, v[0:1]
	v_add_nc_u32_e32 v0, s2, v0
	s_delay_alu instid0(VALU_DEP_2) | instskip(SKIP_1) | instid1(VALU_DEP_3)
	v_add_co_u32 v20, vcc_lo, s4, v20
	s_wait_alu 0xfffd
	v_add_co_ci_u32_e64 v21, null, s5, v21, vcc_lo
	s_wait_loadcnt 0x0
	v_mul_f64_e32 v[18:19], v[18:19], v[70:71]
	s_delay_alu instid0(VALU_DEP_1)
	v_mul_f64_e32 v[18:19], v[18:19], v[40:41]
	global_store_b64 v[38:39], v[18:19], off
	global_load_b64 v[18:19], v[20:21], off
	s_wait_loadcnt 0x0
	v_mul_f64_e32 v[18:19], v[18:19], v[36:37]
	v_lshlrev_b64_e32 v[36:37], 3, v[0:1]
	v_add_nc_u32_e32 v0, s2, v0
	s_delay_alu instid0(VALU_DEP_2) | instskip(SKIP_1) | instid1(VALU_DEP_3)
	v_add_co_u32 v36, vcc_lo, s4, v36
	s_wait_alu 0xfffd
	v_add_co_ci_u32_e64 v37, null, s5, v37, vcc_lo
	v_add_co_u32 v38, vcc_lo, s0, v94
	s_wait_alu 0xfffd
	v_add_co_ci_u32_e64 v39, null, s1, v95, vcc_lo
	global_load_b64 v[40:41], v[38:39], off
	global_store_b64 v[20:21], v[18:19], off
	global_load_b64 v[18:19], v[36:37], off
	v_lshlrev_b64_e32 v[20:21], 3, v[0:1]
	v_add_nc_u32_e32 v0, s2, v0
	s_delay_alu instid0(VALU_DEP_2) | instskip(SKIP_1) | instid1(VALU_DEP_3)
	v_add_co_u32 v20, vcc_lo, s4, v20
	s_wait_alu 0xfffd
	v_add_co_ci_u32_e64 v21, null, s5, v21, vcc_lo
	v_add_co_u32 v68, vcc_lo, s0, v68
	s_wait_alu 0xfffd
	v_add_co_ci_u32_e64 v69, null, s1, v69, vcc_lo
	s_wait_loadcnt 0x0
	v_mul_f64_e32 v[18:19], v[18:19], v[70:71]
	s_delay_alu instid0(VALU_DEP_1)
	v_mul_f64_e32 v[18:19], v[18:19], v[82:83]
	global_store_b64 v[36:37], v[18:19], off
	global_load_b64 v[18:19], v[20:21], off
	v_lshlrev_b64_e32 v[36:37], 3, v[0:1]
	s_clause 0x1
	global_load_b64 v[78:79], v[68:69], off
	global_load_b64 v[38:39], v[38:39], off
	v_add_nc_u32_e32 v0, s2, v0
	global_load_b64 v[44:45], v[68:69], off
	v_add_co_u32 v36, vcc_lo, s4, v36
	s_wait_alu 0xfffd
	v_add_co_ci_u32_e64 v37, null, s5, v37, vcc_lo
	s_wait_loadcnt 0x3
	v_mul_f64_e32 v[18:19], v[18:19], v[40:41]
	global_store_b64 v[20:21], v[18:19], off
	global_load_b64 v[18:19], v[36:37], off
	v_lshlrev_b64_e32 v[20:21], 3, v[0:1]
	v_add_nc_u32_e32 v0, s2, v0
	s_delay_alu instid0(VALU_DEP_2) | instskip(SKIP_1) | instid1(VALU_DEP_3)
	v_add_co_u32 v20, vcc_lo, s4, v20
	s_wait_alu 0xfffd
	v_add_co_ci_u32_e64 v21, null, s5, v21, vcc_lo
	s_delay_alu instid0(VALU_DEP_3) | instskip(SKIP_1) | instid1(VALU_DEP_2)
	v_lshlrev_b64_e32 v[84:85], 3, v[0:1]
	v_add_nc_u32_e32 v0, s2, v0
	v_add_co_u32 v84, vcc_lo, s4, v84
	s_wait_alu 0xfffd
	s_delay_alu instid0(VALU_DEP_3)
	v_add_co_ci_u32_e64 v85, null, s5, v85, vcc_lo
	v_add_co_u32 v86, vcc_lo, s0, v64
	s_wait_alu 0xfffd
	v_add_co_ci_u32_e64 v87, null, s1, v65, vcc_lo
	s_wait_loadcnt 0x0
	v_mul_f64_e32 v[18:19], v[18:19], v[70:71]
	global_store_b64 v[36:37], v[18:19], off
	global_load_b64 v[18:19], v[20:21], off
	s_clause 0x4
	global_load_b64 v[36:37], v[14:15], off
	global_load_b64 v[70:71], v[14:15], off
	global_load_b64 v[52:53], v[14:15], off
	global_load_b64 v[40:41], v[14:15], off
	global_load_b64 v[92:93], v[86:87], off
	s_wait_loadcnt 0x5
	v_mul_f64_e32 v[18:19], v[18:19], v[44:45]
	s_wait_loadcnt 0x4
	s_delay_alu instid0(VALU_DEP_1) | instskip(SKIP_4) | instid1(VALU_DEP_2)
	v_mul_f64_e32 v[18:19], v[18:19], v[36:37]
	global_store_b64 v[20:21], v[18:19], off
	global_load_b64 v[18:19], v[84:85], off
	v_lshlrev_b64_e32 v[20:21], 3, v[0:1]
	v_add_nc_u32_e32 v0, s2, v0
	v_add_co_u32 v90, vcc_lo, s4, v20
	s_wait_alu 0xfffd
	s_delay_alu instid0(VALU_DEP_3)
	v_add_co_ci_u32_e64 v91, null, s5, v21, vcc_lo
	v_add_co_u32 v64, vcc_lo, s0, v88
	s_wait_alu 0xfffd
	v_add_co_ci_u32_e64 v65, null, s1, v89, vcc_lo
	s_wait_loadcnt 0x0
	v_mul_f64_e32 v[18:19], v[18:19], v[44:45]
	s_delay_alu instid0(VALU_DEP_1)
	v_mul_f64_e32 v[18:19], v[18:19], v[36:37]
	global_store_b64 v[84:85], v[18:19], off
	global_load_b64 v[84:85], v[90:91], off
	s_clause 0x1
	global_load_b64 v[18:19], v[64:65], off
	global_load_b64 v[20:21], v[86:87], off
	v_lshlrev_b64_e32 v[86:87], 3, v[0:1]
	v_add_nc_u32_e32 v0, s2, v0
	s_delay_alu instid0(VALU_DEP_2) | instskip(SKIP_1) | instid1(VALU_DEP_3)
	v_add_co_u32 v86, vcc_lo, s4, v86
	s_wait_alu 0xfffd
	v_add_co_ci_u32_e64 v87, null, s5, v87, vcc_lo
	s_wait_loadcnt 0x2
	v_mul_f64_e32 v[84:85], v[84:85], v[92:93]
	global_store_b64 v[90:91], v[84:85], off
	global_load_b64 v[84:85], v[86:87], off
	s_wait_loadcnt 0x0
	v_mul_f64_e32 v[36:37], v[84:85], v[36:37]
	v_lshlrev_b64_e32 v[84:85], 3, v[0:1]
	v_add_nc_u32_e32 v0, s2, v0
	s_delay_alu instid0(VALU_DEP_2) | instskip(SKIP_1) | instid1(VALU_DEP_3)
	v_add_co_u32 v84, vcc_lo, s4, v84
	s_wait_alu 0xfffd
	v_add_co_ci_u32_e64 v85, null, s5, v85, vcc_lo
	global_store_b64 v[86:87], v[36:37], off
	global_load_b64 v[36:37], v[84:85], off
	s_wait_loadcnt 0x0
	v_mul_f64_e32 v[36:37], v[36:37], v[44:45]
	v_lshlrev_b64_e32 v[44:45], 3, v[0:1]
	v_add_nc_u32_e32 v0, s2, v0
	s_delay_alu instid0(VALU_DEP_2) | instskip(SKIP_1) | instid1(VALU_DEP_3)
	v_add_co_u32 v44, vcc_lo, s4, v44
	s_wait_alu 0xfffd
	v_add_co_ci_u32_e64 v45, null, s5, v45, vcc_lo
	v_mul_f64_e32 v[36:37], v[36:37], v[82:83]
	v_lshlrev_b64_e32 v[82:83], 3, v[0:1]
	v_add_nc_u32_e32 v0, s2, v0
	s_delay_alu instid0(VALU_DEP_2) | instskip(SKIP_1) | instid1(VALU_DEP_3)
	v_add_co_u32 v82, vcc_lo, s4, v82
	s_wait_alu 0xfffd
	v_add_co_ci_u32_e64 v83, null, s5, v83, vcc_lo
	s_delay_alu instid0(VALU_DEP_3) | instskip(SKIP_1) | instid1(VALU_DEP_2)
	v_lshlrev_b64_e32 v[90:91], 3, v[0:1]
	v_add_nc_u32_e32 v0, s2, v0
	v_add_co_u32 v90, vcc_lo, s4, v90
	s_wait_alu 0xfffd
	s_delay_alu instid0(VALU_DEP_3) | instskip(SKIP_4) | instid1(VALU_DEP_1)
	v_add_co_ci_u32_e64 v91, null, s5, v91, vcc_lo
	global_store_b64 v[84:85], v[36:37], off
	global_load_b64 v[36:37], v[44:45], off
	s_wait_loadcnt 0x0
	v_mul_f64_e32 v[36:37], v[36:37], v[80:81]
	v_mul_f64_e32 v[36:37], v[36:37], v[32:33]
	global_store_b64 v[44:45], v[36:37], off
	global_load_b64 v[84:85], v[82:83], off
	s_clause 0x3
	global_load_b64 v[86:87], v[6:7], off
	global_load_b64 v[88:89], v[6:7], off
	;; [unrolled: 1-line block ×4, first 2 shown]
	s_wait_loadcnt 0x3
	v_mul_f64_e32 v[84:85], v[84:85], v[86:87]
	s_delay_alu instid0(VALU_DEP_1) | instskip(SKIP_4) | instid1(VALU_DEP_2)
	v_mul_f64_e32 v[84:85], v[84:85], v[72:73]
	global_store_b64 v[82:83], v[84:85], off
	global_load_b64 v[82:83], v[90:91], off
	v_lshlrev_b64_e32 v[84:85], 3, v[0:1]
	v_add_nc_u32_e32 v0, s2, v0
	v_add_co_u32 v84, vcc_lo, s4, v84
	s_wait_alu 0xfffd
	s_delay_alu instid0(VALU_DEP_3)
	v_add_co_ci_u32_e64 v85, null, s5, v85, vcc_lo
	s_wait_loadcnt 0x0
	v_mul_f64_e32 v[82:83], v[82:83], v[30:31]
	global_store_b64 v[90:91], v[82:83], off
	global_load_b64 v[82:83], v[84:85], off
	v_lshlrev_b64_e32 v[90:91], 3, v[0:1]
	v_add_nc_u32_e32 v0, s2, v0
	s_delay_alu instid0(VALU_DEP_2) | instskip(SKIP_1) | instid1(VALU_DEP_3)
	v_add_co_u32 v90, vcc_lo, s4, v90
	s_wait_alu 0xfffd
	v_add_co_ci_u32_e64 v91, null, s5, v91, vcc_lo
	s_wait_loadcnt 0x0
	v_mul_f64_e32 v[82:83], v[82:83], v[80:81]
	s_delay_alu instid0(VALU_DEP_1) | instskip(SKIP_4) | instid1(VALU_DEP_2)
	v_mul_f64_e32 v[82:83], v[82:83], v[72:73]
	global_store_b64 v[84:85], v[82:83], off
	global_load_b64 v[82:83], v[90:91], off
	v_lshlrev_b64_e32 v[84:85], 3, v[0:1]
	v_add_nc_u32_e32 v0, s2, v0
	v_add_co_u32 v84, vcc_lo, s4, v84
	s_wait_alu 0xfffd
	s_delay_alu instid0(VALU_DEP_3) | instskip(SKIP_2) | instid1(VALU_DEP_1)
	v_add_co_ci_u32_e64 v85, null, s5, v85, vcc_lo
	s_wait_loadcnt 0x0
	v_mul_f64_e32 v[82:83], v[82:83], v[80:81]
	v_mul_f64_e32 v[82:83], v[82:83], v[30:31]
	global_store_b64 v[90:91], v[82:83], off
	global_load_b64 v[82:83], v[84:85], off
	s_wait_loadcnt 0x0
	v_mul_f64_e32 v[80:81], v[82:83], v[80:81]
	s_delay_alu instid0(VALU_DEP_1) | instskip(SKIP_2) | instid1(VALU_DEP_2)
	v_mul_f64_e32 v[34:35], v[80:81], v[34:35]
	v_lshlrev_b64_e32 v[80:81], 3, v[0:1]
	v_add_nc_u32_e32 v0, s2, v0
	v_add_co_u32 v80, vcc_lo, s4, v80
	s_wait_alu 0xfffd
	s_delay_alu instid0(VALU_DEP_3) | instskip(SKIP_4) | instid1(VALU_DEP_1)
	v_add_co_ci_u32_e64 v81, null, s5, v81, vcc_lo
	global_store_b64 v[84:85], v[34:35], off
	global_load_b64 v[34:35], v[80:81], off
	s_wait_loadcnt 0x0
	v_mul_f64_e32 v[34:35], v[34:35], v[86:87]
	v_mul_f64_e32 v[32:33], v[34:35], v[32:33]
	v_lshlrev_b64_e32 v[34:35], 3, v[0:1]
	v_add_nc_u32_e32 v0, s2, v0
	s_delay_alu instid0(VALU_DEP_2) | instskip(SKIP_1) | instid1(VALU_DEP_3)
	v_add_co_u32 v34, vcc_lo, s4, v34
	s_wait_alu 0xfffd
	v_add_co_ci_u32_e64 v35, null, s5, v35, vcc_lo
	global_store_b64 v[80:81], v[32:33], off
	global_load_b64 v[32:33], v[34:35], off
	v_lshlrev_b64_e32 v[80:81], 3, v[0:1]
	v_add_nc_u32_e32 v0, s2, v0
	s_delay_alu instid0(VALU_DEP_2) | instskip(SKIP_1) | instid1(VALU_DEP_3)
	v_add_co_u32 v80, vcc_lo, s4, v80
	s_wait_alu 0xfffd
	v_add_co_ci_u32_e64 v81, null, s5, v81, vcc_lo
	s_wait_loadcnt 0x0
	v_mul_f64_e32 v[32:33], v[32:33], v[86:87]
	s_delay_alu instid0(VALU_DEP_1) | instskip(SKIP_4) | instid1(VALU_DEP_1)
	v_mul_f64_e32 v[32:33], v[32:33], v[72:73]
	global_store_b64 v[34:35], v[32:33], off
	global_load_b64 v[32:33], v[80:81], off
	s_wait_loadcnt 0x0
	v_mul_f64_e32 v[32:33], v[32:33], v[86:87]
	v_mul_f64_e32 v[30:31], v[32:33], v[30:31]
	v_lshlrev_b64_e32 v[32:33], 3, v[0:1]
	v_add_nc_u32_e32 v0, s2, v0
	s_delay_alu instid0(VALU_DEP_2) | instskip(SKIP_1) | instid1(VALU_DEP_3)
	v_add_co_u32 v32, vcc_lo, s4, v32
	s_wait_alu 0xfffd
	v_add_co_ci_u32_e64 v33, null, s5, v33, vcc_lo
	s_delay_alu instid0(VALU_DEP_3) | instskip(SKIP_1) | instid1(VALU_DEP_2)
	v_lshlrev_b64_e32 v[34:35], 3, v[0:1]
	v_add_nc_u32_e32 v0, s2, v0
	v_add_co_u32 v34, vcc_lo, s4, v34
	s_wait_alu 0xfffd
	s_delay_alu instid0(VALU_DEP_3) | instskip(SKIP_4) | instid1(VALU_DEP_1)
	v_add_co_ci_u32_e64 v35, null, s5, v35, vcc_lo
	global_store_b64 v[80:81], v[30:31], off
	global_load_b64 v[30:31], v[32:33], off
	s_wait_loadcnt 0x0
	v_mul_f64_e32 v[30:31], v[30:31], v[78:79]
	v_mul_f64_e32 v[30:31], v[30:31], v[70:71]
	global_store_b64 v[32:33], v[30:31], off
	global_load_b64 v[30:31], v[34:35], off
	v_lshlrev_b64_e32 v[32:33], 3, v[0:1]
	v_add_nc_u32_e32 v0, s2, v0
	s_delay_alu instid0(VALU_DEP_2) | instskip(SKIP_1) | instid1(VALU_DEP_3)
	v_add_co_u32 v32, vcc_lo, s4, v32
	s_wait_alu 0xfffd
	v_add_co_ci_u32_e64 v33, null, s5, v33, vcc_lo
	s_wait_loadcnt 0x0
	v_mul_f64_e32 v[30:31], v[30:31], v[86:87]
	s_delay_alu instid0(VALU_DEP_1) | instskip(SKIP_4) | instid1(VALU_DEP_2)
	v_mul_f64_e32 v[30:31], v[86:87], v[30:31]
	global_store_b64 v[34:35], v[30:31], off
	global_load_b64 v[30:31], v[32:33], off
	v_lshlrev_b64_e32 v[34:35], 3, v[0:1]
	v_add_nc_u32_e32 v0, s2, v0
	v_add_co_u32 v34, vcc_lo, s4, v34
	s_wait_alu 0xfffd
	s_delay_alu instid0(VALU_DEP_3) | instskip(SKIP_2) | instid1(VALU_DEP_1)
	v_add_co_ci_u32_e64 v35, null, s5, v35, vcc_lo
	s_wait_loadcnt 0x0
	v_mul_f64_e32 v[30:31], v[30:31], v[86:87]
	v_mul_f64_e32 v[30:31], v[86:87], v[30:31]
	global_store_b64 v[32:33], v[30:31], off
	global_load_b64 v[30:31], v[34:35], off
	v_lshlrev_b64_e32 v[32:33], 3, v[0:1]
	v_add_nc_u32_e32 v0, s2, v0
	s_delay_alu instid0(VALU_DEP_2) | instskip(SKIP_1) | instid1(VALU_DEP_3)
	v_add_co_u32 v32, vcc_lo, s4, v32
	s_wait_alu 0xfffd
	v_add_co_ci_u32_e64 v33, null, s5, v33, vcc_lo
	s_wait_loadcnt 0x0
	v_mul_f64_e32 v[30:31], v[30:31], v[74:75]
	global_store_b64 v[34:35], v[30:31], off
	global_load_b64 v[30:31], v[32:33], off
	v_lshlrev_b64_e32 v[34:35], 3, v[0:1]
	v_add_nc_u32_e32 v0, s2, v0
	s_delay_alu instid0(VALU_DEP_2) | instskip(SKIP_1) | instid1(VALU_DEP_3)
	v_add_co_u32 v34, vcc_lo, s4, v34
	s_wait_alu 0xfffd
	v_add_co_ci_u32_e64 v35, null, s5, v35, vcc_lo
	s_wait_loadcnt 0x0
	v_mul_f64_e32 v[30:31], v[30:31], v[70:71]
	s_delay_alu instid0(VALU_DEP_1) | instskip(NEXT) | instid1(VALU_DEP_1)
	v_mul_f64_e32 v[30:31], v[30:31], v[74:75]
	v_mul_f64_e32 v[30:31], v[74:75], v[30:31]
	global_store_b64 v[32:33], v[30:31], off
	global_load_b64 v[30:31], v[34:35], off
	v_lshlrev_b64_e32 v[32:33], 3, v[0:1]
	v_add_nc_u32_e32 v0, s2, v0
	s_delay_alu instid0(VALU_DEP_2) | instskip(SKIP_1) | instid1(VALU_DEP_3)
	v_add_co_u32 v32, vcc_lo, s4, v32
	s_wait_alu 0xfffd
	v_add_co_ci_u32_e64 v33, null, s5, v33, vcc_lo
	s_wait_loadcnt 0x0
	v_mul_f64_e32 v[30:31], v[30:31], v[72:73]
	s_delay_alu instid0(VALU_DEP_1) | instskip(NEXT) | instid1(VALU_DEP_1)
	v_mul_f64_e32 v[30:31], v[30:31], v[74:75]
	v_mul_f64_e32 v[30:31], v[74:75], v[30:31]
	global_store_b64 v[34:35], v[30:31], off
	global_load_b64 v[30:31], v[32:33], off
	v_lshlrev_b64_e32 v[34:35], 3, v[0:1]
	v_add_nc_u32_e32 v0, s2, v0
	s_delay_alu instid0(VALU_DEP_2) | instskip(SKIP_1) | instid1(VALU_DEP_3)
	v_add_co_u32 v34, vcc_lo, s4, v34
	s_wait_alu 0xfffd
	v_add_co_ci_u32_e64 v35, null, s5, v35, vcc_lo
	s_wait_loadcnt 0x0
	v_mul_f64_e32 v[30:31], v[30:31], v[62:63]
	s_delay_alu instid0(VALU_DEP_1) | instskip(SKIP_4) | instid1(VALU_DEP_2)
	v_mul_f64_e32 v[30:31], v[30:31], v[74:75]
	global_store_b64 v[32:33], v[30:31], off
	global_load_b64 v[30:31], v[34:35], off
	v_lshlrev_b64_e32 v[32:33], 3, v[0:1]
	v_add_nc_u32_e32 v0, s3, v0
	v_add_co_u32 v32, vcc_lo, s4, v32
	s_wait_alu 0xfffd
	s_delay_alu instid0(VALU_DEP_3)
	v_add_co_ci_u32_e64 v33, null, s5, v33, vcc_lo
	s_wait_loadcnt 0x0
	v_mul_f64_e32 v[30:31], v[30:31], v[74:75]
	global_store_b64 v[34:35], v[30:31], off
	global_load_b64 v[30:31], v[32:33], off
	v_lshlrev_b64_e32 v[34:35], 3, v[0:1]
	v_add_nc_u32_e32 v0, s2, v0
	s_delay_alu instid0(VALU_DEP_2) | instskip(SKIP_1) | instid1(VALU_DEP_3)
	v_add_co_u32 v34, vcc_lo, s4, v34
	s_wait_alu 0xfffd
	v_add_co_ci_u32_e64 v35, null, s5, v35, vcc_lo
	s_wait_loadcnt 0x0
	v_mul_f64_e32 v[30:31], v[30:31], v[62:63]
	s_delay_alu instid0(VALU_DEP_1) | instskip(NEXT) | instid1(VALU_DEP_1)
	v_mul_f64_e32 v[30:31], v[30:31], v[74:75]
	v_mul_f64_e32 v[30:31], v[74:75], v[30:31]
	global_store_b64 v[32:33], v[30:31], off
	global_load_b64 v[30:31], v[34:35], off
	v_lshlrev_b64_e32 v[32:33], 3, v[0:1]
	v_add_nc_u32_e32 v0, s2, v0
	s_delay_alu instid0(VALU_DEP_2) | instskip(SKIP_1) | instid1(VALU_DEP_3)
	v_add_co_u32 v32, vcc_lo, s4, v32
	s_wait_alu 0xfffd
	v_add_co_ci_u32_e64 v33, null, s5, v33, vcc_lo
	s_wait_loadcnt 0x0
	v_mul_f64_e32 v[30:31], v[30:31], v[62:63]
	s_delay_alu instid0(VALU_DEP_1) | instskip(SKIP_4) | instid1(VALU_DEP_2)
	v_mul_f64_e32 v[30:31], v[30:31], v[70:71]
	global_store_b64 v[34:35], v[30:31], off
	global_load_b64 v[30:31], v[32:33], off
	v_lshlrev_b64_e32 v[34:35], 3, v[0:1]
	v_add_nc_u32_e32 v0, s2, v0
	v_add_co_u32 v34, vcc_lo, s4, v34
	s_wait_alu 0xfffd
	s_delay_alu instid0(VALU_DEP_3) | instskip(SKIP_2) | instid1(VALU_DEP_1)
	v_add_co_ci_u32_e64 v35, null, s5, v35, vcc_lo
	s_wait_loadcnt 0x0
	v_mul_f64_e32 v[30:31], v[30:31], v[76:77]
	v_mul_f64_e32 v[30:31], v[30:31], v[70:71]
	global_store_b64 v[32:33], v[30:31], off
	global_load_b64 v[30:31], v[34:35], off
	v_lshlrev_b64_e32 v[32:33], 3, v[0:1]
	v_add_nc_u32_e32 v0, s2, v0
	s_delay_alu instid0(VALU_DEP_2) | instskip(SKIP_1) | instid1(VALU_DEP_3)
	v_add_co_u32 v32, vcc_lo, s4, v32
	s_wait_alu 0xfffd
	v_add_co_ci_u32_e64 v33, null, s5, v33, vcc_lo
	s_wait_loadcnt 0x0
	v_mul_f64_e32 v[30:31], v[30:31], v[74:75]
	global_store_b64 v[34:35], v[30:31], off
	global_load_b64 v[30:31], v[32:33], off
	v_lshlrev_b64_e32 v[34:35], 3, v[0:1]
	v_add_nc_u32_e32 v0, s2, v0
	s_delay_alu instid0(VALU_DEP_2) | instskip(SKIP_1) | instid1(VALU_DEP_3)
	v_add_co_u32 v34, vcc_lo, s4, v34
	s_wait_alu 0xfffd
	v_add_co_ci_u32_e64 v35, null, s5, v35, vcc_lo
	s_wait_loadcnt 0x0
	v_mul_f64_e32 v[30:31], v[30:31], v[60:61]
	s_delay_alu instid0(VALU_DEP_1) | instskip(SKIP_4) | instid1(VALU_DEP_2)
	v_mul_f64_e32 v[30:31], v[30:31], v[70:71]
	global_store_b64 v[32:33], v[30:31], off
	global_load_b64 v[30:31], v[34:35], off
	v_lshlrev_b64_e32 v[32:33], 3, v[0:1]
	v_add_nc_u32_e32 v0, s3, v0
	v_add_co_u32 v32, vcc_lo, s4, v32
	s_wait_alu 0xfffd
	s_delay_alu instid0(VALU_DEP_3) | instskip(SKIP_2) | instid1(VALU_DEP_1)
	v_add_co_ci_u32_e64 v33, null, s5, v33, vcc_lo
	s_wait_loadcnt 0x0
	v_mul_f64_e32 v[30:31], v[30:31], v[88:89]
	v_mul_f64_e32 v[30:31], v[30:31], v[74:75]
	global_store_b64 v[34:35], v[30:31], off
	global_load_b64 v[30:31], v[32:33], off
	v_lshlrev_b64_e32 v[34:35], 3, v[0:1]
	v_add_nc_u32_e32 v0, s2, v0
	s_delay_alu instid0(VALU_DEP_2) | instskip(SKIP_1) | instid1(VALU_DEP_3)
	v_add_co_u32 v34, vcc_lo, s4, v34
	s_wait_alu 0xfffd
	v_add_co_ci_u32_e64 v35, null, s5, v35, vcc_lo
	s_wait_loadcnt 0x0
	v_mul_f64_e32 v[30:31], v[30:31], v[74:75]
	global_store_b64 v[32:33], v[30:31], off
	global_load_b64 v[30:31], v[34:35], off
	v_lshlrev_b64_e32 v[32:33], 3, v[0:1]
	v_add_nc_u32_e32 v0, s2, v0
	s_delay_alu instid0(VALU_DEP_2) | instskip(SKIP_1) | instid1(VALU_DEP_3)
	v_add_co_u32 v32, vcc_lo, s4, v32
	s_wait_alu 0xfffd
	v_add_co_ci_u32_e64 v33, null, s5, v33, vcc_lo
	s_wait_loadcnt 0x0
	v_mul_f64_e32 v[30:31], v[30:31], v[62:63]
	s_delay_alu instid0(VALU_DEP_1) | instskip(SKIP_4) | instid1(VALU_DEP_2)
	v_mul_f64_e32 v[30:31], v[30:31], v[70:71]
	global_store_b64 v[34:35], v[30:31], off
	global_load_b64 v[30:31], v[32:33], off
	v_lshlrev_b64_e32 v[34:35], 3, v[0:1]
	v_add_nc_u32_e32 v0, s2, v0
	v_add_co_u32 v34, vcc_lo, s4, v34
	s_wait_alu 0xfffd
	s_delay_alu instid0(VALU_DEP_3)
	v_add_co_ci_u32_e64 v35, null, s5, v35, vcc_lo
	s_wait_loadcnt 0x0
	v_mul_f64_e32 v[30:31], v[30:31], v[74:75]
	global_store_b64 v[32:33], v[30:31], off
	global_load_b64 v[30:31], v[34:35], off
	v_lshlrev_b64_e32 v[32:33], 3, v[0:1]
	v_add_nc_u32_e32 v0, s3, v0
	s_delay_alu instid0(VALU_DEP_2) | instskip(SKIP_1) | instid1(VALU_DEP_3)
	v_add_co_u32 v32, vcc_lo, s4, v32
	s_wait_alu 0xfffd
	v_add_co_ci_u32_e64 v33, null, s5, v33, vcc_lo
	s_wait_loadcnt 0x0
	v_mul_f64_e32 v[30:31], v[30:31], v[60:61]
	s_delay_alu instid0(VALU_DEP_1) | instskip(SKIP_4) | instid1(VALU_DEP_2)
	v_mul_f64_e32 v[30:31], v[30:31], v[70:71]
	global_store_b64 v[34:35], v[30:31], off
	global_load_b64 v[30:31], v[32:33], off
	v_lshlrev_b64_e32 v[34:35], 3, v[0:1]
	v_add_nc_u32_e32 v0, s2, v0
	v_add_co_u32 v34, vcc_lo, s4, v34
	s_wait_alu 0xfffd
	s_delay_alu instid0(VALU_DEP_3) | instskip(NEXT) | instid1(VALU_DEP_3)
	v_add_co_ci_u32_e64 v35, null, s5, v35, vcc_lo
	v_lshlrev_b64_e32 v[60:61], 3, v[0:1]
	v_add_nc_u32_e32 v0, s2, v0
	s_delay_alu instid0(VALU_DEP_2) | instskip(SKIP_1) | instid1(VALU_DEP_3)
	v_add_co_u32 v60, vcc_lo, s4, v60
	s_wait_alu 0xfffd
	v_add_co_ci_u32_e64 v61, null, s5, v61, vcc_lo
	s_wait_loadcnt 0x0
	v_mul_f64_e32 v[30:31], v[30:31], v[28:29]
	global_store_b64 v[32:33], v[30:31], off
	global_load_b64 v[30:31], v[34:35], off
	s_clause 0x3
	global_load_b64 v[62:63], v[26:27], off
	global_load_b64 v[70:71], v[26:27], off
	;; [unrolled: 1-line block ×4, first 2 shown]
	s_wait_loadcnt 0x4
	v_mul_f64_e32 v[30:31], v[30:31], v[76:77]
	s_wait_loadcnt 0x3
	s_delay_alu instid0(VALU_DEP_1) | instskip(SKIP_4) | instid1(VALU_DEP_2)
	v_mul_f64_e32 v[30:31], v[30:31], v[62:63]
	global_store_b64 v[34:35], v[30:31], off
	global_load_b64 v[30:31], v[60:61], off
	v_lshlrev_b64_e32 v[34:35], 3, v[0:1]
	v_add_nc_u32_e32 v0, s2, v0
	v_add_co_u32 v34, vcc_lo, s4, v34
	s_wait_alu 0xfffd
	s_delay_alu instid0(VALU_DEP_3) | instskip(SKIP_2) | instid1(VALU_DEP_1)
	v_add_co_ci_u32_e64 v35, null, s5, v35, vcc_lo
	s_wait_loadcnt 0x0
	v_mul_f64_e32 v[30:31], v[30:31], v[88:89]
	v_mul_f64_e32 v[30:31], v[30:31], v[74:75]
	global_store_b64 v[60:61], v[30:31], off
	global_load_b64 v[30:31], v[34:35], off
	v_lshlrev_b64_e32 v[60:61], 3, v[0:1]
	v_add_nc_u32_e32 v0, s2, v0
	s_delay_alu instid0(VALU_DEP_2) | instskip(SKIP_1) | instid1(VALU_DEP_3)
	v_add_co_u32 v60, vcc_lo, s4, v60
	s_wait_alu 0xfffd
	v_add_co_ci_u32_e64 v61, null, s5, v61, vcc_lo
	s_wait_loadcnt 0x0
	v_mul_f64_e32 v[30:31], v[30:31], v[76:77]
	s_delay_alu instid0(VALU_DEP_1)
	v_mul_f64_e32 v[30:31], v[30:31], v[48:49]
	global_store_b64 v[34:35], v[30:31], off
	global_load_b64 v[30:31], v[60:61], off
	s_wait_loadcnt 0x0
	v_mul_f64_e32 v[28:29], v[30:31], v[28:29]
	v_lshlrev_b64_e32 v[30:31], 3, v[0:1]
	v_add_nc_u32_e32 v0, s2, v0
	s_delay_alu instid0(VALU_DEP_2) | instskip(SKIP_1) | instid1(VALU_DEP_3)
	v_add_co_u32 v30, vcc_lo, s4, v30
	s_wait_alu 0xfffd
	v_add_co_ci_u32_e64 v31, null, s5, v31, vcc_lo
	global_store_b64 v[60:61], v[28:29], off
	global_load_b64 v[28:29], v[30:31], off
	global_load_b64 v[34:35], v[12:13], off
	v_lshlrev_b64_e32 v[60:61], 3, v[0:1]
	s_clause 0x1
	global_load_b64 v[72:73], v[12:13], off
	global_load_b64 v[12:13], v[12:13], off
	v_add_nc_u32_e32 v0, s2, v0
	v_add_co_u32 v74, vcc_lo, s4, v60
	s_wait_alu 0xfffd
	v_add_co_ci_u32_e64 v75, null, s5, v61, vcc_lo
	s_wait_loadcnt 0x3
	v_mul_f64_e32 v[28:29], v[28:29], v[76:77]
	s_wait_loadcnt 0x2
	s_delay_alu instid0(VALU_DEP_1)
	v_mul_f64_e32 v[28:29], v[28:29], v[34:35]
	global_store_b64 v[30:31], v[28:29], off
	global_load_b64 v[30:31], v[74:75], off
	s_clause 0x2
	global_load_b64 v[76:77], v[68:69], off
	global_load_b64 v[60:61], v[68:69], off
	;; [unrolled: 1-line block ×3, first 2 shown]
	v_lshlrev_b64_e32 v[68:69], 3, v[0:1]
	v_add_nc_u32_e32 v0, s2, v0
	s_delay_alu instid0(VALU_DEP_2) | instskip(SKIP_1) | instid1(VALU_DEP_3)
	v_add_co_u32 v68, vcc_lo, s4, v68
	s_wait_alu 0xfffd
	v_add_co_ci_u32_e64 v69, null, s5, v69, vcc_lo
	s_wait_loadcnt 0x2
	v_mul_f64_e32 v[30:31], v[30:31], v[76:77]
	global_store_b64 v[74:75], v[30:31], off
	global_load_b64 v[30:31], v[68:69], off
	v_lshlrev_b64_e32 v[74:75], 3, v[0:1]
	v_add_nc_u32_e32 v0, s2, v0
	s_delay_alu instid0(VALU_DEP_2) | instskip(SKIP_1) | instid1(VALU_DEP_3)
	v_add_co_u32 v74, vcc_lo, s4, v74
	s_wait_alu 0xfffd
	v_add_co_ci_u32_e64 v75, null, s5, v75, vcc_lo
	s_wait_loadcnt 0x0
	v_mul_f64_e32 v[30:31], v[30:31], v[56:57]
	s_delay_alu instid0(VALU_DEP_1)
	v_mul_f64_e32 v[30:31], v[30:31], v[62:63]
	global_store_b64 v[68:69], v[30:31], off
	global_load_b64 v[30:31], v[74:75], off
	s_wait_loadcnt 0x0
	v_mul_f64_e32 v[30:31], v[30:31], v[62:63]
	v_lshlrev_b64_e32 v[62:63], 3, v[0:1]
	v_add_nc_u32_e32 v0, s2, v0
	s_delay_alu instid0(VALU_DEP_2) | instskip(SKIP_1) | instid1(VALU_DEP_3)
	v_add_co_u32 v62, vcc_lo, s4, v62
	s_wait_alu 0xfffd
	v_add_co_ci_u32_e64 v63, null, s5, v63, vcc_lo
	global_store_b64 v[74:75], v[30:31], off
	global_load_b64 v[30:31], v[62:63], off
	s_wait_loadcnt 0x0
	v_mul_f64_e32 v[30:31], v[30:31], v[58:59]
	v_lshlrev_b64_e32 v[58:59], 3, v[0:1]
	v_add_nc_u32_e32 v0, s2, v0
	s_delay_alu instid0(VALU_DEP_2) | instskip(SKIP_1) | instid1(VALU_DEP_3)
	v_add_co_u32 v68, vcc_lo, s4, v58
	s_wait_alu 0xfffd
	v_add_co_ci_u32_e64 v69, null, s5, v59, vcc_lo
	v_mul_f64_e32 v[30:31], v[30:31], v[52:53]
	global_store_b64 v[62:63], v[30:31], off
	global_load_b64 v[30:31], v[68:69], off
	s_clause 0x2
	global_load_b64 v[62:63], v[66:67], off
	global_load_b64 v[74:75], v[66:67], off
	;; [unrolled: 1-line block ×3, first 2 shown]
	v_lshlrev_b64_e32 v[66:67], 3, v[0:1]
	v_add_nc_u32_e32 v0, s2, v0
	s_delay_alu instid0(VALU_DEP_2) | instskip(SKIP_1) | instid1(VALU_DEP_3)
	v_add_co_u32 v66, vcc_lo, s4, v66
	s_wait_alu 0xfffd
	v_add_co_ci_u32_e64 v67, null, s5, v67, vcc_lo
	s_wait_loadcnt 0x3
	v_mul_f64_e32 v[30:31], v[30:31], v[44:45]
	s_wait_loadcnt 0x2
	s_delay_alu instid0(VALU_DEP_1) | instskip(SKIP_4) | instid1(VALU_DEP_1)
	v_mul_f64_e32 v[30:31], v[30:31], v[62:63]
	global_store_b64 v[68:69], v[30:31], off
	global_load_b64 v[30:31], v[66:67], off
	s_wait_loadcnt 0x0
	v_mul_f64_e32 v[30:31], v[30:31], v[56:57]
	v_mul_f64_e32 v[30:31], v[30:31], v[34:35]
	v_lshlrev_b64_e32 v[34:35], 3, v[0:1]
	v_add_nc_u32_e32 v0, s2, v0
	s_delay_alu instid0(VALU_DEP_2) | instskip(SKIP_1) | instid1(VALU_DEP_3)
	v_add_co_u32 v34, vcc_lo, s4, v34
	s_wait_alu 0xfffd
	v_add_co_ci_u32_e64 v35, null, s5, v35, vcc_lo
	s_delay_alu instid0(VALU_DEP_3) | instskip(SKIP_1) | instid1(VALU_DEP_2)
	v_lshlrev_b64_e32 v[80:81], 3, v[0:1]
	v_add_nc_u32_e32 v0, s2, v0
	v_add_co_u32 v80, vcc_lo, s4, v80
	s_wait_alu 0xfffd
	s_delay_alu instid0(VALU_DEP_3)
	v_add_co_ci_u32_e64 v81, null, s5, v81, vcc_lo
	global_store_b64 v[66:67], v[30:31], off
	global_load_b64 v[30:31], v[34:35], off
	s_clause 0x3
	global_load_b64 v[66:67], v[10:11], off
	global_load_b64 v[68:69], v[10:11], off
	;; [unrolled: 1-line block ×4, first 2 shown]
	s_wait_loadcnt 0x4
	v_mul_f64_e32 v[30:31], v[30:31], v[56:57]
	s_wait_loadcnt 0x3
	s_delay_alu instid0(VALU_DEP_1)
	v_mul_f64_e32 v[30:31], v[30:31], v[66:67]
	global_store_b64 v[34:35], v[30:31], off
	global_load_b64 v[30:31], v[80:81], off
	s_wait_loadcnt 0x0
	v_mul_f64_e32 v[22:23], v[30:31], v[22:23]
	v_lshlrev_b64_e32 v[30:31], 3, v[0:1]
	v_add_nc_u32_e32 v0, s2, v0
	s_delay_alu instid0(VALU_DEP_2) | instskip(SKIP_1) | instid1(VALU_DEP_3)
	v_add_co_u32 v30, vcc_lo, s4, v30
	s_wait_alu 0xfffd
	v_add_co_ci_u32_e64 v31, null, s5, v31, vcc_lo
	global_store_b64 v[80:81], v[22:23], off
	global_load_b64 v[34:35], v[30:31], off
	s_clause 0x3
	global_load_b64 v[80:81], v[4:5], off
	global_load_b64 v[82:83], v[4:5], off
	;; [unrolled: 1-line block ×4, first 2 shown]
	s_wait_loadcnt 0x3
	v_mul_f64_e32 v[34:35], v[34:35], v[80:81]
	v_lshlrev_b64_e32 v[80:81], 3, v[0:1]
	v_add_nc_u32_e32 v0, s2, v0
	s_delay_alu instid0(VALU_DEP_2) | instskip(SKIP_1) | instid1(VALU_DEP_3)
	v_add_co_u32 v80, vcc_lo, s4, v80
	s_wait_alu 0xfffd
	v_add_co_ci_u32_e64 v81, null, s5, v81, vcc_lo
	global_store_b64 v[30:31], v[34:35], off
	global_load_b64 v[30:31], v[80:81], off
	v_lshlrev_b64_e32 v[34:35], 3, v[0:1]
	v_add_nc_u32_e32 v0, s2, v0
	s_delay_alu instid0(VALU_DEP_2) | instskip(SKIP_1) | instid1(VALU_DEP_3)
	v_add_co_u32 v34, vcc_lo, s4, v34
	s_wait_alu 0xfffd
	v_add_co_ci_u32_e64 v35, null, s5, v35, vcc_lo
	s_wait_loadcnt 0x0
	v_mul_f64_e32 v[30:31], v[30:31], v[48:49]
	global_store_b64 v[80:81], v[30:31], off
	global_load_b64 v[30:31], v[34:35], off
	s_wait_loadcnt 0x0
	v_mul_f64_e32 v[30:31], v[30:31], v[76:77]
	s_delay_alu instid0(VALU_DEP_1) | instskip(SKIP_2) | instid1(VALU_DEP_2)
	v_mul_f64_e32 v[30:31], v[30:31], v[66:67]
	v_lshlrev_b64_e32 v[66:67], 3, v[0:1]
	v_add_nc_u32_e32 v0, s2, v0
	v_add_co_u32 v66, vcc_lo, s4, v66
	s_wait_alu 0xfffd
	s_delay_alu instid0(VALU_DEP_3) | instskip(SKIP_4) | instid1(VALU_DEP_2)
	v_add_co_ci_u32_e64 v67, null, s5, v67, vcc_lo
	global_store_b64 v[34:35], v[30:31], off
	global_load_b64 v[30:31], v[66:67], off
	v_lshlrev_b64_e32 v[34:35], 3, v[0:1]
	v_add_nc_u32_e32 v0, s2, v0
	v_add_co_u32 v34, vcc_lo, s4, v34
	s_wait_alu 0xfffd
	s_delay_alu instid0(VALU_DEP_3) | instskip(SKIP_2) | instid1(VALU_DEP_1)
	v_add_co_ci_u32_e64 v35, null, s5, v35, vcc_lo
	s_wait_loadcnt 0x0
	v_mul_f64_e32 v[30:31], v[30:31], v[76:77]
	v_mul_f64_e32 v[30:31], v[30:31], v[62:63]
	global_store_b64 v[66:67], v[30:31], off
	global_load_b64 v[30:31], v[34:35], off
	global_load_b64 v[66:67], v[50:51], off
	s_wait_loadcnt 0x1
	v_mul_f64_e32 v[56:57], v[30:31], v[56:57]
	s_clause 0x2
	global_load_b64 v[76:77], v[50:51], off
	global_load_b64 v[30:31], v[50:51], off
	;; [unrolled: 1-line block ×3, first 2 shown]
	s_wait_loadcnt 0x3
	v_mul_f64_e32 v[50:51], v[56:57], v[66:67]
	v_lshlrev_b64_e32 v[56:57], 3, v[0:1]
	v_add_nc_u32_e32 v0, s2, v0
	s_delay_alu instid0(VALU_DEP_2) | instskip(SKIP_1) | instid1(VALU_DEP_3)
	v_add_co_u32 v56, vcc_lo, s4, v56
	s_wait_alu 0xfffd
	v_add_co_ci_u32_e64 v57, null, s5, v57, vcc_lo
	global_store_b64 v[34:35], v[50:51], off
	global_load_b64 v[34:35], v[56:57], off
	v_lshlrev_b64_e32 v[50:51], 3, v[0:1]
	v_add_nc_u32_e32 v0, s2, v0
	s_delay_alu instid0(VALU_DEP_2) | instskip(SKIP_1) | instid1(VALU_DEP_3)
	v_add_co_u32 v50, vcc_lo, s4, v50
	s_wait_alu 0xfffd
	v_add_co_ci_u32_e64 v51, null, s5, v51, vcc_lo
	v_add_co_u32 v46, vcc_lo, s0, v46
	s_wait_alu 0xfffd
	v_add_co_ci_u32_e64 v47, null, s1, v47, vcc_lo
	s_wait_loadcnt 0x0
	v_mul_f64_e32 v[34:35], v[34:35], v[64:65]
	global_store_b64 v[56:57], v[34:35], off
	global_load_b64 v[56:57], v[50:51], off
	s_clause 0x2
	global_load_b64 v[64:65], v[46:47], off
	global_load_b64 v[66:67], v[46:47], off
	;; [unrolled: 1-line block ×3, first 2 shown]
	s_wait_loadcnt 0x2
	v_mul_f64_e32 v[46:47], v[56:57], v[64:65]
	s_delay_alu instid0(VALU_DEP_1) | instskip(SKIP_2) | instid1(VALU_DEP_2)
	v_mul_f64_e32 v[46:47], v[46:47], v[52:53]
	v_lshlrev_b64_e32 v[52:53], 3, v[0:1]
	v_add_nc_u32_e32 v0, s2, v0
	v_add_co_u32 v52, vcc_lo, s4, v52
	s_wait_alu 0xfffd
	s_delay_alu instid0(VALU_DEP_3) | instskip(SKIP_4) | instid1(VALU_DEP_2)
	v_add_co_ci_u32_e64 v53, null, s5, v53, vcc_lo
	global_store_b64 v[50:51], v[46:47], off
	global_load_b64 v[46:47], v[52:53], off
	v_lshlrev_b64_e32 v[50:51], 3, v[0:1]
	v_add_nc_u32_e32 v0, s2, v0
	v_add_co_u32 v50, vcc_lo, s4, v50
	s_wait_alu 0xfffd
	s_delay_alu instid0(VALU_DEP_3) | instskip(SKIP_2) | instid1(VALU_DEP_1)
	v_add_co_ci_u32_e64 v51, null, s5, v51, vcc_lo
	s_wait_loadcnt 0x0
	v_mul_f64_e32 v[46:47], v[46:47], v[44:45]
	v_mul_f64_e32 v[46:47], v[46:47], v[62:63]
	global_store_b64 v[52:53], v[46:47], off
	global_load_b64 v[46:47], v[50:51], off
	v_lshlrev_b64_e32 v[52:53], 3, v[0:1]
	v_add_nc_u32_e32 v0, s2, v0
	s_delay_alu instid0(VALU_DEP_2) | instskip(SKIP_1) | instid1(VALU_DEP_3)
	v_add_co_u32 v52, vcc_lo, s4, v52
	s_wait_alu 0xfffd
	v_add_co_ci_u32_e64 v53, null, s5, v53, vcc_lo
	s_wait_loadcnt 0x0
	v_mul_f64_e32 v[46:47], v[46:47], v[38:39]
	global_store_b64 v[50:51], v[46:47], off
	global_load_b64 v[46:47], v[52:53], off
	v_lshlrev_b64_e32 v[50:51], 3, v[0:1]
	v_add_nc_u32_e32 v0, s2, v0
	s_delay_alu instid0(VALU_DEP_2) | instskip(SKIP_1) | instid1(VALU_DEP_3)
	v_add_co_u32 v50, vcc_lo, s4, v50
	s_wait_alu 0xfffd
	v_add_co_ci_u32_e64 v51, null, s5, v51, vcc_lo
	s_delay_alu instid0(VALU_DEP_3) | instskip(SKIP_1) | instid1(VALU_DEP_2)
	v_lshlrev_b64_e32 v[56:57], 3, v[0:1]
	v_add_nc_u32_e32 v0, s2, v0
	v_add_co_u32 v56, vcc_lo, s4, v56
	s_wait_alu 0xfffd
	s_delay_alu instid0(VALU_DEP_3)
	v_add_co_ci_u32_e64 v57, null, s5, v57, vcc_lo
	s_wait_loadcnt 0x0
	v_mul_f64_e32 v[46:47], v[46:47], v[44:45]
	global_store_b64 v[52:53], v[46:47], off
	global_load_b64 v[46:47], v[50:51], off
	s_clause 0x1
	global_load_b64 v[52:53], v[54:55], off
	global_load_b64 v[54:55], v[54:55], off
	s_wait_loadcnt 0x1
	v_mul_f64_e32 v[46:47], v[46:47], v[52:53]
	s_delay_alu instid0(VALU_DEP_1) | instskip(SKIP_4) | instid1(VALU_DEP_1)
	v_mul_f64_e32 v[46:47], v[46:47], v[70:71]
	global_store_b64 v[50:51], v[46:47], off
	global_load_b64 v[46:47], v[56:57], off
	s_wait_loadcnt 0x0
	v_mul_f64_e32 v[46:47], v[46:47], v[52:53]
	v_mul_f64_e32 v[46:47], v[46:47], v[48:49]
	v_lshlrev_b64_e32 v[48:49], 3, v[0:1]
	v_add_nc_u32_e32 v0, s2, v0
	s_delay_alu instid0(VALU_DEP_2) | instskip(SKIP_1) | instid1(VALU_DEP_3)
	v_add_co_u32 v48, vcc_lo, s4, v48
	s_wait_alu 0xfffd
	v_add_co_ci_u32_e64 v49, null, s5, v49, vcc_lo
	s_delay_alu instid0(VALU_DEP_3) | instskip(SKIP_1) | instid1(VALU_DEP_2)
	v_lshlrev_b64_e32 v[50:51], 3, v[0:1]
	v_add_nc_u32_e32 v0, s2, v0
	v_add_co_u32 v50, vcc_lo, s4, v50
	s_wait_alu 0xfffd
	s_delay_alu instid0(VALU_DEP_3) | instskip(SKIP_4) | instid1(VALU_DEP_1)
	v_add_co_ci_u32_e64 v51, null, s5, v51, vcc_lo
	global_store_b64 v[56:57], v[46:47], off
	global_load_b64 v[46:47], v[48:49], off
	s_wait_loadcnt 0x0
	v_mul_f64_e32 v[46:47], v[46:47], v[52:53]
	v_mul_f64_e32 v[46:47], v[46:47], v[72:73]
	global_store_b64 v[48:49], v[46:47], off
	global_load_b64 v[46:47], v[50:51], off
	v_lshlrev_b64_e32 v[48:49], 3, v[0:1]
	v_add_nc_u32_e32 v0, s2, v0
	s_delay_alu instid0(VALU_DEP_2) | instskip(SKIP_1) | instid1(VALU_DEP_3)
	v_add_co_u32 v48, vcc_lo, s4, v48
	s_wait_alu 0xfffd
	v_add_co_ci_u32_e64 v49, null, s5, v49, vcc_lo
	s_wait_loadcnt 0x0
	v_mul_f64_e32 v[46:47], v[46:47], v[52:53]
	s_delay_alu instid0(VALU_DEP_1) | instskip(SKIP_4) | instid1(VALU_DEP_2)
	v_mul_f64_e32 v[46:47], v[46:47], v[68:69]
	global_store_b64 v[50:51], v[46:47], off
	global_load_b64 v[46:47], v[48:49], off
	v_lshlrev_b64_e32 v[50:51], 3, v[0:1]
	v_add_nc_u32_e32 v0, s3, v0
	v_add_co_u32 v50, vcc_lo, s4, v50
	s_wait_alu 0xfffd
	s_delay_alu instid0(VALU_DEP_3) | instskip(SKIP_2) | instid1(VALU_DEP_1)
	v_add_co_ci_u32_e64 v51, null, s5, v51, vcc_lo
	s_wait_loadcnt 0x0
	v_mul_f64_e32 v[46:47], v[46:47], v[82:83]
	v_mul_f64_e32 v[46:47], v[46:47], v[74:75]
	s_delay_alu instid0(VALU_DEP_1) | instskip(SKIP_4) | instid1(VALU_DEP_2)
	v_mul_f64_e32 v[46:47], v[46:47], v[42:43]
	global_store_b64 v[48:49], v[46:47], off
	global_load_b64 v[46:47], v[50:51], off
	v_lshlrev_b64_e32 v[48:49], 3, v[0:1]
	v_add_nc_u32_e32 v0, s2, v0
	v_add_co_u32 v48, vcc_lo, s4, v48
	s_wait_alu 0xfffd
	s_delay_alu instid0(VALU_DEP_3)
	v_add_co_ci_u32_e64 v49, null, s5, v49, vcc_lo
	s_wait_loadcnt 0x0
	v_mul_f64_e32 v[46:47], v[46:47], v[70:71]
	global_store_b64 v[50:51], v[46:47], off
	global_load_b64 v[46:47], v[48:49], off
	v_lshlrev_b64_e32 v[50:51], 3, v[0:1]
	v_add_nc_u32_e32 v0, s2, v0
	s_delay_alu instid0(VALU_DEP_2) | instskip(SKIP_1) | instid1(VALU_DEP_3)
	v_add_co_u32 v50, vcc_lo, s4, v50
	s_wait_alu 0xfffd
	v_add_co_ci_u32_e64 v51, null, s5, v51, vcc_lo
	s_wait_loadcnt 0x0
	v_mul_f64_e32 v[46:47], v[46:47], v[70:71]
	global_store_b64 v[48:49], v[46:47], off
	global_load_b64 v[46:47], v[50:51], off
	v_lshlrev_b64_e32 v[48:49], 3, v[0:1]
	v_add_nc_u32_e32 v0, s2, v0
	s_delay_alu instid0(VALU_DEP_2) | instskip(SKIP_1) | instid1(VALU_DEP_3)
	v_add_co_u32 v48, vcc_lo, s4, v48
	s_wait_alu 0xfffd
	v_add_co_ci_u32_e64 v49, null, s5, v49, vcc_lo
	s_wait_loadcnt 0x0
	v_mul_f64_e32 v[46:47], v[46:47], v[42:43]
	global_store_b64 v[50:51], v[46:47], off
	global_load_b64 v[46:47], v[48:49], off
	s_wait_loadcnt 0x0
	v_mul_f64_e32 v[44:45], v[46:47], v[44:45]
	v_lshlrev_b64_e32 v[46:47], 3, v[0:1]
	v_add_nc_u32_e32 v0, s2, v0
	s_delay_alu instid0(VALU_DEP_2) | instskip(SKIP_1) | instid1(VALU_DEP_3)
	v_add_co_u32 v46, vcc_lo, s4, v46
	s_wait_alu 0xfffd
	v_add_co_ci_u32_e64 v47, null, s5, v47, vcc_lo
	global_store_b64 v[48:49], v[44:45], off
	global_load_b64 v[44:45], v[46:47], off
	v_lshlrev_b64_e32 v[48:49], 3, v[0:1]
	v_add_nc_u32_e32 v0, s2, v0
	s_delay_alu instid0(VALU_DEP_2) | instskip(SKIP_1) | instid1(VALU_DEP_3)
	v_add_co_u32 v48, vcc_lo, s4, v48
	s_wait_alu 0xfffd
	v_add_co_ci_u32_e64 v49, null, s5, v49, vcc_lo
	s_wait_loadcnt 0x0
	v_mul_f64_e32 v[44:45], v[44:45], v[82:83]
	global_store_b64 v[46:47], v[44:45], off
	global_load_b64 v[44:45], v[48:49], off
	v_lshlrev_b64_e32 v[46:47], 3, v[0:1]
	v_add_nc_u32_e32 v0, s2, v0
	s_delay_alu instid0(VALU_DEP_2) | instskip(SKIP_1) | instid1(VALU_DEP_3)
	v_add_co_u32 v46, vcc_lo, s4, v46
	s_wait_alu 0xfffd
	v_add_co_ci_u32_e64 v47, null, s5, v47, vcc_lo
	s_wait_loadcnt 0x0
	v_mul_f64_e32 v[44:45], v[44:45], v[72:73]
	;; [unrolled: 10-line block ×3, first 2 shown]
	global_store_b64 v[46:47], v[44:45], off
	global_load_b64 v[44:45], v[48:49], off
	s_wait_loadcnt 0x0
	v_mul_f64_e32 v[44:45], v[44:45], v[38:39]
	s_delay_alu instid0(VALU_DEP_1) | instskip(SKIP_2) | instid1(VALU_DEP_2)
	v_mul_f64_e32 v[42:43], v[44:45], v[42:43]
	v_lshlrev_b64_e32 v[44:45], 3, v[0:1]
	v_add_nc_u32_e32 v0, s2, v0
	v_add_co_u32 v44, vcc_lo, s4, v44
	s_wait_alu 0xfffd
	s_delay_alu instid0(VALU_DEP_3) | instskip(NEXT) | instid1(VALU_DEP_3)
	v_add_co_ci_u32_e64 v45, null, s5, v45, vcc_lo
	v_lshlrev_b64_e32 v[46:47], 3, v[0:1]
	v_add_nc_u32_e32 v0, s2, v0
	s_delay_alu instid0(VALU_DEP_2) | instskip(SKIP_1) | instid1(VALU_DEP_3)
	v_add_co_u32 v46, vcc_lo, s4, v46
	s_wait_alu 0xfffd
	v_add_co_ci_u32_e64 v47, null, s5, v47, vcc_lo
	global_store_b64 v[48:49], v[42:43], off
	global_load_b64 v[42:43], v[44:45], off
	s_wait_loadcnt 0x0
	v_mul_f64_e32 v[42:43], v[42:43], v[74:75]
	global_store_b64 v[44:45], v[42:43], off
	global_load_b64 v[42:43], v[46:47], off
	v_lshlrev_b64_e32 v[44:45], 3, v[0:1]
	v_add_nc_u32_e32 v0, s2, v0
	s_delay_alu instid0(VALU_DEP_2) | instskip(SKIP_1) | instid1(VALU_DEP_3)
	v_add_co_u32 v44, vcc_lo, s4, v44
	s_wait_alu 0xfffd
	v_add_co_ci_u32_e64 v45, null, s5, v45, vcc_lo
	s_wait_loadcnt 0x0
	v_mul_f64_e32 v[42:43], v[42:43], v[66:67]
	s_delay_alu instid0(VALU_DEP_1) | instskip(SKIP_4) | instid1(VALU_DEP_2)
	v_mul_f64_e32 v[42:43], v[42:43], v[40:41]
	global_store_b64 v[46:47], v[42:43], off
	global_load_b64 v[42:43], v[44:45], off
	v_lshlrev_b64_e32 v[46:47], 3, v[0:1]
	v_add_nc_u32_e32 v0, s2, v0
	v_add_co_u32 v46, vcc_lo, s4, v46
	s_wait_alu 0xfffd
	s_delay_alu instid0(VALU_DEP_3)
	v_add_co_ci_u32_e64 v47, null, s5, v47, vcc_lo
	s_wait_loadcnt 0x0
	v_mul_f64_e32 v[42:43], v[42:43], v[76:77]
	global_store_b64 v[44:45], v[42:43], off
	global_load_b64 v[42:43], v[46:47], off
	v_lshlrev_b64_e32 v[44:45], 3, v[0:1]
	v_add_nc_u32_e32 v0, s3, v0
	s_delay_alu instid0(VALU_DEP_2) | instskip(SKIP_1) | instid1(VALU_DEP_3)
	v_add_co_u32 v44, vcc_lo, s4, v44
	s_wait_alu 0xfffd
	v_add_co_ci_u32_e64 v45, null, s5, v45, vcc_lo
	s_wait_loadcnt 0x0
	v_mul_f64_e32 v[42:43], v[42:43], v[66:67]
	s_delay_alu instid0(VALU_DEP_1) | instskip(SKIP_4) | instid1(VALU_DEP_2)
	v_mul_f64_e32 v[42:43], v[42:43], v[40:41]
	global_store_b64 v[46:47], v[42:43], off
	global_load_b64 v[42:43], v[44:45], off
	v_lshlrev_b64_e32 v[46:47], 3, v[0:1]
	v_add_nc_u32_e32 v0, s2, v0
	v_add_co_u32 v46, vcc_lo, s4, v46
	s_wait_alu 0xfffd
	s_delay_alu instid0(VALU_DEP_3)
	v_add_co_ci_u32_e64 v47, null, s5, v47, vcc_lo
	s_wait_loadcnt 0x0
	v_mul_f64_e32 v[42:43], v[42:43], v[76:77]
	global_store_b64 v[44:45], v[42:43], off
	global_load_b64 v[42:43], v[46:47], off
	v_lshlrev_b64_e32 v[44:45], 3, v[0:1]
	v_add_nc_u32_e32 v0, s2, v0
	s_delay_alu instid0(VALU_DEP_2) | instskip(SKIP_1) | instid1(VALU_DEP_3)
	v_add_co_u32 v44, vcc_lo, s4, v44
	s_wait_alu 0xfffd
	v_add_co_ci_u32_e64 v45, null, s5, v45, vcc_lo
	s_wait_loadcnt 0x0
	v_mul_f64_e32 v[42:43], v[42:43], v[20:21]
	global_store_b64 v[46:47], v[42:43], off
	global_load_b64 v[42:43], v[44:45], off
	v_lshlrev_b64_e32 v[46:47], 3, v[0:1]
	v_add_nc_u32_e32 v0, s2, v0
	s_delay_alu instid0(VALU_DEP_2) | instskip(SKIP_1) | instid1(VALU_DEP_3)
	v_add_co_u32 v46, vcc_lo, s4, v46
	s_wait_alu 0xfffd
	v_add_co_ci_u32_e64 v47, null, s5, v47, vcc_lo
	s_wait_loadcnt 0x0
	v_mul_f64_e32 v[42:43], v[42:43], v[60:61]
	s_delay_alu instid0(VALU_DEP_1) | instskip(SKIP_4) | instid1(VALU_DEP_2)
	v_mul_f64_e32 v[42:43], v[42:43], v[32:33]
	global_store_b64 v[44:45], v[42:43], off
	global_load_b64 v[42:43], v[46:47], off
	v_lshlrev_b64_e32 v[44:45], 3, v[0:1]
	v_add_nc_u32_e32 v0, s2, v0
	v_add_co_u32 v44, vcc_lo, s4, v44
	s_wait_alu 0xfffd
	s_delay_alu instid0(VALU_DEP_3) | instskip(SKIP_2) | instid1(VALU_DEP_1)
	v_add_co_ci_u32_e64 v45, null, s5, v45, vcc_lo
	s_wait_loadcnt 0x0
	v_mul_f64_e32 v[42:43], v[42:43], v[36:37]
	v_mul_f64_e32 v[42:43], v[42:43], v[84:85]
	global_store_b64 v[46:47], v[42:43], off
	global_load_b64 v[42:43], v[44:45], off
	s_wait_loadcnt 0x0
	v_mul_f64_e32 v[38:39], v[42:43], v[38:39]
	s_delay_alu instid0(VALU_DEP_1) | instskip(SKIP_2) | instid1(VALU_DEP_2)
	v_mul_f64_e32 v[38:39], v[38:39], v[40:41]
	v_lshlrev_b64_e32 v[40:41], 3, v[0:1]
	v_add_nc_u32_e32 v0, s2, v0
	v_add_co_u32 v40, vcc_lo, s4, v40
	s_wait_alu 0xfffd
	s_delay_alu instid0(VALU_DEP_3) | instskip(NEXT) | instid1(VALU_DEP_3)
	v_add_co_ci_u32_e64 v41, null, s5, v41, vcc_lo
	v_lshlrev_b64_e32 v[42:43], 3, v[0:1]
	v_add_nc_u32_e32 v0, s2, v0
	s_delay_alu instid0(VALU_DEP_2) | instskip(SKIP_1) | instid1(VALU_DEP_3)
	v_add_co_u32 v42, vcc_lo, s4, v42
	s_wait_alu 0xfffd
	v_add_co_ci_u32_e64 v43, null, s5, v43, vcc_lo
	global_store_b64 v[44:45], v[38:39], off
	global_load_b64 v[38:39], v[40:41], off
	s_wait_loadcnt 0x0
	v_mul_f64_e32 v[38:39], v[38:39], v[60:61]
	s_delay_alu instid0(VALU_DEP_1) | instskip(SKIP_4) | instid1(VALU_DEP_2)
	v_mul_f64_e32 v[38:39], v[38:39], v[78:79]
	global_store_b64 v[40:41], v[38:39], off
	global_load_b64 v[38:39], v[42:43], off
	v_lshlrev_b64_e32 v[40:41], 3, v[0:1]
	v_add_nc_u32_e32 v0, s2, v0
	v_add_co_u32 v40, vcc_lo, s4, v40
	s_wait_alu 0xfffd
	s_delay_alu instid0(VALU_DEP_3) | instskip(SKIP_2) | instid1(VALU_DEP_1)
	v_add_co_ci_u32_e64 v41, null, s5, v41, vcc_lo
	s_wait_loadcnt 0x0
	v_mul_f64_e32 v[38:39], v[38:39], v[20:21]
	v_mul_f64_e32 v[38:39], v[38:39], v[8:9]
	global_store_b64 v[42:43], v[38:39], off
	global_load_b64 v[38:39], v[40:41], off
	s_wait_loadcnt 0x0
	v_mul_f64_e32 v[38:39], v[38:39], v[60:61]
	s_delay_alu instid0(VALU_DEP_1) | instskip(SKIP_2) | instid1(VALU_DEP_2)
	v_mul_f64_e32 v[16:17], v[38:39], v[16:17]
	v_lshlrev_b64_e32 v[38:39], 3, v[0:1]
	v_add_nc_u32_e32 v0, s2, v0
	v_add_co_u32 v38, vcc_lo, s4, v38
	s_wait_alu 0xfffd
	s_delay_alu instid0(VALU_DEP_3) | instskip(NEXT) | instid1(VALU_DEP_3)
	v_add_co_ci_u32_e64 v39, null, s5, v39, vcc_lo
	v_lshlrev_b64_e32 v[42:43], 3, v[0:1]
	v_add_nc_u32_e32 v0, s2, v0
	s_delay_alu instid0(VALU_DEP_2) | instskip(SKIP_1) | instid1(VALU_DEP_3)
	v_add_co_u32 v42, vcc_lo, s4, v42
	s_wait_alu 0xfffd
	v_add_co_ci_u32_e64 v43, null, s5, v43, vcc_lo
	global_store_b64 v[40:41], v[16:17], off
	global_load_b64 v[16:17], v[38:39], off
	s_clause 0x1
	global_load_b64 v[40:41], v[2:3], off
	global_load_b64 v[2:3], v[2:3], off
	s_wait_loadcnt 0x2
	v_mul_f64_e32 v[16:17], v[16:17], v[36:37]
	s_delay_alu instid0(VALU_DEP_1) | instskip(SKIP_1) | instid1(VALU_DEP_1)
	v_mul_f64_e32 v[16:17], v[16:17], v[84:85]
	s_wait_loadcnt 0x1
	v_mul_f64_e32 v[16:17], v[16:17], v[40:41]
	global_store_b64 v[38:39], v[16:17], off
	global_load_b64 v[16:17], v[42:43], off
	v_lshlrev_b64_e32 v[38:39], 3, v[0:1]
	v_add_nc_u32_e32 v0, s2, v0
	s_delay_alu instid0(VALU_DEP_2) | instskip(SKIP_1) | instid1(VALU_DEP_3)
	v_add_co_u32 v38, vcc_lo, s4, v38
	s_wait_alu 0xfffd
	v_add_co_ci_u32_e64 v39, null, s5, v39, vcc_lo
	s_wait_loadcnt 0x0
	v_mul_f64_e32 v[16:17], v[16:17], v[20:21]
	s_delay_alu instid0(VALU_DEP_1)
	v_mul_f64_e32 v[16:17], v[16:17], v[78:79]
	global_store_b64 v[42:43], v[16:17], off
	global_load_b64 v[16:17], v[38:39], off
	s_wait_loadcnt 0x0
	v_mul_f64_e32 v[16:17], v[16:17], v[20:21]
	v_lshlrev_b64_e32 v[20:21], 3, v[0:1]
	v_add_nc_u32_e32 v0, s2, v0
	s_delay_alu instid0(VALU_DEP_2) | instskip(SKIP_1) | instid1(VALU_DEP_3)
	v_add_co_u32 v20, vcc_lo, s4, v20
	s_wait_alu 0xfffd
	v_add_co_ci_u32_e64 v21, null, s5, v21, vcc_lo
	v_mul_f64_e32 v[16:17], v[16:17], v[58:59]
	global_store_b64 v[38:39], v[16:17], off
	global_load_b64 v[16:17], v[20:21], off
	s_wait_loadcnt 0x0
	v_mul_f64_e32 v[16:17], v[16:17], v[32:33]
	v_lshlrev_b64_e32 v[32:33], 3, v[0:1]
	v_add_nc_u32_e32 v0, s2, v0
	s_delay_alu instid0(VALU_DEP_2) | instskip(SKIP_1) | instid1(VALU_DEP_3)
	v_add_co_u32 v32, vcc_lo, s4, v32
	s_wait_alu 0xfffd
	v_add_co_ci_u32_e64 v33, null, s5, v33, vcc_lo
	global_store_b64 v[20:21], v[16:17], off
	global_load_b64 v[16:17], v[32:33], off
	v_lshlrev_b64_e32 v[20:21], 3, v[0:1]
	v_add_nc_u32_e32 v0, s2, v0
	s_delay_alu instid0(VALU_DEP_2) | instskip(SKIP_1) | instid1(VALU_DEP_3)
	v_add_co_u32 v20, vcc_lo, s4, v20
	s_wait_alu 0xfffd
	v_add_co_ci_u32_e64 v21, null, s5, v21, vcc_lo
	s_wait_loadcnt 0x0
	v_mul_f64_e32 v[16:17], v[16:17], v[40:41]
	global_store_b64 v[32:33], v[16:17], off
	global_load_b64 v[16:17], v[20:21], off
	v_lshlrev_b64_e32 v[32:33], 3, v[0:1]
	v_add_nc_u32_e32 v0, s2, v0
	s_delay_alu instid0(VALU_DEP_2) | instskip(SKIP_1) | instid1(VALU_DEP_3)
	v_add_co_u32 v32, vcc_lo, s4, v32
	s_wait_alu 0xfffd
	v_add_co_ci_u32_e64 v33, null, s5, v33, vcc_lo
	s_wait_loadcnt 0x0
	v_mul_f64_e32 v[16:17], v[16:17], v[12:13]
	;; [unrolled: 10-line block ×6, first 2 shown]
	global_store_b64 v[20:21], v[16:17], off
	global_load_b64 v[16:17], v[32:33], off
	s_wait_loadcnt 0x0
	v_mul_f64_e32 v[16:17], v[16:17], v[18:19]
	s_delay_alu instid0(VALU_DEP_1) | instskip(SKIP_2) | instid1(VALU_DEP_2)
	v_mul_f64_e32 v[8:9], v[16:17], v[8:9]
	v_lshlrev_b64_e32 v[16:17], 3, v[0:1]
	v_add_nc_u32_e32 v0, s2, v0
	v_add_co_u32 v16, vcc_lo, s4, v16
	s_wait_alu 0xfffd
	s_delay_alu instid0(VALU_DEP_3) | instskip(NEXT) | instid1(VALU_DEP_3)
	v_add_co_ci_u32_e64 v17, null, s5, v17, vcc_lo
	v_lshlrev_b64_e32 v[20:21], 3, v[0:1]
	v_add_nc_u32_e32 v0, s3, v0
	s_delay_alu instid0(VALU_DEP_2) | instskip(SKIP_1) | instid1(VALU_DEP_3)
	v_add_co_u32 v20, vcc_lo, s4, v20
	s_wait_alu 0xfffd
	v_add_co_ci_u32_e64 v21, null, s5, v21, vcc_lo
	global_store_b64 v[32:33], v[8:9], off
	global_load_b64 v[8:9], v[16:17], off
	s_wait_loadcnt 0x0
	v_mul_f64_e32 v[8:9], v[8:9], v[40:41]
	s_delay_alu instid0(VALU_DEP_1) | instskip(SKIP_4) | instid1(VALU_DEP_2)
	v_mul_f64_e32 v[8:9], v[8:9], v[22:23]
	global_store_b64 v[16:17], v[8:9], off
	global_load_b64 v[8:9], v[20:21], off
	v_lshlrev_b64_e32 v[16:17], 3, v[0:1]
	v_add_nc_u32_e32 v0, s2, v0
	v_add_co_u32 v16, vcc_lo, s4, v16
	s_wait_alu 0xfffd
	s_delay_alu instid0(VALU_DEP_3) | instskip(SKIP_2) | instid1(VALU_DEP_1)
	v_add_co_ci_u32_e64 v17, null, s5, v17, vcc_lo
	s_wait_loadcnt 0x0
	v_mul_f64_e32 v[8:9], v[8:9], v[18:19]
	v_mul_f64_e32 v[8:9], v[8:9], v[58:59]
	global_store_b64 v[20:21], v[8:9], off
	global_load_b64 v[8:9], v[16:17], off
	s_clause 0x1
	global_load_b64 v[20:21], v[6:7], off
	global_load_b64 v[6:7], v[6:7], off
	s_wait_loadcnt 0x2
	v_mul_f64_e32 v[8:9], v[8:9], v[28:29]
	v_lshlrev_b64_e32 v[28:29], 3, v[0:1]
	v_add_nc_u32_e32 v0, s2, v0
	s_delay_alu instid0(VALU_DEP_2) | instskip(SKIP_1) | instid1(VALU_DEP_3)
	v_add_co_u32 v28, vcc_lo, s4, v28
	s_wait_alu 0xfffd
	v_add_co_ci_u32_e64 v29, null, s5, v29, vcc_lo
	s_wait_loadcnt 0x1
	v_mul_f64_e32 v[8:9], v[8:9], v[20:21]
	global_store_b64 v[16:17], v[8:9], off
	global_load_b64 v[8:9], v[28:29], off
	v_lshlrev_b64_e32 v[16:17], 3, v[0:1]
	v_add_nc_u32_e32 v0, s3, v0
	s_delay_alu instid0(VALU_DEP_2) | instskip(SKIP_1) | instid1(VALU_DEP_3)
	v_add_co_u32 v16, vcc_lo, s4, v16
	s_wait_alu 0xfffd
	v_add_co_ci_u32_e64 v17, null, s5, v17, vcc_lo
	s_wait_loadcnt 0x0
	v_mul_f64_e32 v[8:9], v[8:9], v[34:35]
	s_delay_alu instid0(VALU_DEP_1)
	v_mul_f64_e32 v[8:9], v[8:9], v[26:27]
	global_store_b64 v[28:29], v[8:9], off
	global_load_b64 v[8:9], v[16:17], off
	global_load_b64 v[14:15], v[14:15], off
	s_wait_loadcnt 0x1
	v_mul_f64_e32 v[8:9], v[8:9], v[54:55]
	s_delay_alu instid0(VALU_DEP_1) | instskip(SKIP_1) | instid1(VALU_DEP_1)
	v_mul_f64_e32 v[8:9], v[8:9], v[20:21]
	s_wait_loadcnt 0x0
	v_mul_f64_e32 v[8:9], v[8:9], v[14:15]
	v_lshlrev_b64_e32 v[14:15], 3, v[0:1]
	v_add_nc_u32_e32 v0, s2, v0
	s_delay_alu instid0(VALU_DEP_2) | instskip(SKIP_1) | instid1(VALU_DEP_3)
	v_add_co_u32 v14, vcc_lo, s4, v14
	s_wait_alu 0xfffd
	v_add_co_ci_u32_e64 v15, null, s5, v15, vcc_lo
	global_store_b64 v[16:17], v[8:9], off
	global_load_b64 v[8:9], v[14:15], off
	v_lshlrev_b64_e32 v[16:17], 3, v[0:1]
	v_add_nc_u32_e32 v0, s2, v0
	s_delay_alu instid0(VALU_DEP_2) | instskip(SKIP_1) | instid1(VALU_DEP_3)
	v_add_co_u32 v16, vcc_lo, s4, v16
	s_wait_alu 0xfffd
	v_add_co_ci_u32_e64 v17, null, s5, v17, vcc_lo
	s_wait_loadcnt 0x0
	v_mul_f64_e32 v[8:9], v[8:9], v[34:35]
	s_delay_alu instid0(VALU_DEP_1) | instskip(SKIP_4) | instid1(VALU_DEP_2)
	v_mul_f64_e32 v[8:9], v[8:9], v[2:3]
	global_store_b64 v[14:15], v[8:9], off
	global_load_b64 v[8:9], v[16:17], off
	v_lshlrev_b64_e32 v[14:15], 3, v[0:1]
	v_add_nc_u32_e32 v0, s2, v0
	v_add_co_u32 v14, vcc_lo, s4, v14
	s_wait_alu 0xfffd
	s_delay_alu instid0(VALU_DEP_3) | instskip(SKIP_2) | instid1(VALU_DEP_1)
	v_add_co_ci_u32_e64 v15, null, s5, v15, vcc_lo
	s_wait_loadcnt 0x0
	v_mul_f64_e32 v[8:9], v[8:9], v[34:35]
	v_mul_f64_e32 v[8:9], v[8:9], v[12:13]
	global_store_b64 v[16:17], v[8:9], off
	global_load_b64 v[8:9], v[14:15], off
	v_lshlrev_b64_e32 v[16:17], 3, v[0:1]
	v_add_nc_u32_e32 v0, s2, v0
	s_delay_alu instid0(VALU_DEP_2) | instskip(SKIP_1) | instid1(VALU_DEP_3)
	v_add_co_u32 v16, vcc_lo, s4, v16
	s_wait_alu 0xfffd
	v_add_co_ci_u32_e64 v17, null, s5, v17, vcc_lo
	s_wait_loadcnt 0x0
	v_mul_f64_e32 v[8:9], v[8:9], v[34:35]
	s_delay_alu instid0(VALU_DEP_1) | instskip(SKIP_4) | instid1(VALU_DEP_2)
	v_mul_f64_e32 v[8:9], v[8:9], v[24:25]
	global_store_b64 v[14:15], v[8:9], off
	global_load_b64 v[8:9], v[16:17], off
	v_lshlrev_b64_e32 v[14:15], 3, v[0:1]
	v_add_nc_u32_e32 v0, s2, v0
	v_add_co_u32 v14, vcc_lo, s4, v14
	s_wait_alu 0xfffd
	s_delay_alu instid0(VALU_DEP_3) | instskip(SKIP_2) | instid1(VALU_DEP_1)
	v_add_co_ci_u32_e64 v15, null, s5, v15, vcc_lo
	s_wait_loadcnt 0x0
	v_mul_f64_e32 v[8:9], v[8:9], v[34:35]
	v_mul_f64_e32 v[8:9], v[8:9], v[30:31]
	global_store_b64 v[16:17], v[8:9], off
	global_load_b64 v[8:9], v[14:15], off
	v_lshlrev_b64_e32 v[16:17], 3, v[0:1]
	v_add_nc_u32_e32 v0, s2, v0
	s_delay_alu instid0(VALU_DEP_2) | instskip(SKIP_1) | instid1(VALU_DEP_3)
	v_add_co_u32 v16, vcc_lo, s4, v16
	s_wait_alu 0xfffd
	v_add_co_ci_u32_e64 v17, null, s5, v17, vcc_lo
	s_wait_loadcnt 0x0
	v_mul_f64_e32 v[8:9], v[8:9], v[20:21]
	global_store_b64 v[14:15], v[8:9], off
	global_load_b64 v[8:9], v[16:17], off
	v_lshlrev_b64_e32 v[14:15], 3, v[0:1]
	v_add_nc_u32_e32 v0, s2, v0
	s_delay_alu instid0(VALU_DEP_2) | instskip(SKIP_1) | instid1(VALU_DEP_3)
	v_add_co_u32 v14, vcc_lo, s4, v14
	s_wait_alu 0xfffd
	v_add_co_ci_u32_e64 v15, null, s5, v15, vcc_lo
	s_wait_loadcnt 0x0
	v_mul_f64_e32 v[8:9], v[8:9], v[18:19]
	s_delay_alu instid0(VALU_DEP_1) | instskip(SKIP_4) | instid1(VALU_DEP_2)
	v_mul_f64_e32 v[8:9], v[8:9], v[26:27]
	global_store_b64 v[16:17], v[8:9], off
	global_load_b64 v[8:9], v[14:15], off
	v_lshlrev_b64_e32 v[16:17], 3, v[0:1]
	v_add_nc_u32_e32 v0, s2, v0
	v_add_co_u32 v16, vcc_lo, s4, v16
	s_wait_alu 0xfffd
	s_delay_alu instid0(VALU_DEP_3)
	v_add_co_ci_u32_e64 v17, null, s5, v17, vcc_lo
	s_wait_loadcnt 0x0
	v_mul_f64_e32 v[8:9], v[8:9], v[22:23]
	global_store_b64 v[14:15], v[8:9], off
	global_load_b64 v[8:9], v[16:17], off
	s_wait_loadcnt 0x0
	v_mul_f64_e32 v[8:9], v[8:9], v[18:19]
	s_delay_alu instid0(VALU_DEP_1) | instskip(SKIP_2) | instid1(VALU_DEP_2)
	v_mul_f64_e32 v[8:9], v[8:9], v[12:13]
	v_lshlrev_b64_e32 v[12:13], 3, v[0:1]
	v_add_nc_u32_e32 v0, s2, v0
	v_add_co_u32 v12, vcc_lo, s4, v12
	s_wait_alu 0xfffd
	s_delay_alu instid0(VALU_DEP_3) | instskip(SKIP_4) | instid1(VALU_DEP_1)
	v_add_co_ci_u32_e64 v13, null, s5, v13, vcc_lo
	global_store_b64 v[16:17], v[8:9], off
	global_load_b64 v[8:9], v[12:13], off
	s_wait_loadcnt 0x0
	v_mul_f64_e32 v[8:9], v[8:9], v[18:19]
	v_mul_f64_e32 v[8:9], v[8:9], v[10:11]
	v_lshlrev_b64_e32 v[10:11], 3, v[0:1]
	v_add_nc_u32_e32 v0, s2, v0
	s_delay_alu instid0(VALU_DEP_2) | instskip(SKIP_1) | instid1(VALU_DEP_3)
	v_add_co_u32 v10, vcc_lo, s4, v10
	s_wait_alu 0xfffd
	v_add_co_ci_u32_e64 v11, null, s5, v11, vcc_lo
	global_store_b64 v[12:13], v[8:9], off
	global_load_b64 v[8:9], v[10:11], off
	global_load_b64 v[4:5], v[4:5], off
	s_wait_loadcnt 0x1
	v_mul_f64_e32 v[2:3], v[8:9], v[2:3]
	s_wait_loadcnt 0x0
	s_delay_alu instid0(VALU_DEP_1) | instskip(SKIP_2) | instid1(VALU_DEP_2)
	v_mul_f64_e32 v[2:3], v[2:3], v[4:5]
	v_lshlrev_b64_e32 v[4:5], 3, v[0:1]
	v_add_nc_u32_e32 v0, s2, v0
	v_add_co_u32 v4, vcc_lo, s4, v4
	s_wait_alu 0xfffd
	s_delay_alu instid0(VALU_DEP_3) | instskip(NEXT) | instid1(VALU_DEP_3)
	v_add_co_ci_u32_e64 v5, null, s5, v5, vcc_lo
	v_lshlrev_b64_e32 v[0:1], 3, v[0:1]
	s_delay_alu instid0(VALU_DEP_1) | instskip(SKIP_1) | instid1(VALU_DEP_2)
	v_add_co_u32 v0, vcc_lo, s4, v0
	s_wait_alu 0xfffd
	v_add_co_ci_u32_e64 v1, null, s5, v1, vcc_lo
	global_store_b64 v[10:11], v[2:3], off
	global_load_b64 v[2:3], v[4:5], off
	s_wait_loadcnt 0x0
	v_mul_f64_e32 v[2:3], v[2:3], v[30:31]
	s_delay_alu instid0(VALU_DEP_1) | instskip(SKIP_4) | instid1(VALU_DEP_1)
	v_mul_f64_e32 v[2:3], v[2:3], v[18:19]
	global_store_b64 v[4:5], v[2:3], off
	global_load_b64 v[2:3], v[0:1], off
	s_wait_loadcnt 0x0
	v_mul_f64_e32 v[2:3], v[2:3], v[34:35]
	v_mul_f64_e32 v[2:3], v[2:3], v[6:7]
	global_store_b64 v[0:1], v[2:3], off
	s_nop 0
	s_sendmsg sendmsg(MSG_DEALLOC_VGPRS)
	s_endpgm
	.section	.rodata,"a",@progbits
	.p2align	6, 0x0
	.amdhsa_kernel _Z12ratx4_kernelIdEvPKT_PS0_S3_
		.amdhsa_group_segment_fixed_size 0
		.amdhsa_private_segment_fixed_size 0
		.amdhsa_kernarg_size 280
		.amdhsa_user_sgpr_count 2
		.amdhsa_user_sgpr_dispatch_ptr 0
		.amdhsa_user_sgpr_queue_ptr 0
		.amdhsa_user_sgpr_kernarg_segment_ptr 1
		.amdhsa_user_sgpr_dispatch_id 0
		.amdhsa_user_sgpr_private_segment_size 0
		.amdhsa_wavefront_size32 1
		.amdhsa_uses_dynamic_stack 0
		.amdhsa_enable_private_segment 0
		.amdhsa_system_sgpr_workgroup_id_x 1
		.amdhsa_system_sgpr_workgroup_id_y 0
		.amdhsa_system_sgpr_workgroup_id_z 0
		.amdhsa_system_sgpr_workgroup_info 0
		.amdhsa_system_vgpr_workitem_id 0
		.amdhsa_next_free_vgpr 125
		.amdhsa_next_free_sgpr 7
		.amdhsa_reserve_vcc 1
		.amdhsa_float_round_mode_32 0
		.amdhsa_float_round_mode_16_64 0
		.amdhsa_float_denorm_mode_32 3
		.amdhsa_float_denorm_mode_16_64 3
		.amdhsa_fp16_overflow 0
		.amdhsa_workgroup_processor_mode 1
		.amdhsa_memory_ordered 1
		.amdhsa_forward_progress 1
		.amdhsa_inst_pref_size 120
		.amdhsa_round_robin_scheduling 0
		.amdhsa_exception_fp_ieee_invalid_op 0
		.amdhsa_exception_fp_denorm_src 0
		.amdhsa_exception_fp_ieee_div_zero 0
		.amdhsa_exception_fp_ieee_overflow 0
		.amdhsa_exception_fp_ieee_underflow 0
		.amdhsa_exception_fp_ieee_inexact 0
		.amdhsa_exception_int_div_zero 0
	.end_amdhsa_kernel
	.section	.text._Z12ratx4_kernelIdEvPKT_PS0_S3_,"axG",@progbits,_Z12ratx4_kernelIdEvPKT_PS0_S3_,comdat
.Lfunc_end42:
	.size	_Z12ratx4_kernelIdEvPKT_PS0_S3_, .Lfunc_end42-_Z12ratx4_kernelIdEvPKT_PS0_S3_
                                        ; -- End function
	.set _Z12ratx4_kernelIdEvPKT_PS0_S3_.num_vgpr, 125
	.set _Z12ratx4_kernelIdEvPKT_PS0_S3_.num_agpr, 0
	.set _Z12ratx4_kernelIdEvPKT_PS0_S3_.numbered_sgpr, 7
	.set _Z12ratx4_kernelIdEvPKT_PS0_S3_.num_named_barrier, 0
	.set _Z12ratx4_kernelIdEvPKT_PS0_S3_.private_seg_size, 0
	.set _Z12ratx4_kernelIdEvPKT_PS0_S3_.uses_vcc, 1
	.set _Z12ratx4_kernelIdEvPKT_PS0_S3_.uses_flat_scratch, 0
	.set _Z12ratx4_kernelIdEvPKT_PS0_S3_.has_dyn_sized_stack, 0
	.set _Z12ratx4_kernelIdEvPKT_PS0_S3_.has_recursion, 0
	.set _Z12ratx4_kernelIdEvPKT_PS0_S3_.has_indirect_call, 0
	.section	.AMDGPU.csdata,"",@progbits
; Kernel info:
; codeLenInByte = 15252
; TotalNumSgprs: 9
; NumVgprs: 125
; ScratchSize: 0
; MemoryBound: 1
; FloatMode: 240
; IeeeMode: 1
; LDSByteSize: 0 bytes/workgroup (compile time only)
; SGPRBlocks: 0
; VGPRBlocks: 15
; NumSGPRsForWavesPerEU: 9
; NumVGPRsForWavesPerEU: 125
; Occupancy: 10
; WaveLimiterHint : 1
; COMPUTE_PGM_RSRC2:SCRATCH_EN: 0
; COMPUTE_PGM_RSRC2:USER_SGPR: 2
; COMPUTE_PGM_RSRC2:TRAP_HANDLER: 0
; COMPUTE_PGM_RSRC2:TGID_X_EN: 1
; COMPUTE_PGM_RSRC2:TGID_Y_EN: 0
; COMPUTE_PGM_RSRC2:TGID_Z_EN: 0
; COMPUTE_PGM_RSRC2:TIDIG_COMP_CNT: 0
	.section	.text._Z11qssa_kernelIdEvPT_S1_S1_,"axG",@progbits,_Z11qssa_kernelIdEvPT_S1_S1_,comdat
	.protected	_Z11qssa_kernelIdEvPT_S1_S1_ ; -- Begin function _Z11qssa_kernelIdEvPT_S1_S1_
	.globl	_Z11qssa_kernelIdEvPT_S1_S1_
	.p2align	8
	.type	_Z11qssa_kernelIdEvPT_S1_S1_,@function
_Z11qssa_kernelIdEvPT_S1_S1_:           ; @_Z11qssa_kernelIdEvPT_S1_S1_
; %bb.0:
	s_clause 0x2
	s_load_b128 s[4:7], s[0:1], 0x0
	s_load_b96 s[8:10], s[0:1], 0x10
	s_load_b32 s0, s[0:1], 0x24
	s_wait_kmcnt 0x0
	s_and_b32 s0, s0, 0xffff
	s_delay_alu instid0(SALU_CYCLE_1)
	s_mul_i32 s1, s10, s0
	s_mul_i32 s0, ttmp9, s0
	s_mul_i32 s2, s1, 56
	s_mul_i32 s11, s1, 15
	v_add3_u32 v0, s2, s0, v0
	s_mov_b32 s2, 0
	s_mul_i32 s10, s1, 37
	s_wait_alu 0xfffe
	s_mov_b32 s3, s2
	v_mov_b32_e32 v1, 0
	s_wait_alu 0xfffe
	v_dual_mov_b32 v7, s3 :: v_dual_mov_b32 v6, s2
	s_mul_i32 s18, s1, 10
	s_mul_i32 s14, s1, 6
	v_lshlrev_b64_e32 v[2:3], 3, v[0:1]
	v_add_nc_u32_e32 v0, s1, v0
	s_mul_i32 s3, s1, 0xffffffc7
	s_lshl_b32 s2, s1, 1
	s_mul_i32 s12, s1, 3
	s_mul_i32 s13, s1, 30
	v_add_co_u32 v4, vcc_lo, s4, v2
	v_lshlrev_b64_e32 v[16:17], 3, v[0:1]
	v_add_co_ci_u32_e64 v5, null, s5, v3, vcc_lo
	s_lshl_b32 s0, s1, 3
	s_mul_i32 s15, s1, 11
	s_mul_i32 s16, s1, 17
	global_store_b64 v[4:5], v[6:7], off
	v_add_co_u32 v4, vcc_lo, s4, v16
	s_wait_alu 0xfffd
	v_add_co_ci_u32_e64 v5, null, s5, v17, vcc_lo
	s_mul_i32 s17, s1, 31
	global_store_b64 v[4:5], v[6:7], off
	v_mad_co_u64_u32 v[4:5], null, 0x55, s1, v[0:1]
	v_mov_b32_e32 v5, v1
	s_delay_alu instid0(VALU_DEP_1) | instskip(SKIP_2) | instid1(VALU_DEP_3)
	v_lshlrev_b64_e32 v[34:35], 3, v[4:5]
	v_mad_co_u64_u32 v[4:5], null, s1, 36, v[4:5]
	v_mov_b32_e32 v5, v1
	v_add_co_u32 v8, vcc_lo, s4, v34
	s_wait_alu 0xfffd
	s_delay_alu instid0(VALU_DEP_4) | instskip(NEXT) | instid1(VALU_DEP_4)
	v_add_co_ci_u32_e64 v9, null, s5, v35, vcc_lo
	v_add_nc_u32_e32 v0, s11, v4
	v_lshlrev_b64_e32 v[32:33], 3, v[4:5]
	global_store_b64 v[8:9], v[6:7], off
	v_lshlrev_b64_e32 v[104:105], 3, v[0:1]
	v_add_co_u32 v8, vcc_lo, s4, v32
	s_wait_alu 0xfffd
	v_add_co_ci_u32_e64 v9, null, s5, v33, vcc_lo
	s_delay_alu instid0(VALU_DEP_3)
	v_add_co_u32 v4, vcc_lo, s6, v104
	s_wait_alu 0xfffd
	v_add_co_ci_u32_e64 v5, null, s7, v105, vcc_lo
	global_store_b64 v[8:9], v[6:7], off
	global_store_b64 v[4:5], v[6:7], off
	v_mad_co_u64_u32 v[4:5], null, s1, 12, v[0:1]
	v_mov_b32_e32 v5, v1
	s_delay_alu instid0(VALU_DEP_1) | instskip(NEXT) | instid1(VALU_DEP_1)
	v_lshlrev_b64_e32 v[46:47], 3, v[4:5]
	v_add_co_u32 v8, vcc_lo, s4, v46
	s_wait_alu 0xfffd
	s_delay_alu instid0(VALU_DEP_2) | instskip(SKIP_2) | instid1(VALU_DEP_1)
	v_add_co_ci_u32_e64 v9, null, s5, v47, vcc_lo
	global_store_b64 v[8:9], v[6:7], off
	v_mad_co_u64_u32 v[6:7], null, 0xffffff54, s1, v[4:5]
	v_add_nc_u32_e32 v0, s1, v6
	s_delay_alu instid0(VALU_DEP_1) | instskip(SKIP_1) | instid1(VALU_DEP_1)
	v_lshlrev_b64_e32 v[10:11], 3, v[0:1]
	v_dual_mov_b32 v7, v1 :: v_dual_add_nc_u32 v0, s1, v0
	v_lshlrev_b64_e32 v[4:5], 3, v[6:7]
	s_delay_alu instid0(VALU_DEP_1) | instskip(SKIP_1) | instid1(VALU_DEP_2)
	v_add_co_u32 v7, vcc_lo, s4, v4
	s_wait_alu 0xfffd
	v_add_co_ci_u32_e64 v8, null, s5, v5, vcc_lo
	v_add_co_u32 v18, vcc_lo, s4, v10
	s_wait_alu 0xfffd
	v_add_co_ci_u32_e64 v19, null, s5, v11, vcc_lo
	s_clause 0x1
	global_load_b64 v[7:8], v[7:8], off
	global_load_b64 v[12:13], v[18:19], off
	s_wait_loadcnt 0x0
	v_add_f64_e32 v[8:9], v[7:8], v[12:13]
	v_lshlrev_b64_e32 v[12:13], 3, v[0:1]
	v_add_nc_u32_e32 v0, s1, v0
	s_delay_alu instid0(VALU_DEP_2) | instskip(SKIP_1) | instid1(VALU_DEP_3)
	v_add_co_u32 v6, vcc_lo, s4, v12
	s_wait_alu 0xfffd
	v_add_co_ci_u32_e64 v7, null, s5, v13, vcc_lo
	s_delay_alu instid0(VALU_DEP_3)
	v_lshlrev_b64_e32 v[26:27], 3, v[0:1]
	v_add_nc_u32_e32 v0, s1, v0
	global_load_b64 v[6:7], v[6:7], off
	v_add_co_u32 v14, vcc_lo, s4, v26
	s_wait_alu 0xfffd
	v_add_co_ci_u32_e64 v15, null, s5, v27, vcc_lo
	v_lshlrev_b64_e32 v[30:31], 3, v[0:1]
	v_add_nc_u32_e32 v0, s1, v0
	global_load_b64 v[14:15], v[14:15], off
	v_add_co_u32 v24, vcc_lo, s4, v30
	s_wait_alu 0xfffd
	v_add_co_ci_u32_e64 v25, null, s5, v31, vcc_lo
	v_lshlrev_b64_e32 v[36:37], 3, v[0:1]
	v_add_nc_u32_e32 v0, s1, v0
	s_wait_loadcnt 0x1
	v_add_f64_e32 v[8:9], v[8:9], v[6:7]
	s_wait_loadcnt 0x0
	s_delay_alu instid0(VALU_DEP_1)
	v_add_f64_e32 v[8:9], v[8:9], v[14:15]
	global_load_b64 v[14:15], v[24:25], off
	s_wait_loadcnt 0x0
	v_add_f64_e32 v[8:9], v[8:9], v[14:15]
	v_add_co_u32 v14, vcc_lo, s4, v36
	s_wait_alu 0xfffd
	v_add_co_ci_u32_e64 v15, null, s5, v37, vcc_lo
	global_load_b64 v[14:15], v[14:15], off
	s_wait_loadcnt 0x0
	v_add_f64_e32 v[8:9], v[8:9], v[14:15]
	v_lshlrev_b64_e32 v[14:15], 3, v[0:1]
	v_add_nc_u32_e32 v0, s10, v0
	s_delay_alu instid0(VALU_DEP_2) | instskip(SKIP_1) | instid1(VALU_DEP_3)
	v_add_co_u32 v20, vcc_lo, s4, v14
	s_wait_alu 0xfffd
	v_add_co_ci_u32_e64 v21, null, s5, v15, vcc_lo
	s_delay_alu instid0(VALU_DEP_3)
	v_lshlrev_b64_e32 v[54:55], 3, v[0:1]
	v_add_nc_u32_e32 v0, s18, v0
	global_load_b64 v[22:23], v[20:21], off
	s_wait_loadcnt 0x0
	v_add_f64_e32 v[8:9], v[8:9], v[22:23]
	v_add_co_u32 v22, vcc_lo, s4, v54
	s_wait_alu 0xfffd
	v_add_co_ci_u32_e64 v23, null, s5, v55, vcc_lo
	global_load_b64 v[22:23], v[22:23], off
	s_wait_loadcnt 0x0
	v_add_f64_e32 v[8:9], v[8:9], v[22:23]
	v_lshlrev_b64_e32 v[22:23], 3, v[0:1]
	s_delay_alu instid0(VALU_DEP_1) | instskip(SKIP_1) | instid1(VALU_DEP_2)
	v_add_co_u32 v40, vcc_lo, s4, v22
	s_wait_alu 0xfffd
	v_add_co_ci_u32_e64 v41, null, s5, v23, vcc_lo
	global_load_b64 v[28:29], v[40:41], off
	s_wait_loadcnt 0x0
	v_add_f64_e32 v[8:9], v[8:9], v[28:29]
	v_mad_co_u64_u32 v[28:29], null, s1, 18, v[0:1]
	v_mov_b32_e32 v29, v1
	s_delay_alu instid0(VALU_DEP_1) | instskip(SKIP_1) | instid1(VALU_DEP_2)
	v_lshlrev_b64_e32 v[38:39], 3, v[28:29]
	v_add_nc_u32_e32 v0, s14, v28
	v_add_co_u32 v42, vcc_lo, s4, v38
	s_wait_alu 0xfffd
	s_delay_alu instid0(VALU_DEP_3) | instskip(NEXT) | instid1(VALU_DEP_3)
	v_add_co_ci_u32_e64 v43, null, s5, v39, vcc_lo
	v_lshlrev_b64_e32 v[28:29], 3, v[0:1]
	s_wait_alu 0xfffe
	v_add_nc_u32_e32 v0, s3, v0
	global_load_b64 v[42:43], v[42:43], off
	s_wait_loadcnt 0x0
	v_add_f64_e32 v[8:9], v[8:9], v[42:43]
	v_add_co_u32 v42, vcc_lo, s4, v28
	s_wait_alu 0xfffd
	v_add_co_ci_u32_e64 v43, null, s5, v29, vcc_lo
	global_load_b64 v[42:43], v[42:43], off
	s_wait_loadcnt 0x0
	v_add_f64_e32 v[8:9], v[8:9], v[42:43]
	v_lshlrev_b64_e32 v[42:43], 3, v[0:1]
	v_add_nc_u32_e32 v0, s14, v0
	s_delay_alu instid0(VALU_DEP_2) | instskip(SKIP_1) | instid1(VALU_DEP_3)
	v_add_co_u32 v44, vcc_lo, s6, v42
	s_wait_alu 0xfffd
	v_add_co_ci_u32_e64 v45, null, s7, v43, vcc_lo
	global_load_b64 v[60:61], v[44:45], off
	v_lshlrev_b64_e32 v[44:45], 3, v[0:1]
	s_delay_alu instid0(VALU_DEP_1) | instskip(SKIP_1) | instid1(VALU_DEP_2)
	v_add_co_u32 v82, vcc_lo, s6, v44
	s_wait_alu 0xfffd
	v_add_co_ci_u32_e64 v83, null, s7, v45, vcc_lo
	s_clause 0x1
	global_load_b64 v[48:49], v[82:83], off
	global_load_b64 v[82:83], v[82:83], off
	s_wait_loadcnt 0x2
	v_add_f64_e32 v[8:9], v[8:9], v[60:61]
	v_add_f64_e32 v[6:7], v[6:7], v[60:61]
	s_wait_loadcnt 0x1
	s_delay_alu instid0(VALU_DEP_2)
	v_add_f64_e32 v[8:9], v[8:9], v[48:49]
	v_add_co_u32 v48, vcc_lo, s6, v4
	s_wait_alu 0xfffd
	v_add_co_ci_u32_e64 v49, null, s7, v5, vcc_lo
	v_add_co_u32 v50, vcc_lo, s6, v26
	s_wait_alu 0xfffd
	v_add_co_ci_u32_e64 v51, null, s7, v27, vcc_lo
	s_clause 0x1
	global_load_b64 v[48:49], v[48:49], off
	global_load_b64 v[50:51], v[50:51], off
	s_wait_loadcnt 0x0
	v_add_f64_e32 v[48:49], v[48:49], v[50:51]
	v_add_co_u32 v50, vcc_lo, s6, v36
	s_wait_alu 0xfffd
	v_add_co_ci_u32_e64 v51, null, s7, v37, vcc_lo
	v_add_co_u32 v2, vcc_lo, s6, v2
	s_wait_alu 0xfffd
	v_add_co_ci_u32_e64 v3, null, s7, v3, vcc_lo
	s_clause 0x1
	global_load_b64 v[50:51], v[50:51], off
	global_load_b64 v[70:71], v[2:3], off
	s_wait_loadcnt 0x1
	v_add_f64_e32 v[48:49], v[48:49], v[50:51]
	s_wait_loadcnt 0x0
	s_delay_alu instid0(VALU_DEP_1)
	v_add_f64_e32 v[2:3], v[48:49], v[70:71]
	v_add_co_u32 v48, vcc_lo, s6, v54
	s_wait_alu 0xfffd
	v_add_co_ci_u32_e64 v49, null, s7, v55, vcc_lo
	v_add_co_u32 v38, vcc_lo, s6, v38
	s_wait_alu 0xfffd
	v_add_co_ci_u32_e64 v39, null, s7, v39, vcc_lo
	global_load_b64 v[48:49], v[48:49], off
	v_add_co_u32 v28, vcc_lo, s6, v28
	global_load_b64 v[38:39], v[38:39], off
	s_wait_alu 0xfffd
	v_add_co_ci_u32_e64 v29, null, s7, v29, vcc_lo
	global_load_b64 v[28:29], v[28:29], off
	s_wait_loadcnt 0x2
	v_add_f64_e32 v[2:3], v[2:3], v[48:49]
	s_wait_loadcnt 0x1
	s_delay_alu instid0(VALU_DEP_1) | instskip(SKIP_1) | instid1(VALU_DEP_1)
	v_add_f64_e32 v[2:3], v[2:3], v[38:39]
	s_wait_loadcnt 0x0
	v_add_f64_e32 v[2:3], v[2:3], v[28:29]
	v_div_scale_f64 v[28:29], null, v[8:9], v[8:9], 1.0
	s_delay_alu instid0(VALU_DEP_1) | instskip(NEXT) | instid1(TRANS32_DEP_1)
	v_rcp_f64_e32 v[38:39], v[28:29]
	v_fma_f64 v[48:49], -v[28:29], v[38:39], 1.0
	s_delay_alu instid0(VALU_DEP_1) | instskip(NEXT) | instid1(VALU_DEP_1)
	v_fma_f64 v[38:39], v[38:39], v[48:49], v[38:39]
	v_fma_f64 v[48:49], -v[28:29], v[38:39], 1.0
	s_delay_alu instid0(VALU_DEP_1) | instskip(SKIP_1) | instid1(VALU_DEP_1)
	v_fma_f64 v[38:39], v[38:39], v[48:49], v[38:39]
	v_div_scale_f64 v[48:49], vcc_lo, 1.0, v[8:9], 1.0
	v_mul_f64_e32 v[50:51], v[48:49], v[38:39]
	s_delay_alu instid0(VALU_DEP_1) | instskip(SKIP_1) | instid1(VALU_DEP_1)
	v_fma_f64 v[28:29], -v[28:29], v[50:51], v[48:49]
	s_wait_alu 0xfffd
	v_div_fmas_f64 v[28:29], v[28:29], v[38:39], v[50:51]
	s_delay_alu instid0(VALU_DEP_1) | instskip(SKIP_2) | instid1(VALU_DEP_1)
	v_div_fixup_f64 v[8:9], v[28:29], v[8:9], 1.0
	v_mad_co_u64_u32 v[28:29], null, 0xffffffcf, s1, v[0:1]
	v_mov_b32_e32 v29, v1
	v_lshlrev_b64_e32 v[38:39], 3, v[28:29]
	v_add_nc_u32_e32 v0, s2, v28
	s_delay_alu instid0(VALU_DEP_2) | instskip(SKIP_1) | instid1(VALU_DEP_3)
	v_add_co_u32 v38, vcc_lo, s8, v38
	s_wait_alu 0xfffd
	v_add_co_ci_u32_e64 v39, null, s9, v39, vcc_lo
	s_delay_alu instid0(VALU_DEP_3)
	v_lshlrev_b64_e32 v[28:29], 3, v[0:1]
	v_add_nc_u32_e32 v0, s1, v0
	v_mul_f64_e32 v[2:3], v[8:9], v[2:3]
	global_store_b64 v[38:39], v[2:3], off
	v_add_co_u32 v2, vcc_lo, s6, v12
	s_wait_alu 0xfffd
	v_add_co_ci_u32_e64 v3, null, s7, v13, vcc_lo
	v_lshlrev_b64_e32 v[38:39], 3, v[0:1]
	v_add_nc_u32_e32 v0, s1, v0
	global_load_b64 v[48:49], v[2:3], off
	v_add_co_u32 v2, vcc_lo, s4, v42
	s_wait_alu 0xfffd
	v_add_co_ci_u32_e64 v3, null, s5, v43, vcc_lo
	v_add_co_u32 v28, vcc_lo, s8, v28
	s_wait_alu 0xfffd
	v_add_co_ci_u32_e64 v29, null, s9, v29, vcc_lo
	global_load_b64 v[2:3], v[2:3], off
	s_wait_loadcnt 0x0
	v_add_f64_e32 v[12:13], v[48:49], v[2:3]
	s_delay_alu instid0(VALU_DEP_1)
	v_mul_f64_e32 v[12:13], v[8:9], v[12:13]
	global_store_b64 v[28:29], v[12:13], off
	v_add_co_u32 v12, vcc_lo, s4, v44
	s_wait_alu 0xfffd
	v_add_co_ci_u32_e64 v13, null, s5, v45, vcc_lo
	v_add_co_u32 v38, vcc_lo, s8, v38
	s_wait_alu 0xfffd
	v_add_co_ci_u32_e64 v39, null, s9, v39, vcc_lo
	global_load_b64 v[28:29], v[12:13], off
	s_wait_loadcnt 0x0
	v_mul_f64_e32 v[12:13], v[8:9], v[28:29]
	global_store_b64 v[38:39], v[12:13], off
	v_add_co_u32 v38, vcc_lo, s6, v10
	s_wait_alu 0xfffd
	v_add_co_ci_u32_e64 v39, null, s7, v11, vcc_lo
	v_add_co_u32 v84, vcc_lo, s6, v30
	s_wait_alu 0xfffd
	v_add_co_ci_u32_e64 v85, null, s7, v31, vcc_lo
	global_load_b64 v[12:13], v[38:39], off
	v_add_co_u32 v86, vcc_lo, s6, v14
	global_load_b64 v[42:43], v[84:85], off
	s_wait_alu 0xfffd
	v_add_co_ci_u32_e64 v87, null, s7, v15, vcc_lo
	global_load_b64 v[14:15], v[86:87], off
	s_wait_loadcnt 0x1
	v_add_f64_e32 v[12:13], v[12:13], v[42:43]
	s_wait_loadcnt 0x0
	s_delay_alu instid0(VALU_DEP_1) | instskip(SKIP_2) | instid1(VALU_DEP_2)
	v_add_f64_e32 v[12:13], v[12:13], v[14:15]
	v_lshlrev_b64_e32 v[14:15], 3, v[0:1]
	v_add_nc_u32_e32 v0, s12, v0
	v_add_co_u32 v14, vcc_lo, s8, v14
	s_wait_alu 0xfffd
	s_delay_alu instid0(VALU_DEP_3)
	v_add_co_ci_u32_e64 v15, null, s9, v15, vcc_lo
	v_add_co_u32 v52, vcc_lo, s6, v22
	s_wait_alu 0xfffd
	v_add_co_ci_u32_e64 v53, null, s7, v23, vcc_lo
	v_mul_f64_e32 v[12:13], v[8:9], v[12:13]
	global_store_b64 v[14:15], v[12:13], off
	global_load_b64 v[12:13], v[52:53], off
	s_wait_loadcnt 0x0
	v_mul_f64_e32 v[8:9], v[8:9], v[12:13]
	v_lshlrev_b64_e32 v[12:13], 3, v[0:1]
	v_add_nc_u32_e32 v0, s13, v0
	s_delay_alu instid0(VALU_DEP_2) | instskip(SKIP_1) | instid1(VALU_DEP_3)
	v_add_co_u32 v12, vcc_lo, s8, v12
	s_wait_alu 0xfffd
	v_add_co_ci_u32_e64 v13, null, s9, v13, vcc_lo
	global_store_b64 v[12:13], v[8:9], off
	v_lshlrev_b64_e32 v[8:9], 3, v[0:1]
	v_add_nc_u32_e32 v0, s1, v0
	s_delay_alu instid0(VALU_DEP_1) | instskip(NEXT) | instid1(VALU_DEP_3)
	v_lshlrev_b64_e32 v[14:15], 3, v[0:1]
	v_add_co_u32 v12, vcc_lo, s4, v8
	s_wait_alu 0xfffd
	s_delay_alu instid0(VALU_DEP_4) | instskip(SKIP_1) | instid1(VALU_DEP_4)
	v_add_co_ci_u32_e64 v13, null, s5, v9, vcc_lo
	v_add_nc_u32_e32 v0, s1, v0
	v_add_co_u32 v22, vcc_lo, s4, v14
	s_wait_alu 0xfffd
	v_add_co_ci_u32_e64 v23, null, s5, v15, vcc_lo
	global_load_b64 v[12:13], v[12:13], off
	v_lshlrev_b64_e32 v[72:73], 3, v[0:1]
	v_add_nc_u32_e32 v0, s1, v0
	global_load_b64 v[22:23], v[22:23], off
	v_add_co_u32 v66, vcc_lo, s4, v72
	s_wait_alu 0xfffd
	v_add_co_ci_u32_e64 v67, null, s5, v73, vcc_lo
	v_lshlrev_b64_e32 v[42:43], 3, v[0:1]
	v_add_nc_u32_e32 v0, s1, v0
	s_delay_alu instid0(VALU_DEP_2) | instskip(SKIP_1) | instid1(VALU_DEP_3)
	v_add_co_u32 v68, vcc_lo, s4, v42
	s_wait_alu 0xfffd
	v_add_co_ci_u32_e64 v69, null, s5, v43, vcc_lo
	s_delay_alu instid0(VALU_DEP_3) | instskip(SKIP_1) | instid1(VALU_DEP_1)
	v_lshlrev_b64_e32 v[64:65], 3, v[0:1]
	v_add_nc_u32_e32 v0, s1, v0
	v_lshlrev_b64_e32 v[62:63], 3, v[0:1]
	v_add_nc_u32_e32 v0, s2, v0
	s_delay_alu instid0(VALU_DEP_1) | instskip(SKIP_1) | instid1(VALU_DEP_1)
	v_lshlrev_b64_e32 v[44:45], 3, v[0:1]
	v_add_nc_u32_e32 v0, s1, v0
	v_lshlrev_b64_e32 v[74:75], 3, v[0:1]
	s_wait_loadcnt 0x0
	v_add_f64_e32 v[12:13], v[12:13], v[22:23]
	global_load_b64 v[22:23], v[66:67], off
	s_wait_loadcnt 0x0
	v_add_f64_e32 v[12:13], v[12:13], v[22:23]
	global_load_b64 v[22:23], v[68:69], off
	s_wait_loadcnt 0x0
	v_add_f64_e32 v[12:13], v[12:13], v[22:23]
	v_add_co_u32 v22, vcc_lo, s4, v64
	s_wait_alu 0xfffd
	v_add_co_ci_u32_e64 v23, null, s5, v65, vcc_lo
	global_load_b64 v[22:23], v[22:23], off
	s_wait_loadcnt 0x0
	v_add_f64_e32 v[12:13], v[12:13], v[22:23]
	v_add_co_u32 v22, vcc_lo, s4, v62
	s_wait_alu 0xfffd
	v_add_co_ci_u32_e64 v23, null, s5, v63, vcc_lo
	global_load_b64 v[22:23], v[22:23], off
	s_wait_loadcnt 0x0
	v_add_f64_e32 v[12:13], v[12:13], v[22:23]
	v_mad_co_u64_u32 v[22:23], null, s1, 35, v[0:1]
	s_delay_alu instid0(VALU_DEP_1) | instskip(NEXT) | instid1(VALU_DEP_3)
	v_dual_mov_b32 v23, v1 :: v_dual_add_nc_u32 v0, s11, v22
	v_add_f64_e32 v[2:3], v[2:3], v[12:13]
	v_add_co_u32 v12, vcc_lo, s4, v44
	s_wait_alu 0xfffd
	v_add_co_ci_u32_e64 v13, null, s5, v45, vcc_lo
	global_load_b64 v[12:13], v[12:13], off
	s_wait_loadcnt 0x0
	v_add_f64_e32 v[2:3], v[12:13], v[2:3]
	v_add_co_u32 v12, vcc_lo, s4, v74
	s_wait_alu 0xfffd
	v_add_co_ci_u32_e64 v13, null, s5, v75, vcc_lo
	global_load_b64 v[12:13], v[12:13], off
	s_wait_loadcnt 0x0
	v_add_f64_e32 v[2:3], v[12:13], v[2:3]
	v_lshlrev_b64_e32 v[12:13], 3, v[22:23]
	s_delay_alu instid0(VALU_DEP_1) | instskip(SKIP_1) | instid1(VALU_DEP_2)
	v_add_co_u32 v50, vcc_lo, s4, v12
	s_wait_alu 0xfffd
	v_add_co_ci_u32_e64 v51, null, s5, v13, vcc_lo
	global_load_b64 v[50:51], v[50:51], off
	s_wait_loadcnt 0x0
	v_add_f64_e32 v[50:51], v[50:51], v[2:3]
	v_lshlrev_b64_e32 v[2:3], 3, v[0:1]
	v_add_nc_u32_e32 v0, s14, v0
	s_delay_alu instid0(VALU_DEP_2) | instskip(SKIP_1) | instid1(VALU_DEP_3)
	v_add_co_u32 v22, vcc_lo, s4, v2
	s_wait_alu 0xfffd
	v_add_co_ci_u32_e64 v23, null, s5, v3, vcc_lo
	s_delay_alu instid0(VALU_DEP_3)
	v_lshlrev_b64_e32 v[76:77], 3, v[0:1]
	global_load_b64 v[22:23], v[22:23], off
	s_wait_loadcnt 0x0
	v_add_f64_e32 v[50:51], v[22:23], v[50:51]
	v_add_co_u32 v22, vcc_lo, s4, v76
	s_wait_alu 0xfffd
	v_add_co_ci_u32_e64 v23, null, s5, v77, vcc_lo
	global_load_b64 v[56:57], v[22:23], off
	s_wait_loadcnt 0x0
	v_add_f64_e32 v[50:51], v[56:57], v[50:51]
	v_mad_co_u64_u32 v[56:57], null, s1, 53, v[0:1]
	v_mov_b32_e32 v57, v1
	s_delay_alu instid0(VALU_DEP_1) | instskip(NEXT) | instid1(VALU_DEP_1)
	v_lshlrev_b64_e32 v[78:79], 3, v[56:57]
	v_add_co_u32 v57, vcc_lo, s4, v78
	s_wait_alu 0xfffd
	s_delay_alu instid0(VALU_DEP_2) | instskip(SKIP_3) | instid1(VALU_DEP_1)
	v_add_co_ci_u32_e64 v58, null, s5, v79, vcc_lo
	global_load_b64 v[57:58], v[57:58], off
	s_wait_loadcnt 0x0
	v_add_f64_e32 v[50:51], v[57:58], v[50:51]
	v_add_f64_e32 v[48:49], v[48:49], v[50:51]
	v_mad_co_u64_u32 v[50:51], null, 0xffffff96, s1, v[56:57]
	v_mov_b32_e32 v51, v1
	s_delay_alu instid0(VALU_DEP_1) | instskip(SKIP_1) | instid1(VALU_DEP_2)
	v_lshlrev_b64_e32 v[80:81], 3, v[50:51]
	v_add_nc_u32_e32 v0, s0, v50
	v_add_co_u32 v88, vcc_lo, s6, v80
	s_wait_alu 0xfffd
	s_delay_alu instid0(VALU_DEP_3) | instskip(NEXT) | instid1(VALU_DEP_3)
	v_add_co_ci_u32_e64 v89, null, s7, v81, vcc_lo
	v_lshlrev_b64_e32 v[90:91], 3, v[0:1]
	v_add_nc_u32_e32 v0, s1, v0
	global_load_b64 v[56:57], v[88:89], off
	v_add_co_u32 v92, vcc_lo, s6, v90
	s_wait_alu 0xfffd
	v_add_co_ci_u32_e64 v93, null, s7, v91, vcc_lo
	global_load_b64 v[50:51], v[92:93], off
	s_wait_loadcnt 0x1
	v_add_f64_e32 v[48:49], v[56:57], v[48:49]
	s_wait_loadcnt 0x0
	s_delay_alu instid0(VALU_DEP_1) | instskip(SKIP_2) | instid1(VALU_DEP_2)
	v_add_f64_e32 v[50:51], v[50:51], v[48:49]
	v_lshlrev_b64_e32 v[48:49], 3, v[0:1]
	v_add_nc_u32_e32 v0, s1, v0
	v_add_co_u32 v94, vcc_lo, s6, v48
	s_wait_alu 0xfffd
	s_delay_alu instid0(VALU_DEP_3)
	v_add_co_ci_u32_e64 v95, null, s7, v49, vcc_lo
	global_load_b64 v[56:57], v[94:95], off
	s_wait_loadcnt 0x0
	v_add_f64_e32 v[56:57], v[56:57], v[50:51]
	v_lshlrev_b64_e32 v[50:51], 3, v[0:1]
	v_add_nc_u32_e32 v0, s15, v0
	s_delay_alu instid0(VALU_DEP_2) | instskip(SKIP_1) | instid1(VALU_DEP_3)
	v_add_co_u32 v96, vcc_lo, s6, v50
	s_wait_alu 0xfffd
	v_add_co_ci_u32_e64 v97, null, s7, v51, vcc_lo
	s_delay_alu instid0(VALU_DEP_3) | instskip(SKIP_4) | instid1(VALU_DEP_1)
	v_lshlrev_b64_e32 v[98:99], 3, v[0:1]
	v_add_nc_u32_e32 v0, s10, v0
	global_load_b64 v[58:59], v[96:97], off
	v_lshlrev_b64_e32 v[100:101], 3, v[0:1]
	v_add_nc_u32_e32 v0, s14, v0
	v_lshlrev_b64_e32 v[102:103], 3, v[0:1]
	v_add_nc_u32_e32 v0, s2, v0
	s_delay_alu instid0(VALU_DEP_1)
	v_lshlrev_b64_e32 v[108:109], 3, v[0:1]
	s_wait_loadcnt 0x0
	v_add_f64_e32 v[56:57], v[58:59], v[56:57]
	v_add_co_u32 v58, vcc_lo, s6, v98
	s_wait_alu 0xfffd
	v_add_co_ci_u32_e64 v59, null, s7, v99, vcc_lo
	global_load_b64 v[58:59], v[58:59], off
	s_wait_loadcnt 0x0
	v_add_f64_e32 v[56:57], v[58:59], v[56:57]
	v_add_co_u32 v58, vcc_lo, s6, v100
	s_wait_alu 0xfffd
	v_add_co_ci_u32_e64 v59, null, s7, v101, vcc_lo
	global_load_b64 v[58:59], v[58:59], off
	;; [unrolled: 6-line block ×4, first 2 shown]
	s_wait_loadcnt 0x0
	v_add_f64_e32 v[106:107], v[110:111], v[106:107]
	v_mad_co_u64_u32 v[110:111], null, s1, 5, v[0:1]
	v_mov_b32_e32 v111, v1
	s_delay_alu instid0(VALU_DEP_1) | instskip(SKIP_2) | instid1(VALU_DEP_2)
	v_lshlrev_b64_e32 v[111:112], 3, v[110:111]
	v_add_nc_u32_e32 v0, s13, v110
	s_lshl_b32 s13, s1, 2
	v_add_co_u32 v113, vcc_lo, s6, v111
	s_wait_alu 0xfffd
	s_delay_alu instid0(VALU_DEP_3) | instskip(SKIP_4) | instid1(VALU_DEP_1)
	v_add_co_ci_u32_e64 v114, null, s7, v112, vcc_lo
	global_load_b64 v[113:114], v[113:114], off
	s_wait_loadcnt 0x0
	v_add_f64_e32 v[106:107], v[113:114], v[106:107]
	v_lshlrev_b64_e32 v[113:114], 3, v[0:1]
	v_add_co_u32 v115, vcc_lo, s6, v113
	s_wait_alu 0xfffd
	s_delay_alu instid0(VALU_DEP_2)
	v_add_co_ci_u32_e64 v116, null, s7, v114, vcc_lo
	v_add_co_u32 v8, vcc_lo, s6, v8
	s_wait_alu 0xfffd
	v_add_co_ci_u32_e64 v9, null, s7, v9, vcc_lo
	v_add_co_u32 v14, vcc_lo, s6, v14
	s_wait_alu 0xfffd
	v_add_co_ci_u32_e64 v15, null, s7, v15, vcc_lo
	s_clause 0x2
	global_load_b64 v[115:116], v[115:116], off
	global_load_b64 v[8:9], v[8:9], off
	;; [unrolled: 1-line block ×3, first 2 shown]
	s_wait_loadcnt 0x2
	v_add_f64_e32 v[106:107], v[115:116], v[106:107]
	s_wait_loadcnt 0x0
	v_add_f64_e32 v[8:9], v[8:9], v[14:15]
	v_add_co_u32 v14, vcc_lo, s6, v64
	s_wait_alu 0xfffd
	v_add_co_ci_u32_e64 v15, null, s7, v65, vcc_lo
	global_load_b64 v[14:15], v[14:15], off
	s_wait_loadcnt 0x0
	v_add_f64_e32 v[8:9], v[8:9], v[14:15]
	v_add_co_u32 v14, vcc_lo, s6, v62
	s_wait_alu 0xfffd
	v_add_co_ci_u32_e64 v15, null, s7, v63, vcc_lo
	global_load_b64 v[14:15], v[14:15], off
	;; [unrolled: 6-line block ×5, first 2 shown]
	v_add_f64_e32 v[8:9], v[70:71], v[8:9]
	s_wait_loadcnt 0x0
	s_delay_alu instid0(VALU_DEP_1) | instskip(NEXT) | instid1(VALU_DEP_1)
	v_add_f64_e32 v[8:9], v[14:15], v[8:9]
	v_add_f64_e32 v[8:9], v[14:15], v[8:9]
	v_add_co_u32 v14, vcc_lo, s4, v98
	s_wait_alu 0xfffd
	v_add_co_ci_u32_e64 v15, null, s5, v99, vcc_lo
	global_load_b64 v[14:15], v[14:15], off
	s_wait_loadcnt 0x0
	v_add_f64_e32 v[8:9], v[14:15], v[8:9]
	v_add_co_u32 v14, vcc_lo, s6, v12
	s_wait_alu 0xfffd
	v_add_co_ci_u32_e64 v15, null, s7, v13, vcc_lo
	global_load_b64 v[14:15], v[14:15], off
	s_wait_loadcnt 0x0
	;; [unrolled: 6-line block ×7, first 2 shown]
	v_add_f64_e32 v[8:9], v[14:15], v[8:9]
	v_div_scale_f64 v[14:15], null, v[106:107], v[106:107], 1.0
	s_delay_alu instid0(VALU_DEP_1) | instskip(NEXT) | instid1(TRANS32_DEP_1)
	v_rcp_f64_e32 v[70:71], v[14:15]
	v_fma_f64 v[74:75], -v[14:15], v[70:71], 1.0
	s_delay_alu instid0(VALU_DEP_1) | instskip(NEXT) | instid1(VALU_DEP_1)
	v_fma_f64 v[70:71], v[70:71], v[74:75], v[70:71]
	v_fma_f64 v[74:75], -v[14:15], v[70:71], 1.0
	s_delay_alu instid0(VALU_DEP_1) | instskip(SKIP_1) | instid1(VALU_DEP_1)
	v_fma_f64 v[70:71], v[70:71], v[74:75], v[70:71]
	v_div_scale_f64 v[74:75], vcc_lo, 1.0, v[106:107], 1.0
	v_mul_f64_e32 v[78:79], v[74:75], v[70:71]
	s_delay_alu instid0(VALU_DEP_1) | instskip(SKIP_1) | instid1(VALU_DEP_1)
	v_fma_f64 v[14:15], -v[14:15], v[78:79], v[74:75]
	s_wait_alu 0xfffd
	v_div_fmas_f64 v[14:15], v[14:15], v[70:71], v[78:79]
	v_mad_co_u64_u32 v[70:71], null, 0xffffff76, s1, v[0:1]
	v_mov_b32_e32 v71, v1
	s_delay_alu instid0(VALU_DEP_1) | instskip(SKIP_1) | instid1(VALU_DEP_2)
	v_lshlrev_b64_e32 v[74:75], 3, v[70:71]
	v_add_nc_u32_e32 v0, s1, v70
	v_add_co_u32 v74, vcc_lo, s8, v74
	s_wait_alu 0xfffd
	s_delay_alu instid0(VALU_DEP_3) | instskip(SKIP_1) | instid1(VALU_DEP_1)
	v_add_co_ci_u32_e64 v75, null, s9, v75, vcc_lo
	v_div_fixup_f64 v[14:15], v[14:15], v[106:107], 1.0
	v_mul_f64_e32 v[8:9], v[14:15], v[8:9]
	v_mul_f64_e32 v[6:7], v[6:7], v[14:15]
	global_store_b64 v[74:75], v[8:9], off
	v_lshlrev_b64_e32 v[8:9], 3, v[0:1]
	v_add_nc_u32_e32 v0, s2, v0
	s_delay_alu instid0(VALU_DEP_2) | instskip(SKIP_1) | instid1(VALU_DEP_3)
	v_add_co_u32 v8, vcc_lo, s8, v8
	s_wait_alu 0xfffd
	v_add_co_ci_u32_e64 v9, null, s9, v9, vcc_lo
	global_store_b64 v[8:9], v[6:7], off
	v_add_co_u32 v6, vcc_lo, s4, v80
	s_wait_alu 0xfffd
	v_add_co_ci_u32_e64 v7, null, s5, v81, vcc_lo
	v_add_co_u32 v8, vcc_lo, s4, v90
	s_wait_alu 0xfffd
	v_add_co_ci_u32_e64 v9, null, s5, v91, vcc_lo
	global_load_b64 v[6:7], v[6:7], off
	v_add_co_u32 v70, vcc_lo, s4, v48
	global_load_b64 v[8:9], v[8:9], off
	s_wait_alu 0xfffd
	v_add_co_ci_u32_e64 v71, null, s5, v49, vcc_lo
	global_load_b64 v[78:79], v[70:71], off
	v_add_co_u32 v70, vcc_lo, s4, v50
	s_wait_alu 0xfffd
	v_add_co_ci_u32_e64 v71, null, s5, v51, vcc_lo
	global_load_b64 v[90:91], v[70:71], off
	v_lshlrev_b64_e32 v[70:71], 3, v[0:1]
	v_add_nc_u32_e32 v0, s1, v0
	s_delay_alu instid0(VALU_DEP_2) | instskip(SKIP_1) | instid1(VALU_DEP_3)
	v_add_co_u32 v70, vcc_lo, s8, v70
	s_wait_alu 0xfffd
	v_add_co_ci_u32_e64 v71, null, s9, v71, vcc_lo
	v_add_co_u32 v100, vcc_lo, s6, v72
	s_wait_alu 0xfffd
	v_add_co_ci_u32_e64 v101, null, s7, v73, vcc_lo
	v_add_co_u32 v106, vcc_lo, s6, v42
	s_wait_alu 0xfffd
	v_add_co_ci_u32_e64 v107, null, s7, v43, vcc_lo
	s_wait_loadcnt 0x2
	v_add_f64_e32 v[60:61], v[6:7], v[8:9]
	v_add_f64_e32 v[6:7], v[28:29], v[6:7]
	s_wait_loadcnt 0x1
	s_delay_alu instid0(VALU_DEP_2) | instskip(SKIP_1) | instid1(VALU_DEP_1)
	v_add_f64_e32 v[60:61], v[60:61], v[78:79]
	s_wait_loadcnt 0x0
	v_add_f64_e32 v[60:61], v[60:61], v[90:91]
	s_delay_alu instid0(VALU_DEP_1)
	v_mul_f64_e32 v[60:61], v[14:15], v[60:61]
	global_store_b64 v[70:71], v[60:61], off
	s_clause 0x1
	global_load_b64 v[60:61], v[100:101], off
	global_load_b64 v[70:71], v[106:107], off
	s_wait_loadcnt 0x0
	v_add_f64_e32 v[60:61], v[60:61], v[70:71]
	v_lshlrev_b64_e32 v[70:71], 3, v[0:1]
	v_add_nc_u32_e32 v0, s2, v0
	s_delay_alu instid0(VALU_DEP_2) | instskip(SKIP_1) | instid1(VALU_DEP_3)
	v_add_co_u32 v70, vcc_lo, s8, v70
	s_wait_alu 0xfffd
	v_add_co_ci_u32_e64 v71, null, s9, v71, vcc_lo
	v_add_co_u32 v74, vcc_lo, s4, v102
	s_wait_alu 0xfffd
	v_add_co_ci_u32_e64 v75, null, s5, v103, vcc_lo
	;; [unrolled: 3-line block ×3, first 2 shown]
	v_mul_f64_e32 v[60:61], v[14:15], v[60:61]
	global_store_b64 v[70:71], v[60:61], off
	s_clause 0x1
	global_load_b64 v[60:61], v[74:75], off
	global_load_b64 v[70:71], v[72:73], off
	s_wait_loadcnt 0x0
	v_add_f64_e32 v[60:61], v[60:61], v[70:71]
	v_lshlrev_b64_e32 v[70:71], 3, v[0:1]
	v_add_nc_u32_e32 v0, s1, v0
	s_delay_alu instid0(VALU_DEP_2) | instskip(SKIP_1) | instid1(VALU_DEP_3)
	v_add_co_u32 v70, vcc_lo, s8, v70
	s_wait_alu 0xfffd
	v_add_co_ci_u32_e64 v71, null, s9, v71, vcc_lo
	v_mul_f64_e32 v[60:61], v[14:15], v[60:61]
	global_store_b64 v[70:71], v[60:61], off
	v_add_co_u32 v60, vcc_lo, s6, v76
	s_wait_alu 0xfffd
	v_add_co_ci_u32_e64 v61, null, s7, v77, vcc_lo
	global_load_b64 v[70:71], v[60:61], off
	s_wait_loadcnt 0x0
	v_mul_f64_e32 v[14:15], v[14:15], v[70:71]
	v_lshlrev_b64_e32 v[70:71], 3, v[0:1]
	v_lshl_add_u32 v0, s1, 5, v0
	s_delay_alu instid0(VALU_DEP_2) | instskip(NEXT) | instid1(VALU_DEP_2)
	v_add_co_u32 v70, vcc_lo, s8, v70
	v_lshlrev_b64_e32 v[98:99], 3, v[0:1]
	s_wait_alu 0xfffd
	s_delay_alu instid0(VALU_DEP_4) | instskip(SKIP_1) | instid1(VALU_DEP_1)
	v_add_co_ci_u32_e64 v71, null, s9, v71, vcc_lo
	v_add_nc_u32_e32 v0, s1, v0
	v_lshlrev_b64_e32 v[102:103], 3, v[0:1]
	v_add_nc_u32_e32 v0, s1, v0
	s_delay_alu instid0(VALU_DEP_1) | instskip(SKIP_1) | instid1(VALU_DEP_1)
	v_lshlrev_b64_e32 v[108:109], 3, v[0:1]
	v_add_nc_u32_e32 v0, s1, v0
	v_lshlrev_b64_e32 v[110:111], 3, v[0:1]
	v_add_nc_u32_e32 v0, s1, v0
	s_delay_alu instid0(VALU_DEP_1)
	v_lshlrev_b64_e32 v[112:113], 3, v[0:1]
	v_add_nc_u32_e32 v0, s1, v0
	global_store_b64 v[70:71], v[14:15], off
	v_add_co_u32 v14, vcc_lo, s4, v98
	s_wait_alu 0xfffd
	v_add_co_ci_u32_e64 v15, null, s5, v99, vcc_lo
	v_add_co_u32 v80, vcc_lo, s4, v102
	s_wait_alu 0xfffd
	v_add_co_ci_u32_e64 v81, null, s5, v103, vcc_lo
	global_load_b64 v[14:15], v[14:15], off
	v_lshlrev_b64_e32 v[70:71], 3, v[0:1]
	s_wait_alu 0xfffe
	v_add_nc_u32_e32 v0, s13, v0
	s_wait_loadcnt 0x0
	v_add_f64_e32 v[6:7], v[6:7], v[14:15]
	global_load_b64 v[14:15], v[80:81], off
	s_wait_loadcnt 0x0
	v_add_f64_e32 v[6:7], v[6:7], v[14:15]
	v_add_co_u32 v14, vcc_lo, s4, v108
	s_wait_alu 0xfffd
	v_add_co_ci_u32_e64 v15, null, s5, v109, vcc_lo
	global_load_b64 v[14:15], v[14:15], off
	s_wait_loadcnt 0x0
	v_add_f64_e32 v[6:7], v[6:7], v[14:15]
	v_add_co_u32 v14, vcc_lo, s4, v110
	s_wait_alu 0xfffd
	v_add_co_ci_u32_e64 v15, null, s5, v111, vcc_lo
	;; [unrolled: 6-line block ×4, first 2 shown]
	global_load_b64 v[14:15], v[14:15], off
	s_wait_loadcnt 0x0
	v_add_f64_e32 v[6:7], v[6:7], v[14:15]
	v_mad_co_u64_u32 v[14:15], null, s1, 22, v[0:1]
	v_mov_b32_e32 v15, v1
	s_delay_alu instid0(VALU_DEP_3) | instskip(NEXT) | instid1(VALU_DEP_1)
	v_add_f64_e32 v[6:7], v[6:7], v[8:9]
	v_add_f64_e32 v[6:7], v[6:7], v[78:79]
	s_delay_alu instid0(VALU_DEP_1) | instskip(SKIP_2) | instid1(VALU_DEP_2)
	v_add_f64_e32 v[6:7], v[6:7], v[90:91]
	v_lshlrev_b64_e32 v[90:91], 3, v[0:1]
	v_add_nc_u32_e32 v0, s11, v14
	v_add_co_u32 v8, vcc_lo, s4, v90
	s_wait_alu 0xfffd
	s_delay_alu instid0(VALU_DEP_3) | instskip(NEXT) | instid1(VALU_DEP_3)
	v_add_co_ci_u32_e64 v9, null, s5, v91, vcc_lo
	v_lshlrev_b64_e32 v[114:115], 3, v[0:1]
	global_load_b64 v[8:9], v[8:9], off
	s_wait_loadcnt 0x0
	v_add_f64_e32 v[8:9], v[6:7], v[8:9]
	v_lshlrev_b64_e32 v[6:7], 3, v[14:15]
	s_delay_alu instid0(VALU_DEP_1) | instskip(SKIP_1) | instid1(VALU_DEP_2)
	v_add_co_u32 v28, vcc_lo, s4, v6
	s_wait_alu 0xfffd
	v_add_co_ci_u32_e64 v29, null, s5, v7, vcc_lo
	v_add_co_u32 v14, vcc_lo, s4, v114
	s_wait_alu 0xfffd
	v_add_co_ci_u32_e64 v15, null, s5, v115, vcc_lo
	s_clause 0x1
	global_load_b64 v[28:29], v[28:29], off
	global_load_b64 v[14:15], v[14:15], off
	s_wait_loadcnt 0x1
	v_add_f64_e32 v[8:9], v[8:9], v[28:29]
	s_wait_loadcnt 0x0
	s_delay_alu instid0(VALU_DEP_1) | instskip(SKIP_2) | instid1(VALU_DEP_1)
	v_add_f64_e32 v[8:9], v[8:9], v[14:15]
	v_mad_co_u64_u32 v[14:15], null, s1, 59, v[0:1]
	v_mov_b32_e32 v15, v1
	v_lshlrev_b64_e32 v[116:117], 3, v[14:15]
	v_add_nc_u32_e32 v0, s1, v14
	s_delay_alu instid0(VALU_DEP_2) | instskip(SKIP_1) | instid1(VALU_DEP_3)
	v_add_co_u32 v76, vcc_lo, s4, v116
	s_wait_alu 0xfffd
	v_add_co_ci_u32_e64 v77, null, s5, v117, vcc_lo
	s_delay_alu instid0(VALU_DEP_3)
	v_lshlrev_b64_e32 v[118:119], 3, v[0:1]
	v_lshl_add_u32 v0, s1, 4, v0
	global_load_b64 v[28:29], v[76:77], off
	v_add_co_u32 v14, vcc_lo, s4, v118
	s_wait_alu 0xfffd
	v_add_co_ci_u32_e64 v15, null, s5, v119, vcc_lo
	v_lshlrev_b64_e32 v[120:121], 3, v[0:1]
	v_mad_co_u64_u32 v[78:79], null, 0xffffff9a, s1, v[0:1]
	global_load_b64 v[14:15], v[14:15], off
	v_dual_mov_b32 v79, v1 :: v_dual_add_nc_u32 v0, s16, v78
	s_wait_loadcnt 0x1
	v_add_f64_e32 v[8:9], v[8:9], v[28:29]
	s_wait_loadcnt 0x0
	s_delay_alu instid0(VALU_DEP_1)
	v_add_f64_e32 v[8:9], v[8:9], v[14:15]
	v_add_co_u32 v14, vcc_lo, s4, v120
	s_wait_alu 0xfffd
	v_add_co_ci_u32_e64 v15, null, s5, v121, vcc_lo
	global_load_b64 v[28:29], v[14:15], off
	s_wait_loadcnt 0x0
	v_add_f64_e32 v[8:9], v[8:9], v[28:29]
	v_lshlrev_b64_e32 v[28:29], 3, v[78:79]
	s_delay_alu instid0(VALU_DEP_1) | instskip(SKIP_1) | instid1(VALU_DEP_2)
	v_add_co_u32 v122, vcc_lo, s6, v28
	s_wait_alu 0xfffd
	v_add_co_ci_u32_e64 v123, null, s7, v29, vcc_lo
	global_load_b64 v[122:123], v[122:123], off
	s_wait_loadcnt 0x0
	v_add_f64_e32 v[122:123], v[8:9], v[122:123]
	v_lshlrev_b64_e32 v[8:9], 3, v[0:1]
	v_add_nc_u32_e32 v0, s18, v0
	s_delay_alu instid0(VALU_DEP_2) | instskip(SKIP_1) | instid1(VALU_DEP_3)
	v_add_co_u32 v78, vcc_lo, s6, v8
	s_wait_alu 0xfffd
	v_add_co_ci_u32_e64 v79, null, s7, v9, vcc_lo
	global_load_b64 v[124:125], v[78:79], off
	s_wait_loadcnt 0x0
	v_add_f64_e32 v[122:123], v[122:123], v[124:125]
	v_lshlrev_b64_e32 v[124:125], 3, v[0:1]
	s_delay_alu instid0(VALU_DEP_1) | instskip(SKIP_1) | instid1(VALU_DEP_2)
	v_add_co_u32 v126, vcc_lo, s6, v124
	s_wait_alu 0xfffd
	v_add_co_ci_u32_e64 v127, null, s7, v125, vcc_lo
	v_add_co_u32 v98, vcc_lo, s6, v98
	s_wait_alu 0xfffd
	v_add_co_ci_u32_e64 v99, null, s7, v99, vcc_lo
	;; [unrolled: 3-line block ×3, first 2 shown]
	s_clause 0x2
	global_load_b64 v[98:99], v[98:99], off
	global_load_b64 v[126:127], v[126:127], off
	global_load_b64 v[108:109], v[108:109], off
	s_wait_loadcnt 0x0
	v_add_f64_e32 v[98:99], v[98:99], v[108:109]
	v_add_co_u32 v108, vcc_lo, s6, v110
	s_wait_alu 0xfffd
	v_add_co_ci_u32_e64 v109, null, s7, v111, vcc_lo
	global_load_b64 v[108:109], v[108:109], off
	s_wait_loadcnt 0x0
	v_add_f64_e32 v[98:99], v[98:99], v[108:109]
	v_add_co_u32 v108, vcc_lo, s6, v112
	s_wait_alu 0xfffd
	v_add_co_ci_u32_e64 v109, null, s7, v113, vcc_lo
	global_load_b64 v[108:109], v[108:109], off
	s_wait_loadcnt 0x0
	v_add_f64_e32 v[98:99], v[98:99], v[108:109]
	v_add_co_u32 v108, vcc_lo, s6, v70
	s_wait_alu 0xfffd
	v_add_co_ci_u32_e64 v109, null, s7, v71, vcc_lo
	v_add_co_u32 v90, vcc_lo, s6, v90
	s_wait_alu 0xfffd
	v_add_co_ci_u32_e64 v91, null, s7, v91, vcc_lo
	s_clause 0x1
	global_load_b64 v[108:109], v[108:109], off
	global_load_b64 v[90:91], v[90:91], off
	s_wait_loadcnt 0x1
	v_add_f64_e32 v[98:99], v[98:99], v[108:109]
	s_wait_loadcnt 0x0
	s_delay_alu instid0(VALU_DEP_1)
	v_add_f64_e32 v[90:91], v[98:99], v[90:91]
	v_add_co_u32 v98, vcc_lo, s4, v28
	s_wait_alu 0xfffd
	v_add_co_ci_u32_e64 v99, null, s5, v29, vcc_lo
	global_load_b64 v[98:99], v[98:99], off
	s_wait_loadcnt 0x0
	v_add_f64_e32 v[90:91], v[90:91], v[98:99]
	v_add_co_u32 v98, vcc_lo, s6, v6
	s_wait_alu 0xfffd
	v_add_co_ci_u32_e64 v99, null, s7, v7, vcc_lo
	global_load_b64 v[98:99], v[98:99], off
	v_add_f64_e32 v[122:123], v[122:123], v[126:127]
	s_wait_loadcnt 0x0
	v_add_f64_e32 v[90:91], v[90:91], v[98:99]
	v_add_co_u32 v98, vcc_lo, s6, v114
	s_wait_alu 0xfffd
	v_add_co_ci_u32_e64 v99, null, s7, v115, vcc_lo
	global_load_b64 v[98:99], v[98:99], off
	s_wait_loadcnt 0x0
	v_add_f64_e32 v[90:91], v[90:91], v[98:99]
	v_add_co_u32 v98, vcc_lo, s4, v124
	s_wait_alu 0xfffd
	v_add_co_ci_u32_e64 v99, null, s5, v125, vcc_lo
	global_load_b64 v[98:99], v[98:99], off
	;; [unrolled: 6-line block ×3, first 2 shown]
	s_wait_loadcnt 0x0
	v_add_f64_e32 v[90:91], v[90:91], v[98:99]
	v_div_scale_f64 v[98:99], null, v[122:123], v[122:123], 1.0
	s_delay_alu instid0(VALU_DEP_1) | instskip(NEXT) | instid1(TRANS32_DEP_1)
	v_rcp_f64_e32 v[108:109], v[98:99]
	v_fma_f64 v[110:111], -v[98:99], v[108:109], 1.0
	s_delay_alu instid0(VALU_DEP_1) | instskip(NEXT) | instid1(VALU_DEP_1)
	v_fma_f64 v[108:109], v[108:109], v[110:111], v[108:109]
	v_fma_f64 v[110:111], -v[98:99], v[108:109], 1.0
	s_delay_alu instid0(VALU_DEP_1) | instskip(SKIP_1) | instid1(VALU_DEP_1)
	v_fma_f64 v[108:109], v[108:109], v[110:111], v[108:109]
	v_div_scale_f64 v[110:111], vcc_lo, 1.0, v[122:123], 1.0
	v_mul_f64_e32 v[112:113], v[110:111], v[108:109]
	s_delay_alu instid0(VALU_DEP_1) | instskip(SKIP_1) | instid1(VALU_DEP_1)
	v_fma_f64 v[98:99], -v[98:99], v[112:113], v[110:111]
	s_wait_alu 0xfffd
	v_div_fmas_f64 v[98:99], v[98:99], v[108:109], v[112:113]
	v_mad_co_u64_u32 v[108:109], null, 0xffffffb5, s1, v[0:1]
	v_mov_b32_e32 v109, v1
	s_delay_alu instid0(VALU_DEP_1) | instskip(SKIP_1) | instid1(VALU_DEP_2)
	v_lshlrev_b64_e32 v[109:110], 3, v[108:109]
	v_add_nc_u32_e32 v0, s0, v108
	v_add_co_u32 v109, vcc_lo, s8, v109
	s_wait_alu 0xfffd
	s_delay_alu instid0(VALU_DEP_3)
	v_add_co_ci_u32_e64 v110, null, s9, v110, vcc_lo
	v_add_co_u32 v4, vcc_lo, s8, v4
	s_wait_alu 0xfffd
	v_add_co_ci_u32_e64 v5, null, s9, v5, vcc_lo
	v_add_co_u32 v10, vcc_lo, s8, v10
	s_wait_alu 0xfffd
	v_add_co_ci_u32_e64 v11, null, s9, v11, vcc_lo
	v_div_fixup_f64 v[98:99], v[98:99], v[122:123], 1.0
	s_delay_alu instid0(VALU_DEP_1)
	v_mul_f64_e32 v[90:91], v[98:99], v[90:91]
	v_mul_f64_e32 v[82:83], v[98:99], v[82:83]
	s_clause 0x1
	global_store_b64 v[109:110], v[90:91], off
	global_store_b64 v[4:5], v[82:83], off
	s_clause 0x1
	global_load_b64 v[4:5], v[88:89], off
	global_load_b64 v[82:83], v[92:93], off
	v_lshlrev_b64_e32 v[108:109], 3, v[0:1]
	v_add_nc_u32_e32 v0, s1, v0
	s_clause 0x1
	global_load_b64 v[38:39], v[38:39], off
	global_load_b64 v[84:85], v[84:85], off
	v_lshlrev_b64_e32 v[110:111], 3, v[0:1]
	v_add_nc_u32_e32 v0, s1, v0
	s_delay_alu instid0(VALU_DEP_1) | instskip(SKIP_1) | instid1(VALU_DEP_1)
	v_lshlrev_b64_e32 v[112:113], 3, v[0:1]
	v_add_nc_u32_e32 v0, s1, v0
	v_lshlrev_b64_e32 v[114:115], 3, v[0:1]
	v_add_nc_u32_e32 v0, s1, v0
	s_delay_alu instid0(VALU_DEP_1) | instskip(SKIP_1) | instid1(VALU_DEP_1)
	v_lshlrev_b64_e32 v[92:93], 3, v[0:1]
	v_add_nc_u32_e32 v0, s1, v0
	v_lshlrev_b64_e32 v[90:91], 3, v[0:1]
	v_add_nc_u32_e32 v0, s1, v0
	s_wait_loadcnt 0x2
	v_add_f64_e32 v[4:5], v[4:5], v[82:83]
	global_load_b64 v[82:83], v[94:95], off
	v_lshlrev_b64_e32 v[94:95], 3, v[0:1]
	s_wait_loadcnt 0x0
	v_add_f64_e32 v[4:5], v[4:5], v[82:83]
	global_load_b64 v[82:83], v[96:97], off
	s_wait_loadcnt 0x0
	v_add_f64_e32 v[4:5], v[4:5], v[82:83]
	s_delay_alu instid0(VALU_DEP_1)
	v_mul_f64_e32 v[4:5], v[98:99], v[4:5]
	global_store_b64 v[10:11], v[4:5], off
	v_add_co_u32 v4, vcc_lo, s6, v102
	s_wait_alu 0xfffd
	v_add_co_ci_u32_e64 v5, null, s7, v103, vcc_lo
	v_add_co_u32 v26, vcc_lo, s8, v26
	s_wait_alu 0xfffd
	v_add_co_ci_u32_e64 v27, null, s9, v27, vcc_lo
	global_load_b64 v[4:5], v[4:5], off
	v_add_co_u32 v88, vcc_lo, s4, v8
	s_wait_alu 0xfffd
	v_add_co_ci_u32_e64 v89, null, s5, v9, vcc_lo
	s_wait_loadcnt 0x0
	v_mul_f64_e32 v[10:11], v[98:99], v[4:5]
	global_store_b64 v[26:27], v[10:11], off
	global_load_b64 v[10:11], v[88:89], off
	v_add_co_u32 v26, vcc_lo, s8, v30
	s_wait_alu 0xfffd
	v_add_co_ci_u32_e64 v27, null, s9, v31, vcc_lo
	v_add_co_u32 v82, vcc_lo, s6, v116
	s_wait_alu 0xfffd
	v_add_co_ci_u32_e64 v83, null, s7, v117, vcc_lo
	s_wait_loadcnt 0x0
	v_mul_f64_e32 v[10:11], v[98:99], v[10:11]
	global_store_b64 v[26:27], v[10:11], off
	global_load_b64 v[10:11], v[82:83], off
	v_add_co_u32 v26, vcc_lo, s8, v36
	s_wait_alu 0xfffd
	v_add_co_ci_u32_e64 v27, null, s9, v37, vcc_lo
	v_add_co_u32 v30, vcc_lo, s6, v120
	s_wait_alu 0xfffd
	v_add_co_ci_u32_e64 v31, null, s7, v121, vcc_lo
	v_mad_co_u64_u32 v[36:37], null, s1, 41, v[0:1]
	s_delay_alu instid0(VALU_DEP_1) | instskip(NEXT) | instid1(VALU_DEP_1)
	v_dual_mov_b32 v37, v1 :: v_dual_add_nc_u32 v0, s1, v36
	v_lshlrev_b64_e32 v[116:117], 3, v[0:1]
	v_add_nc_u32_e32 v0, s17, v0
	s_delay_alu instid0(VALU_DEP_1)
	v_mad_co_u64_u32 v[118:119], null, s1, 44, v[0:1]
	v_mov_b32_e32 v119, v1
	s_wait_loadcnt 0x0
	v_mul_f64_e32 v[10:11], v[98:99], v[10:11]
	global_store_b64 v[26:27], v[10:11], off
	global_load_b64 v[10:11], v[30:31], off
	v_add_co_u32 v26, vcc_lo, s8, v108
	s_wait_alu 0xfffd
	v_add_co_ci_u32_e64 v27, null, s9, v109, vcc_lo
	s_wait_loadcnt 0x0
	v_mul_f64_e32 v[10:11], v[98:99], v[10:11]
	v_lshlrev_b64_e32 v[98:99], 3, v[0:1]
	global_store_b64 v[26:27], v[10:11], off
	v_add_co_u32 v10, vcc_lo, s4, v108
	s_wait_alu 0xfffd
	v_add_co_ci_u32_e64 v11, null, s5, v109, vcc_lo
	v_add_co_u32 v26, vcc_lo, s4, v110
	s_wait_alu 0xfffd
	v_add_co_ci_u32_e64 v27, null, s5, v111, vcc_lo
	s_clause 0x1
	global_load_b64 v[10:11], v[10:11], off
	global_load_b64 v[26:27], v[26:27], off
	s_wait_loadcnt 0x0
	v_add_f64_e32 v[10:11], v[10:11], v[26:27]
	v_add_co_u32 v26, vcc_lo, s4, v112
	s_wait_alu 0xfffd
	v_add_co_ci_u32_e64 v27, null, s5, v113, vcc_lo
	global_load_b64 v[26:27], v[26:27], off
	s_wait_loadcnt 0x0
	v_add_f64_e32 v[10:11], v[10:11], v[26:27]
	v_add_co_u32 v26, vcc_lo, s4, v114
	s_wait_alu 0xfffd
	v_add_co_ci_u32_e64 v27, null, s5, v115, vcc_lo
	;; [unrolled: 6-line block ×5, first 2 shown]
	global_load_b64 v[26:27], v[26:27], off
	s_wait_loadcnt 0x0
	v_add_f64_e32 v[10:11], v[10:11], v[26:27]
	v_lshlrev_b64_e32 v[26:27], 3, v[36:37]
	s_delay_alu instid0(VALU_DEP_1) | instskip(SKIP_1) | instid1(VALU_DEP_2)
	v_add_co_u32 v96, vcc_lo, s4, v26
	s_wait_alu 0xfffd
	v_add_co_ci_u32_e64 v97, null, s5, v27, vcc_lo
	v_add_co_u32 v36, vcc_lo, s4, v116
	s_wait_alu 0xfffd
	v_add_co_ci_u32_e64 v37, null, s5, v117, vcc_lo
	s_clause 0x1
	global_load_b64 v[96:97], v[96:97], off
	global_load_b64 v[36:37], v[36:37], off
	s_wait_loadcnt 0x1
	v_add_f64_e32 v[10:11], v[10:11], v[96:97]
	s_wait_loadcnt 0x0
	s_delay_alu instid0(VALU_DEP_1)
	v_add_f64_e32 v[10:11], v[10:11], v[36:37]
	v_add_co_u32 v36, vcc_lo, s4, v98
	s_wait_alu 0xfffd
	v_add_co_ci_u32_e64 v37, null, s5, v99, vcc_lo
	global_load_b64 v[96:97], v[36:37], off
	s_wait_loadcnt 0x0
	v_add_f64_e32 v[102:103], v[10:11], v[96:97]
	v_lshlrev_b64_e32 v[96:97], 3, v[118:119]
	s_delay_alu instid0(VALU_DEP_1) | instskip(SKIP_1) | instid1(VALU_DEP_2)
	v_add_co_u32 v10, vcc_lo, s4, v96
	s_wait_alu 0xfffd
	v_add_co_ci_u32_e64 v11, null, s5, v97, vcc_lo
	global_load_b64 v[119:120], v[10:11], off
	s_wait_loadcnt 0x0
	v_add_f64_e32 v[102:103], v[102:103], v[119:120]
	v_mad_co_u64_u32 v[118:119], null, s1, 25, v[118:119]
	v_mov_b32_e32 v119, v1
	s_delay_alu instid0(VALU_DEP_1) | instskip(NEXT) | instid1(VALU_DEP_1)
	v_lshlrev_b64_e32 v[119:120], 3, v[118:119]
	v_add_co_u32 v121, vcc_lo, s4, v119
	s_wait_alu 0xfffd
	s_delay_alu instid0(VALU_DEP_2) | instskip(SKIP_3) | instid1(VALU_DEP_1)
	v_add_co_ci_u32_e64 v122, null, s5, v120, vcc_lo
	global_load_b64 v[121:122], v[121:122], off
	s_wait_loadcnt 0x0
	v_add_f64_e32 v[102:103], v[102:103], v[121:122]
	v_add_f64_e32 v[38:39], v[102:103], v[38:39]
	s_delay_alu instid0(VALU_DEP_1)
	v_add_f64_e32 v[38:39], v[38:39], v[84:85]
	global_load_b64 v[84:85], v[86:87], off
	s_wait_loadcnt 0x0
	v_add_f64_e32 v[38:39], v[38:39], v[84:85]
	global_load_b64 v[84:85], v[100:101], off
	s_wait_loadcnt 0x0
	;; [unrolled: 3-line block ×3, first 2 shown]
	v_add_f64_e32 v[38:39], v[38:39], v[84:85]
	s_delay_alu instid0(VALU_DEP_1) | instskip(SKIP_2) | instid1(VALU_DEP_1)
	v_add_f64_e32 v[4:5], v[38:39], v[4:5]
	v_mad_co_u64_u32 v[38:39], null, 0xffffff8b, s1, v[118:119]
	v_mov_b32_e32 v39, v1
	v_lshlrev_b64_e32 v[84:85], 3, v[38:39]
	v_add_nc_u32_e32 v0, s1, v38
	s_delay_alu instid0(VALU_DEP_2) | instskip(SKIP_1) | instid1(VALU_DEP_3)
	v_add_co_u32 v86, vcc_lo, s6, v84
	s_wait_alu 0xfffd
	v_add_co_ci_u32_e64 v87, null, s7, v85, vcc_lo
	global_load_b64 v[86:87], v[86:87], off
	s_wait_loadcnt 0x0
	v_add_f64_e32 v[4:5], v[4:5], v[86:87]
	v_lshlrev_b64_e32 v[86:87], 3, v[0:1]
	v_add_nc_u32_e32 v0, s1, v0
	s_delay_alu instid0(VALU_DEP_2) | instskip(SKIP_1) | instid1(VALU_DEP_3)
	v_add_co_u32 v38, vcc_lo, s6, v86
	s_wait_alu 0xfffd
	v_add_co_ci_u32_e64 v39, null, s7, v87, vcc_lo
	s_delay_alu instid0(VALU_DEP_3) | instskip(SKIP_4) | instid1(VALU_DEP_1)
	v_lshlrev_b64_e32 v[106:107], 3, v[0:1]
	v_add_nc_u32_e32 v0, s1, v0
	global_load_b64 v[38:39], v[38:39], off
	v_lshlrev_b64_e32 v[121:122], 3, v[0:1]
	v_add_nc_u32_e32 v0, s1, v0
	v_lshlrev_b64_e32 v[123:124], 3, v[0:1]
	s_wait_loadcnt 0x0
	v_add_f64_e32 v[4:5], v[4:5], v[38:39]
	v_add_co_u32 v38, vcc_lo, s6, v106
	s_wait_alu 0xfffd
	v_add_co_ci_u32_e64 v39, null, s7, v107, vcc_lo
	global_load_b64 v[38:39], v[38:39], off
	s_wait_loadcnt 0x0
	v_add_f64_e32 v[4:5], v[4:5], v[38:39]
	v_add_co_u32 v38, vcc_lo, s6, v121
	s_wait_alu 0xfffd
	v_add_co_ci_u32_e64 v39, null, s7, v122, vcc_lo
	global_load_b64 v[38:39], v[38:39], off
	s_wait_loadcnt 0x0
	v_add_f64_e32 v[4:5], v[4:5], v[38:39]
	v_add_co_u32 v38, vcc_lo, s6, v123
	s_wait_alu 0xfffd
	v_add_co_ci_u32_e64 v39, null, s7, v124, vcc_lo
	global_load_b64 v[38:39], v[38:39], off
	s_wait_loadcnt 0x0
	v_add_f64_e32 v[4:5], v[4:5], v[38:39]
	v_mad_co_u64_u32 v[38:39], null, s1, 14, v[0:1]
	v_mov_b32_e32 v39, v1
	s_delay_alu instid0(VALU_DEP_1) | instskip(NEXT) | instid1(VALU_DEP_1)
	v_lshlrev_b64_e32 v[125:126], 3, v[38:39]
	v_add_co_u32 v100, vcc_lo, s6, v125
	s_wait_alu 0xfffd
	s_delay_alu instid0(VALU_DEP_2)
	v_add_co_ci_u32_e64 v101, null, s7, v126, vcc_lo
	global_load_b64 v[100:101], v[100:101], off
	s_wait_loadcnt 0x0
	v_add_f64_e32 v[4:5], v[4:5], v[100:101]
	v_mad_co_u64_u32 v[100:101], null, s1, 50, v[38:39]
	v_mov_b32_e32 v101, v1
	s_delay_alu instid0(VALU_DEP_1) | instskip(SKIP_2) | instid1(VALU_DEP_3)
	v_lshlrev_b64_e32 v[102:103], 3, v[100:101]
	v_mad_co_u64_u32 v[129:130], null, s1, 9, v[100:101]
	v_mov_b32_e32 v130, v1
	v_add_co_u32 v38, vcc_lo, s6, v102
	s_wait_alu 0xfffd
	s_delay_alu instid0(VALU_DEP_4) | instskip(NEXT) | instid1(VALU_DEP_3)
	v_add_co_ci_u32_e64 v39, null, s7, v103, vcc_lo
	v_lshlrev_b64_e32 v[100:101], 3, v[129:130]
	v_add_nc_u32_e32 v0, s18, v129
	s_mul_i32 s18, s1, 20
	global_load_b64 v[127:128], v[38:39], off
	s_wait_loadcnt 0x0
	v_add_f64_e32 v[127:128], v[4:5], v[127:128]
	v_add_co_u32 v4, vcc_lo, s6, v100
	s_wait_alu 0xfffd
	v_add_co_ci_u32_e64 v5, null, s7, v101, vcc_lo
	global_load_b64 v[130:131], v[4:5], off
	s_wait_loadcnt 0x0
	v_add_f64_e32 v[127:128], v[127:128], v[130:131]
	v_lshlrev_b64_e32 v[129:130], 3, v[0:1]
	s_delay_alu instid0(VALU_DEP_1) | instskip(SKIP_1) | instid1(VALU_DEP_2)
	v_add_co_u32 v131, vcc_lo, s6, v129
	s_wait_alu 0xfffd
	v_add_co_ci_u32_e64 v132, null, s7, v130, vcc_lo
	v_add_co_u32 v108, vcc_lo, s6, v108
	s_wait_alu 0xfffd
	v_add_co_ci_u32_e64 v109, null, s7, v109, vcc_lo
	;; [unrolled: 3-line block ×3, first 2 shown]
	s_clause 0x2
	global_load_b64 v[108:109], v[108:109], off
	global_load_b64 v[131:132], v[131:132], off
	;; [unrolled: 1-line block ×3, first 2 shown]
	s_wait_loadcnt 0x0
	v_add_f64_e32 v[108:109], v[108:109], v[110:111]
	v_add_co_u32 v110, vcc_lo, s6, v112
	s_wait_alu 0xfffd
	v_add_co_ci_u32_e64 v111, null, s7, v113, vcc_lo
	global_load_b64 v[110:111], v[110:111], off
	s_wait_loadcnt 0x0
	v_add_f64_e32 v[108:109], v[108:109], v[110:111]
	v_add_co_u32 v110, vcc_lo, s6, v114
	s_wait_alu 0xfffd
	v_add_co_ci_u32_e64 v111, null, s7, v115, vcc_lo
	global_load_b64 v[110:111], v[110:111], off
	;; [unrolled: 6-line block ×4, first 2 shown]
	s_wait_loadcnt 0x0
	v_add_f64_e32 v[108:109], v[108:109], v[110:111]
	v_add_co_u32 v110, vcc_lo, s6, v94
	s_wait_alu 0xfffd
	v_add_co_ci_u32_e64 v111, null, s7, v95, vcc_lo
	v_add_co_u32 v84, vcc_lo, s4, v84
	s_wait_alu 0xfffd
	v_add_co_ci_u32_e64 v85, null, s5, v85, vcc_lo
	global_load_b64 v[110:111], v[110:111], off
	global_load_b64 v[84:85], v[84:85], off
	s_wait_loadcnt 0x1
	v_add_f64_e32 v[108:109], v[108:109], v[110:111]
	s_wait_loadcnt 0x0
	s_delay_alu instid0(VALU_DEP_1)
	v_add_f64_e32 v[84:85], v[108:109], v[84:85]
	v_add_co_u32 v108, vcc_lo, s4, v86
	s_wait_alu 0xfffd
	v_add_co_ci_u32_e64 v109, null, s5, v87, vcc_lo
	v_add_co_u32 v106, vcc_lo, s4, v106
	s_wait_alu 0xfffd
	v_add_co_ci_u32_e64 v107, null, s5, v107, vcc_lo
	s_clause 0x1
	global_load_b64 v[108:109], v[108:109], off
	global_load_b64 v[106:107], v[106:107], off
	s_wait_loadcnt 0x1
	v_add_f64_e32 v[84:85], v[84:85], v[108:109]
	s_wait_loadcnt 0x0
	s_delay_alu instid0(VALU_DEP_1)
	v_add_f64_e32 v[84:85], v[84:85], v[106:107]
	v_add_co_u32 v106, vcc_lo, s4, v121
	s_wait_alu 0xfffd
	v_add_co_ci_u32_e64 v107, null, s5, v122, vcc_lo
	global_load_b64 v[106:107], v[106:107], off
	s_wait_loadcnt 0x0
	v_add_f64_e32 v[84:85], v[84:85], v[106:107]
	v_add_co_u32 v106, vcc_lo, s4, v123
	s_wait_alu 0xfffd
	v_add_co_ci_u32_e64 v107, null, s5, v124, vcc_lo
	global_load_b64 v[106:107], v[106:107], off
	s_wait_loadcnt 0x0
	;; [unrolled: 6-line block ×7, first 2 shown]
	v_add_f64_e32 v[106:107], v[34:35], v[106:107]
	v_add_co_u32 v34, vcc_lo, s6, v32
	s_wait_alu 0xfffd
	v_add_co_ci_u32_e64 v35, null, s7, v33, vcc_lo
	global_load_b64 v[32:33], v[34:35], off
	v_add_f64_e32 v[127:128], v[127:128], v[131:132]
	s_wait_loadcnt 0x0
	v_add_f64_e32 v[32:33], v[106:107], v[32:33]
	v_add_co_u32 v106, vcc_lo, s6, v119
	s_wait_alu 0xfffd
	v_add_co_ci_u32_e64 v107, null, s7, v120, vcc_lo
	global_load_b64 v[106:107], v[106:107], off
	s_wait_loadcnt 0x0
	v_add_f64_e32 v[106:107], v[32:33], v[106:107]
	v_add_co_u32 v32, vcc_lo, s4, v104
	s_wait_alu 0xfffd
	v_add_co_ci_u32_e64 v33, null, s5, v105, vcc_lo
	global_load_b64 v[104:105], v[32:33], off
	s_wait_loadcnt 0x0
	v_add_f64_e32 v[106:107], v[106:107], v[104:105]
	v_div_scale_f64 v[104:105], null, v[127:128], v[127:128], 1.0
	s_delay_alu instid0(VALU_DEP_1) | instskip(NEXT) | instid1(TRANS32_DEP_1)
	v_rcp_f64_e32 v[108:109], v[104:105]
	v_fma_f64 v[110:111], -v[104:105], v[108:109], 1.0
	s_delay_alu instid0(VALU_DEP_1) | instskip(NEXT) | instid1(VALU_DEP_1)
	v_fma_f64 v[108:109], v[108:109], v[110:111], v[108:109]
	v_fma_f64 v[110:111], -v[104:105], v[108:109], 1.0
	s_delay_alu instid0(VALU_DEP_1) | instskip(SKIP_1) | instid1(VALU_DEP_1)
	v_fma_f64 v[108:109], v[108:109], v[110:111], v[108:109]
	v_div_scale_f64 v[110:111], vcc_lo, 1.0, v[127:128], 1.0
	v_mul_f64_e32 v[112:113], v[110:111], v[108:109]
	s_delay_alu instid0(VALU_DEP_1) | instskip(SKIP_1) | instid1(VALU_DEP_1)
	v_fma_f64 v[104:105], -v[104:105], v[112:113], v[110:111]
	s_wait_alu 0xfffd
	v_div_fmas_f64 v[104:105], v[104:105], v[108:109], v[112:113]
	v_add_co_u32 v108, vcc_lo, s8, v114
	s_wait_alu 0xfffd
	v_add_co_ci_u32_e64 v109, null, s9, v115, vcc_lo
	s_delay_alu instid0(VALU_DEP_3) | instskip(NEXT) | instid1(VALU_DEP_1)
	v_div_fixup_f64 v[104:105], v[104:105], v[127:128], 1.0
	v_mul_f64_e32 v[106:107], v[104:105], v[106:107]
	global_store_b64 v[108:109], v[106:107], off
	s_clause 0x2
	global_load_b64 v[18:19], v[18:19], off
	global_load_b64 v[24:25], v[24:25], off
	;; [unrolled: 1-line block ×3, first 2 shown]
	s_wait_loadcnt 0x1
	v_add_f64_e32 v[18:19], v[18:19], v[24:25]
	s_wait_loadcnt 0x0
	s_delay_alu instid0(VALU_DEP_1) | instskip(SKIP_3) | instid1(VALU_DEP_3)
	v_add_f64_e32 v[18:19], v[18:19], v[20:21]
	v_add_co_u32 v20, vcc_lo, s8, v92
	s_wait_alu 0xfffd
	v_add_co_ci_u32_e64 v21, null, s9, v93, vcc_lo
	v_mul_f64_e32 v[18:19], v[104:105], v[18:19]
	global_store_b64 v[20:21], v[18:19], off
	s_clause 0x1
	global_load_b64 v[18:19], v[66:67], off
	global_load_b64 v[20:21], v[68:69], off
	s_wait_loadcnt 0x0
	v_add_f64_e32 v[18:19], v[18:19], v[20:21]
	v_add_co_u32 v20, vcc_lo, s8, v90
	s_wait_alu 0xfffd
	v_add_co_ci_u32_e64 v21, null, s9, v91, vcc_lo
	s_delay_alu instid0(VALU_DEP_3)
	v_mul_f64_e32 v[18:19], v[104:105], v[18:19]
	global_store_b64 v[20:21], v[18:19], off
	global_load_b64 v[18:19], v[80:81], off
	v_add_co_u32 v20, vcc_lo, s8, v94
	s_wait_alu 0xfffd
	v_add_co_ci_u32_e64 v21, null, s9, v95, vcc_lo
	v_add_co_u32 v66, vcc_lo, s6, v98
	s_wait_alu 0xfffd
	v_add_co_ci_u32_e64 v67, null, s7, v99, vcc_lo
	;; [unrolled: 3-line block ×3, first 2 shown]
	s_wait_loadcnt 0x0
	v_mul_f64_e32 v[18:19], v[104:105], v[18:19]
	global_store_b64 v[20:21], v[18:19], off
	global_load_b64 v[18:19], v[66:67], off
	global_load_b64 v[20:21], v[68:69], off
	s_wait_loadcnt 0x0
	v_add_f64_e32 v[18:19], v[18:19], v[20:21]
	v_add_co_u32 v20, vcc_lo, s8, v42
	s_wait_alu 0xfffd
	v_add_co_ci_u32_e64 v21, null, s9, v43, vcc_lo
	v_add_co_u32 v42, vcc_lo, s6, v96
	s_wait_alu 0xfffd
	v_add_co_ci_u32_e64 v43, null, s7, v97, vcc_lo
	v_mul_f64_e32 v[18:19], v[104:105], v[18:19]
	global_store_b64 v[20:21], v[18:19], off
	global_load_b64 v[18:19], v[42:43], off
	v_add_co_u32 v20, vcc_lo, s8, v64
	s_wait_alu 0xfffd
	v_add_co_ci_u32_e64 v21, null, s9, v65, vcc_lo
	v_add_co_u32 v24, vcc_lo, s4, v100
	s_wait_alu 0xfffd
	v_add_co_ci_u32_e64 v25, null, s5, v101, vcc_lo
	s_wait_loadcnt 0x0
	v_mul_f64_e32 v[18:19], v[104:105], v[18:19]
	global_store_b64 v[20:21], v[18:19], off
	global_load_b64 v[18:19], v[24:25], off
	v_add_co_u32 v20, vcc_lo, s8, v62
	s_wait_alu 0xfffd
	v_add_co_ci_u32_e64 v21, null, s9, v63, vcc_lo
	s_wait_loadcnt 0x0
	v_mul_f64_e32 v[18:19], v[104:105], v[18:19]
	global_store_b64 v[20:21], v[18:19], off
	v_mad_co_u64_u32 v[18:19], null, 0xffffffc1, s1, v[0:1]
	s_delay_alu instid0(VALU_DEP_1) | instskip(NEXT) | instid1(VALU_DEP_1)
	v_dual_mov_b32 v19, v1 :: v_dual_add_nc_u32 v0, s1, v18
	v_lshlrev_b64_e32 v[62:63], 3, v[18:19]
	s_delay_alu instid0(VALU_DEP_2) | instskip(SKIP_1) | instid1(VALU_DEP_3)
	v_lshlrev_b64_e32 v[64:65], 3, v[0:1]
	v_add_nc_u32_e32 v0, s2, v0
	v_add_co_u32 v19, vcc_lo, s4, v62
	s_wait_alu 0xfffd
	s_delay_alu instid0(VALU_DEP_4) | instskip(NEXT) | instid1(VALU_DEP_4)
	v_add_co_ci_u32_e64 v20, null, s5, v63, vcc_lo
	v_add_co_u32 v80, vcc_lo, s4, v64
	s_wait_alu 0xfffd
	v_add_co_ci_u32_e64 v81, null, s5, v65, vcc_lo
	s_clause 0x1
	global_load_b64 v[19:20], v[19:20], off
	global_load_b64 v[80:81], v[80:81], off
	s_wait_loadcnt 0x0
	v_add_f64_e32 v[18:19], v[19:20], v[80:81]
	global_load_b64 v[20:21], v[88:89], off
	s_wait_loadcnt 0x0
	v_add_f64_e32 v[18:19], v[18:19], v[20:21]
	v_lshlrev_b64_e32 v[20:21], 3, v[0:1]
	v_add_nc_u32_e32 v0, s1, v0
	s_delay_alu instid0(VALU_DEP_2) | instskip(SKIP_1) | instid1(VALU_DEP_3)
	v_add_co_u32 v80, vcc_lo, s4, v20
	s_wait_alu 0xfffd
	v_add_co_ci_u32_e64 v81, null, s5, v21, vcc_lo
	global_load_b64 v[80:81], v[80:81], off
	s_wait_loadcnt 0x0
	v_add_f64_e32 v[18:19], v[18:19], v[80:81]
	v_lshlrev_b64_e32 v[80:81], 3, v[0:1]
	v_add_nc_u32_e32 v0, s1, v0
	s_delay_alu instid0(VALU_DEP_2) | instskip(SKIP_1) | instid1(VALU_DEP_3)
	v_add_co_u32 v88, vcc_lo, s4, v80
	s_wait_alu 0xfffd
	v_add_co_ci_u32_e64 v89, null, s5, v81, vcc_lo
	global_load_b64 v[88:89], v[88:89], off
	s_wait_loadcnt 0x0
	v_add_f64_e32 v[18:19], v[18:19], v[88:89]
	v_lshlrev_b64_e32 v[88:89], 3, v[0:1]
	s_delay_alu instid0(VALU_DEP_1) | instskip(SKIP_1) | instid1(VALU_DEP_2)
	v_add_co_u32 v90, vcc_lo, s4, v88
	s_wait_alu 0xfffd
	v_add_co_ci_u32_e64 v91, null, s5, v89, vcc_lo
	global_load_b64 v[90:91], v[90:91], off
	s_wait_loadcnt 0x0
	v_add_f64_e32 v[18:19], v[18:19], v[90:91]
	v_mad_co_u64_u32 v[90:91], null, 0xffffffe2, s1, v[0:1]
	v_mov_b32_e32 v91, v1
	s_delay_alu instid0(VALU_DEP_1) | instskip(SKIP_1) | instid1(VALU_DEP_2)
	v_lshlrev_b64_e32 v[91:92], 3, v[90:91]
	v_add_nc_u32_e32 v0, s15, v90
	v_add_co_u32 v93, vcc_lo, s6, v91
	s_wait_alu 0xfffd
	s_delay_alu instid0(VALU_DEP_3)
	v_add_co_ci_u32_e64 v94, null, s7, v92, vcc_lo
	global_load_b64 v[93:94], v[93:94], off
	s_wait_loadcnt 0x0
	v_add_f64_e32 v[18:19], v[18:19], v[93:94]
	v_lshlrev_b64_e32 v[93:94], 3, v[0:1]
	v_add_nc_u32_e32 v0, s12, v0
	s_delay_alu instid0(VALU_DEP_2) | instskip(SKIP_1) | instid1(VALU_DEP_3)
	v_add_co_u32 v95, vcc_lo, s6, v93
	s_wait_alu 0xfffd
	v_add_co_ci_u32_e64 v96, null, s7, v94, vcc_lo
	global_load_b64 v[95:96], v[95:96], off
	s_wait_loadcnt 0x0
	v_add_f64_e32 v[18:19], v[18:19], v[95:96]
	v_lshlrev_b64_e32 v[95:96], 3, v[0:1]
	v_add_nc_u32_e32 v0, s10, v0
	s_mul_i32 s10, s1, 21
	s_delay_alu instid0(VALU_DEP_2) | instskip(SKIP_1) | instid1(VALU_DEP_3)
	v_add_co_u32 v97, vcc_lo, s6, v95
	s_wait_alu 0xfffd
	v_add_co_ci_u32_e64 v98, null, s7, v96, vcc_lo
	v_add_co_u32 v90, vcc_lo, s4, v91
	s_wait_alu 0xfffd
	v_add_co_ci_u32_e64 v91, null, s5, v92, vcc_lo
	;; [unrolled: 3-line block ×3, first 2 shown]
	global_load_b64 v[90:91], v[90:91], off
	global_load_b64 v[97:98], v[97:98], off
	;; [unrolled: 1-line block ×3, first 2 shown]
	s_wait_loadcnt 0x0
	v_add_f64_e32 v[90:91], v[90:91], v[92:93]
	v_add_co_u32 v92, vcc_lo, s4, v95
	s_wait_alu 0xfffd
	v_add_co_ci_u32_e64 v93, null, s5, v96, vcc_lo
	v_add_co_u32 v62, vcc_lo, s6, v62
	s_wait_alu 0xfffd
	v_add_co_ci_u32_e64 v63, null, s7, v63, vcc_lo
	global_load_b64 v[92:93], v[92:93], off
	v_add_co_u32 v64, vcc_lo, s6, v64
	global_load_b64 v[62:63], v[62:63], off
	s_wait_alu 0xfffd
	v_add_co_ci_u32_e64 v65, null, s7, v65, vcc_lo
	global_load_b64 v[64:65], v[64:65], off
	s_wait_loadcnt 0x2
	v_add_f64_e32 v[90:91], v[90:91], v[92:93]
	s_wait_loadcnt 0x1
	s_delay_alu instid0(VALU_DEP_1) | instskip(SKIP_1) | instid1(VALU_DEP_1)
	v_add_f64_e32 v[62:63], v[90:91], v[62:63]
	s_wait_loadcnt 0x0
	v_add_f64_e32 v[62:63], v[62:63], v[64:65]
	v_add_co_u32 v64, vcc_lo, s6, v20
	s_wait_alu 0xfffd
	v_add_co_ci_u32_e64 v65, null, s7, v21, vcc_lo
	global_load_b64 v[64:65], v[64:65], off
	v_add_f64_e32 v[18:19], v[18:19], v[97:98]
	s_wait_loadcnt 0x0
	v_add_f64_e32 v[62:63], v[62:63], v[64:65]
	v_add_co_u32 v64, vcc_lo, s6, v80
	s_wait_alu 0xfffd
	v_add_co_ci_u32_e64 v65, null, s7, v81, vcc_lo
	global_load_b64 v[64:65], v[64:65], off
	s_wait_loadcnt 0x0
	v_add_f64_e32 v[62:63], v[62:63], v[64:65]
	v_add_co_u32 v64, vcc_lo, s6, v88
	s_wait_alu 0xfffd
	v_add_co_ci_u32_e64 v65, null, s7, v89, vcc_lo
	global_load_b64 v[64:65], v[64:65], off
	s_wait_loadcnt 0x0
	v_add_f64_e32 v[62:63], v[62:63], v[64:65]
	v_div_scale_f64 v[64:65], null, v[18:19], v[18:19], 1.0
	s_delay_alu instid0(VALU_DEP_1) | instskip(NEXT) | instid1(TRANS32_DEP_1)
	v_rcp_f64_e32 v[80:81], v[64:65]
	v_fma_f64 v[88:89], -v[64:65], v[80:81], 1.0
	s_delay_alu instid0(VALU_DEP_1) | instskip(NEXT) | instid1(VALU_DEP_1)
	v_fma_f64 v[80:81], v[80:81], v[88:89], v[80:81]
	v_fma_f64 v[88:89], -v[64:65], v[80:81], 1.0
	s_delay_alu instid0(VALU_DEP_1) | instskip(SKIP_1) | instid1(VALU_DEP_1)
	v_fma_f64 v[80:81], v[80:81], v[88:89], v[80:81]
	v_div_scale_f64 v[88:89], vcc_lo, 1.0, v[18:19], 1.0
	v_mul_f64_e32 v[90:91], v[88:89], v[80:81]
	s_delay_alu instid0(VALU_DEP_1) | instskip(SKIP_1) | instid1(VALU_DEP_1)
	v_fma_f64 v[64:65], -v[64:65], v[90:91], v[88:89]
	s_wait_alu 0xfffd
	v_div_fmas_f64 v[64:65], v[64:65], v[80:81], v[90:91]
	v_add_co_u32 v44, vcc_lo, s8, v44
	s_wait_alu 0xfffd
	v_add_co_ci_u32_e64 v45, null, s9, v45, vcc_lo
	v_add_co_u32 v16, vcc_lo, s8, v16
	s_wait_alu 0xfffd
	v_add_co_ci_u32_e64 v17, null, s9, v17, vcc_lo
	v_div_fixup_f64 v[18:19], v[64:65], v[18:19], 1.0
	s_delay_alu instid0(VALU_DEP_1)
	v_mul_f64_e32 v[62:63], v[18:19], v[62:63]
	global_store_b64 v[44:45], v[62:63], off
	global_load_b64 v[44:45], v[78:79], off
	s_wait_loadcnt 0x0
	v_mul_f64_e32 v[18:19], v[18:19], v[44:45]
	global_store_b64 v[16:17], v[18:19], off
	v_lshlrev_b64_e32 v[16:17], 3, v[0:1]
	v_add_nc_u32_e32 v0, s2, v0
	s_delay_alu instid0(VALU_DEP_2) | instskip(SKIP_1) | instid1(VALU_DEP_3)
	v_add_co_u32 v18, vcc_lo, s4, v16
	s_wait_alu 0xfffd
	v_add_co_ci_u32_e64 v19, null, s5, v17, vcc_lo
	s_clause 0x1
	global_load_b64 v[18:19], v[18:19], off
	global_load_b64 v[44:45], v[74:75], off
	v_lshlrev_b64_e32 v[62:63], 3, v[0:1]
	s_wait_loadcnt 0x0
	v_add_f64_e32 v[18:19], v[18:19], v[44:45]
	s_delay_alu instid0(VALU_DEP_2) | instskip(SKIP_1) | instid1(VALU_DEP_3)
	v_add_co_u32 v44, vcc_lo, s4, v62
	s_wait_alu 0xfffd
	v_add_co_ci_u32_e64 v45, null, s5, v63, vcc_lo
	global_load_b64 v[44:45], v[44:45], off
	s_wait_loadcnt 0x0
	v_add_f64_e32 v[18:19], v[18:19], v[44:45]
	global_load_b64 v[44:45], v[72:73], off
	s_wait_loadcnt 0x0
	v_add_f64_e32 v[18:19], v[18:19], v[44:45]
	v_mad_co_u64_u32 v[44:45], null, s1, -10, v[0:1]
	v_mov_b32_e32 v45, v1
	s_delay_alu instid0(VALU_DEP_1) | instskip(SKIP_2) | instid1(VALU_DEP_2)
	v_lshlrev_b64_e32 v[64:65], 3, v[44:45]
	s_wait_alu 0xfffe
	v_add_nc_u32_e32 v0, s18, v44
	v_add_co_u32 v72, vcc_lo, s6, v64
	s_wait_alu 0xfffd
	s_delay_alu instid0(VALU_DEP_3)
	v_add_co_ci_u32_e64 v73, null, s7, v65, vcc_lo
	global_load_b64 v[72:73], v[72:73], off
	s_wait_loadcnt 0x0
	v_add_f64_e32 v[18:19], v[18:19], v[72:73]
	v_lshlrev_b64_e32 v[72:73], 3, v[0:1]
	v_add_nc_u32_e32 v0, s10, v0
	s_delay_alu instid0(VALU_DEP_2) | instskip(SKIP_1) | instid1(VALU_DEP_3)
	v_add_co_u32 v44, vcc_lo, s6, v72
	s_wait_alu 0xfffd
	v_add_co_ci_u32_e64 v45, null, s7, v73, vcc_lo
	global_load_b64 v[74:75], v[44:45], off
	s_wait_loadcnt 0x0
	v_add_f64_e32 v[18:19], v[18:19], v[74:75]
	v_lshlrev_b64_e32 v[74:75], 3, v[0:1]
	v_add_nc_u32_e32 v0, s17, v0
	s_delay_alu instid0(VALU_DEP_2) | instskip(SKIP_1) | instid1(VALU_DEP_3)
	v_add_co_u32 v78, vcc_lo, s6, v74
	s_wait_alu 0xfffd
	v_add_co_ci_u32_e64 v79, null, s7, v75, vcc_lo
	global_load_b64 v[78:79], v[78:79], off
	s_wait_loadcnt 0x0
	v_add_f64_e32 v[18:19], v[18:19], v[78:79]
	global_load_b64 v[78:79], v[82:83], off
	s_wait_loadcnt 0x0
	v_add_f64_e32 v[18:19], v[18:19], v[78:79]
	v_lshlrev_b64_e32 v[78:79], 3, v[0:1]
	s_delay_alu instid0(VALU_DEP_1) | instskip(SKIP_1) | instid1(VALU_DEP_2)
	v_add_co_u32 v80, vcc_lo, s6, v78
	s_wait_alu 0xfffd
	v_add_co_ci_u32_e64 v81, null, s7, v79, vcc_lo
	v_add_co_u32 v64, vcc_lo, s4, v64
	s_wait_alu 0xfffd
	v_add_co_ci_u32_e64 v65, null, s5, v65, vcc_lo
	;; [unrolled: 3-line block ×3, first 2 shown]
	global_load_b64 v[64:65], v[64:65], off
	v_add_co_u32 v62, vcc_lo, s6, v62
	global_load_b64 v[16:17], v[16:17], off
	s_wait_alu 0xfffd
	v_add_co_ci_u32_e64 v63, null, s7, v63, vcc_lo
	s_clause 0x1
	global_load_b64 v[80:81], v[80:81], off
	global_load_b64 v[62:63], v[62:63], off
	s_wait_loadcnt 0x2
	v_add_f64_e32 v[16:17], v[64:65], v[16:17]
	s_wait_loadcnt 0x1
	v_add_f64_e32 v[18:19], v[18:19], v[80:81]
	s_wait_loadcnt 0x0
	s_delay_alu instid0(VALU_DEP_2)
	v_add_f64_e32 v[16:17], v[16:17], v[62:63]
	v_add_co_u32 v62, vcc_lo, s4, v74
	s_wait_alu 0xfffd
	v_add_co_ci_u32_e64 v63, null, s5, v75, vcc_lo
	global_load_b64 v[62:63], v[62:63], off
	s_wait_loadcnt 0x0
	v_add_f64_e32 v[16:17], v[16:17], v[62:63]
	v_add_co_u32 v62, vcc_lo, s4, v78
	s_wait_alu 0xfffd
	v_add_co_ci_u32_e64 v63, null, s5, v79, vcc_lo
	global_load_b64 v[62:63], v[62:63], off
	s_wait_loadcnt 0x0
	v_add_f64_e32 v[16:17], v[16:17], v[62:63]
	v_div_scale_f64 v[62:63], null, v[18:19], v[18:19], 1.0
	s_delay_alu instid0(VALU_DEP_1) | instskip(NEXT) | instid1(TRANS32_DEP_1)
	v_rcp_f64_e32 v[64:65], v[62:63]
	v_fma_f64 v[74:75], -v[62:63], v[64:65], 1.0
	s_delay_alu instid0(VALU_DEP_1) | instskip(NEXT) | instid1(VALU_DEP_1)
	v_fma_f64 v[64:65], v[64:65], v[74:75], v[64:65]
	v_fma_f64 v[74:75], -v[62:63], v[64:65], 1.0
	s_delay_alu instid0(VALU_DEP_1) | instskip(SKIP_1) | instid1(VALU_DEP_1)
	v_fma_f64 v[64:65], v[64:65], v[74:75], v[64:65]
	v_div_scale_f64 v[74:75], vcc_lo, 1.0, v[18:19], 1.0
	v_mul_f64_e32 v[78:79], v[74:75], v[64:65]
	s_delay_alu instid0(VALU_DEP_1) | instskip(SKIP_1) | instid1(VALU_DEP_1)
	v_fma_f64 v[62:63], -v[62:63], v[78:79], v[74:75]
	s_wait_alu 0xfffd
	v_div_fmas_f64 v[62:63], v[62:63], v[64:65], v[78:79]
	s_delay_alu instid0(VALU_DEP_1)
	v_div_fixup_f64 v[18:19], v[62:63], v[18:19], 1.0
	v_add_co_u32 v62, vcc_lo, s8, v70
	s_wait_alu 0xfffd
	v_add_co_ci_u32_e64 v63, null, s9, v71, vcc_lo
	v_add_co_u32 v48, vcc_lo, s8, v48
	s_wait_alu 0xfffd
	v_add_co_ci_u32_e64 v49, null, s9, v49, vcc_lo
	v_mul_f64_e32 v[16:17], v[18:19], v[16:17]
	global_store_b64 v[62:63], v[16:17], off
	s_clause 0x3
	global_load_b64 v[16:17], v[56:57], off
	global_load_b64 v[56:57], v[58:59], off
	;; [unrolled: 1-line block ×4, first 2 shown]
	s_clause 0x1
	global_load_b64 v[22:23], v[22:23], off
	global_load_b64 v[40:41], v[40:41], off
	s_wait_loadcnt 0x4
	v_add_f64_e32 v[16:17], v[16:17], v[56:57]
	s_delay_alu instid0(VALU_DEP_1)
	v_mul_f64_e32 v[16:17], v[18:19], v[16:17]
	global_store_b64 v[48:49], v[16:17], off
	global_load_b64 v[16:17], v[76:77], off
	v_add_co_u32 v48, vcc_lo, s8, v50
	s_wait_alu 0xfffd
	v_add_co_ci_u32_e64 v49, null, s9, v51, vcc_lo
	s_wait_loadcnt 0x0
	v_mul_f64_e32 v[16:17], v[18:19], v[16:17]
	global_store_b64 v[48:49], v[16:17], off
	v_add_co_u32 v16, vcc_lo, s4, v72
	s_wait_alu 0xfffd
	v_add_co_ci_u32_e64 v17, null, s5, v73, vcc_lo
	v_add_co_u32 v48, vcc_lo, s8, v86
	s_wait_alu 0xfffd
	v_add_co_ci_u32_e64 v49, null, s9, v87, vcc_lo
	global_load_b64 v[16:17], v[16:17], off
	s_wait_loadcnt 0x0
	v_mul_f64_e32 v[18:19], v[18:19], v[16:17]
	global_store_b64 v[48:49], v[18:19], off
	v_mad_co_u64_u32 v[18:19], null, 0xffffffb9, s1, v[0:1]
	s_delay_alu instid0(VALU_DEP_1) | instskip(NEXT) | instid1(VALU_DEP_1)
	v_dual_mov_b32 v19, v1 :: v_dual_add_nc_u32 v0, s16, v18
	v_lshlrev_b64_e32 v[56:57], 3, v[18:19]
	s_delay_alu instid0(VALU_DEP_2) | instskip(SKIP_1) | instid1(VALU_DEP_3)
	v_lshlrev_b64_e32 v[58:59], 3, v[0:1]
	v_add_nc_u32_e32 v0, s1, v0
	v_add_co_u32 v48, vcc_lo, s4, v56
	s_wait_alu 0xfffd
	s_delay_alu instid0(VALU_DEP_4) | instskip(NEXT) | instid1(VALU_DEP_4)
	v_add_co_ci_u32_e64 v49, null, s5, v57, vcc_lo
	v_add_co_u32 v18, vcc_lo, s4, v58
	s_wait_alu 0xfffd
	v_add_co_ci_u32_e64 v19, null, s5, v59, vcc_lo
	global_load_b64 v[48:49], v[48:49], off
	v_lshlrev_b64_e32 v[62:63], 3, v[0:1]
	v_add_nc_u32_e32 v0, s2, v0
	global_load_b64 v[18:19], v[18:19], off
	v_lshlrev_b64_e32 v[64:65], 3, v[0:1]
	v_add_nc_u32_e32 v0, s1, v0
	s_delay_alu instid0(VALU_DEP_1) | instskip(SKIP_1) | instid1(VALU_DEP_1)
	v_lshlrev_b64_e32 v[70:71], 3, v[0:1]
	v_add_nc_u32_e32 v0, s1, v0
	v_lshlrev_b64_e32 v[72:73], 3, v[0:1]
	v_add_nc_u32_e32 v0, s1, v0
	s_delay_alu instid0(VALU_DEP_1)
	v_lshlrev_b64_e32 v[74:75], 3, v[0:1]
	v_add_nc_u32_e32 v0, s1, v0
	s_wait_loadcnt 0x0
	v_add_f64_e32 v[18:19], v[48:49], v[18:19]
	v_add_co_u32 v48, vcc_lo, s4, v62
	s_wait_alu 0xfffd
	v_add_co_ci_u32_e64 v49, null, s5, v63, vcc_lo
	global_load_b64 v[48:49], v[48:49], off
	s_wait_loadcnt 0x0
	v_add_f64_e32 v[18:19], v[18:19], v[48:49]
	v_lshlrev_b64_e32 v[48:49], 3, v[0:1]
	v_add_nc_u32_e32 v0, s2, v0
	s_delay_alu instid0(VALU_DEP_3)
	v_add_f64_e32 v[16:17], v[18:19], v[16:17]
	v_add_co_u32 v18, vcc_lo, s4, v64
	s_wait_alu 0xfffd
	v_add_co_ci_u32_e64 v19, null, s5, v65, vcc_lo
	global_load_b64 v[18:19], v[18:19], off
	s_wait_loadcnt 0x0
	v_add_f64_e32 v[16:17], v[16:17], v[18:19]
	v_add_co_u32 v18, vcc_lo, s4, v70
	s_wait_alu 0xfffd
	v_add_co_ci_u32_e64 v19, null, s5, v71, vcc_lo
	global_load_b64 v[18:19], v[18:19], off
	s_wait_loadcnt 0x0
	;; [unrolled: 6-line block ×5, first 2 shown]
	v_add_f64_e32 v[16:17], v[16:17], v[50:51]
	global_load_b64 v[50:51], v[68:69], off
	s_wait_loadcnt 0x0
	v_add_f64_e32 v[68:69], v[16:17], v[50:51]
	v_lshlrev_b64_e32 v[50:51], 3, v[0:1]
	v_add_nc_u32_e32 v0, s1, v0
	s_delay_alu instid0(VALU_DEP_2) | instskip(SKIP_1) | instid1(VALU_DEP_3)
	v_add_co_u32 v16, vcc_lo, s4, v50
	s_wait_alu 0xfffd
	v_add_co_ci_u32_e64 v17, null, s5, v51, vcc_lo
	global_load_b64 v[76:77], v[16:17], off
	s_wait_loadcnt 0x0
	v_add_f64_e32 v[68:69], v[68:69], v[76:77]
	v_lshlrev_b64_e32 v[76:77], 3, v[0:1]
	v_add_nc_u32_e32 v0, s2, v0
	s_delay_alu instid0(VALU_DEP_2) | instskip(SKIP_1) | instid1(VALU_DEP_3)
	v_add_co_u32 v78, vcc_lo, s4, v76
	s_wait_alu 0xfffd
	v_add_co_ci_u32_e64 v79, null, s5, v77, vcc_lo
	;; [unrolled: 9-line block ×5, first 2 shown]
	global_load_b64 v[86:87], v[86:87], off
	s_wait_loadcnt 0x0
	v_add_f64_e32 v[68:69], v[68:69], v[86:87]
	s_delay_alu instid0(VALU_DEP_1) | instskip(NEXT) | instid1(VALU_DEP_1)
	v_add_f64_e32 v[52:53], v[68:69], v[52:53]
	v_add_f64_e32 v[52:53], v[52:53], v[60:61]
	global_load_b64 v[60:61], v[66:67], off
	s_wait_loadcnt 0x0
	v_add_f64_e32 v[52:53], v[52:53], v[60:61]
	v_lshlrev_b64_e32 v[60:61], 3, v[0:1]
	v_add_nc_u32_e32 v0, s1, v0
	s_delay_alu instid0(VALU_DEP_2) | instskip(SKIP_1) | instid1(VALU_DEP_3)
	v_add_co_u32 v66, vcc_lo, s6, v60
	s_wait_alu 0xfffd
	v_add_co_ci_u32_e64 v67, null, s7, v61, vcc_lo
	global_load_b64 v[66:67], v[66:67], off
	s_wait_loadcnt 0x0
	v_add_f64_e32 v[52:53], v[52:53], v[66:67]
	v_lshlrev_b64_e32 v[66:67], 3, v[0:1]
	v_add_nc_u32_e32 v0, s12, v0
	s_delay_alu instid0(VALU_DEP_2) | instskip(SKIP_1) | instid1(VALU_DEP_3)
	v_add_co_u32 v68, vcc_lo, s6, v66
	s_wait_alu 0xfffd
	v_add_co_ci_u32_e64 v69, null, s7, v67, vcc_lo
	;; [unrolled: 9-line block ×5, first 2 shown]
	global_load_b64 v[90:91], v[90:91], off
	s_wait_loadcnt 0x0
	v_add_f64_e32 v[52:53], v[52:53], v[90:91]
	v_lshlrev_b64_e32 v[90:91], 3, v[0:1]
	s_delay_alu instid0(VALU_DEP_1) | instskip(SKIP_1) | instid1(VALU_DEP_2)
	v_add_co_u32 v92, vcc_lo, s6, v90
	s_wait_alu 0xfffd
	v_add_co_ci_u32_e64 v93, null, s7, v91, vcc_lo
	v_add_co_u32 v56, vcc_lo, s6, v56
	s_wait_alu 0xfffd
	v_add_co_ci_u32_e64 v57, null, s7, v57, vcc_lo
	;; [unrolled: 3-line block ×3, first 2 shown]
	s_clause 0x2
	global_load_b64 v[56:57], v[56:57], off
	global_load_b64 v[92:93], v[92:93], off
	;; [unrolled: 1-line block ×3, first 2 shown]
	s_wait_loadcnt 0x0
	v_add_f64_e32 v[56:57], v[56:57], v[58:59]
	v_add_co_u32 v58, vcc_lo, s6, v62
	s_wait_alu 0xfffd
	v_add_co_ci_u32_e64 v59, null, s7, v63, vcc_lo
	global_load_b64 v[58:59], v[58:59], off
	s_wait_loadcnt 0x0
	v_add_f64_e32 v[56:57], v[56:57], v[58:59]
	v_add_co_u32 v58, vcc_lo, s6, v64
	s_wait_alu 0xfffd
	v_add_co_ci_u32_e64 v59, null, s7, v65, vcc_lo
	global_load_b64 v[58:59], v[58:59], off
	;; [unrolled: 6-line block ×6, first 2 shown]
	s_wait_loadcnt 0x0
	v_add_f64_e32 v[56:57], v[56:57], v[58:59]
	global_load_b64 v[58:59], v[84:85], off
	s_wait_loadcnt 0x0
	v_add_f64_e32 v[56:57], v[56:57], v[58:59]
	v_add_co_u32 v58, vcc_lo, s6, v78
	s_wait_alu 0xfffd
	v_add_co_ci_u32_e64 v59, null, s7, v79, vcc_lo
	global_load_b64 v[58:59], v[58:59], off
	s_wait_loadcnt 0x0
	v_add_f64_e32 v[56:57], v[56:57], v[58:59]
	v_add_co_u32 v58, vcc_lo, s6, v80
	s_wait_alu 0xfffd
	v_add_co_ci_u32_e64 v59, null, s7, v81, vcc_lo
	;; [unrolled: 6-line block ×9, first 2 shown]
	v_add_co_u32 v46, vcc_lo, s6, v46
	s_wait_alu 0xfffd
	v_add_co_ci_u32_e64 v47, null, s7, v47, vcc_lo
	global_load_b64 v[58:59], v[58:59], off
	s_wait_loadcnt 0x0
	v_add_f64_e32 v[56:57], v[56:57], v[58:59]
	global_load_b64 v[58:59], v[46:47], off
	v_add_f64_e32 v[52:53], v[52:53], v[92:93]
	s_wait_loadcnt 0x0
	v_add_f64_e32 v[56:57], v[56:57], v[58:59]
	s_delay_alu instid0(VALU_DEP_2) | instskip(NEXT) | instid1(VALU_DEP_1)
	v_div_scale_f64 v[58:59], null, v[52:53], v[52:53], 1.0
	v_rcp_f64_e32 v[60:61], v[58:59]
	s_delay_alu instid0(TRANS32_DEP_1) | instskip(NEXT) | instid1(VALU_DEP_1)
	v_fma_f64 v[62:63], -v[58:59], v[60:61], 1.0
	v_fma_f64 v[60:61], v[60:61], v[62:63], v[60:61]
	s_delay_alu instid0(VALU_DEP_1) | instskip(NEXT) | instid1(VALU_DEP_1)
	v_fma_f64 v[62:63], -v[58:59], v[60:61], 1.0
	v_fma_f64 v[60:61], v[60:61], v[62:63], v[60:61]
	v_div_scale_f64 v[62:63], vcc_lo, 1.0, v[52:53], 1.0
	s_delay_alu instid0(VALU_DEP_1) | instskip(NEXT) | instid1(VALU_DEP_1)
	v_mul_f64_e32 v[64:65], v[62:63], v[60:61]
	v_fma_f64 v[58:59], -v[58:59], v[64:65], v[62:63]
	s_wait_alu 0xfffd
	s_delay_alu instid0(VALU_DEP_1) | instskip(SKIP_3) | instid1(VALU_DEP_3)
	v_div_fmas_f64 v[58:59], v[58:59], v[60:61], v[64:65]
	v_add_co_u32 v54, vcc_lo, s8, v54
	s_wait_alu 0xfffd
	v_add_co_ci_u32_e64 v55, null, s9, v55, vcc_lo
	v_div_fixup_f64 v[52:53], v[58:59], v[52:53], 1.0
	s_delay_alu instid0(VALU_DEP_1) | instskip(SKIP_4) | instid1(VALU_DEP_1)
	v_mul_f64_e32 v[56:57], v[52:53], v[56:57]
	v_mul_f64_e32 v[22:23], v[52:53], v[22:23]
	global_store_b64 v[54:55], v[56:57], off
	v_mul_f64_e32 v[54:55], v[52:53], v[40:41]
	v_mad_co_u64_u32 v[40:41], null, 0xffffff92, s1, v[0:1]
	v_dual_mov_b32 v41, v1 :: v_dual_add_nc_u32 v0, s1, v40
	s_delay_alu instid0(VALU_DEP_1) | instskip(NEXT) | instid1(VALU_DEP_2)
	v_lshlrev_b64_e32 v[56:57], 3, v[40:41]
	v_lshlrev_b64_e32 v[40:41], 3, v[0:1]
	v_add_nc_u32_e32 v0, s13, v0
	s_delay_alu instid0(VALU_DEP_3) | instskip(SKIP_1) | instid1(VALU_DEP_4)
	v_add_co_u32 v56, vcc_lo, s8, v56
	s_wait_alu 0xfffd
	v_add_co_ci_u32_e64 v57, null, s9, v57, vcc_lo
	s_delay_alu instid0(VALU_DEP_4)
	v_add_co_u32 v40, vcc_lo, s8, v40
	s_wait_alu 0xfffd
	v_add_co_ci_u32_e64 v41, null, s9, v41, vcc_lo
	v_add_co_u32 v28, vcc_lo, s8, v28
	s_wait_alu 0xfffd
	v_add_co_ci_u32_e64 v29, null, s9, v29, vcc_lo
	s_clause 0x1
	global_store_b64 v[56:57], v[54:55], off
	global_store_b64 v[40:41], v[22:23], off
	global_load_b64 v[22:23], v[36:37], off
	s_clause 0x1
	global_load_b64 v[36:37], v[38:39], off
	global_load_b64 v[4:5], v[4:5], off
	s_clause 0x2
	global_load_b64 v[14:15], v[14:15], off
	global_load_b64 v[10:11], v[10:11], off
	;; [unrolled: 1-line block ×5, first 2 shown]
	s_wait_loadcnt 0x6
	v_add_f64_e32 v[22:23], v[22:23], v[36:37]
	s_delay_alu instid0(VALU_DEP_1) | instskip(SKIP_4) | instid1(VALU_DEP_2)
	v_mul_f64_e32 v[22:23], v[52:53], v[22:23]
	global_store_b64 v[28:29], v[22:23], off
	global_load_b64 v[22:23], v[44:45], off
	v_lshlrev_b64_e32 v[28:29], 3, v[0:1]
	v_add_nc_u32_e32 v0, s12, v0
	v_add_co_u32 v28, vcc_lo, s8, v28
	s_wait_alu 0xfffd
	s_delay_alu instid0(VALU_DEP_3)
	v_add_co_ci_u32_e64 v29, null, s9, v29, vcc_lo
	v_add_co_u32 v36, vcc_lo, s6, v48
	s_wait_alu 0xfffd
	v_add_co_ci_u32_e64 v37, null, s7, v49, vcc_lo
	v_add_co_u32 v38, vcc_lo, s6, v50
	s_wait_alu 0xfffd
	v_add_co_ci_u32_e64 v39, null, s7, v51, vcc_lo
	s_wait_loadcnt 0x0
	v_mul_f64_e32 v[22:23], v[52:53], v[22:23]
	global_store_b64 v[28:29], v[22:23], off
	s_clause 0x3
	global_load_b64 v[22:23], v[36:37], off
	global_load_b64 v[28:29], v[38:39], off
	;; [unrolled: 1-line block ×4, first 2 shown]
	s_wait_loadcnt 0x2
	v_add_f64_e32 v[22:23], v[22:23], v[28:29]
	v_lshlrev_b64_e32 v[28:29], 3, v[0:1]
	s_delay_alu instid0(VALU_DEP_1) | instskip(SKIP_1) | instid1(VALU_DEP_2)
	v_add_co_u32 v28, vcc_lo, s8, v28
	s_wait_alu 0xfffd
	v_add_co_ci_u32_e64 v29, null, s9, v29, vcc_lo
	s_delay_alu instid0(VALU_DEP_4) | instskip(SKIP_2) | instid1(VALU_DEP_1)
	v_mul_f64_e32 v[22:23], v[52:53], v[22:23]
	global_store_b64 v[28:29], v[22:23], off
	v_mad_co_u64_u32 v[22:23], null, 0x54, s1, v[0:1]
	v_dual_mov_b32 v23, v1 :: v_dual_add_nc_u32 v0, s1, v22
	s_delay_alu instid0(VALU_DEP_1) | instskip(NEXT) | instid1(VALU_DEP_2)
	v_lshlrev_b64_e32 v[48:49], 3, v[22:23]
	v_lshlrev_b64_e32 v[50:51], 3, v[0:1]
	v_add_nc_u32_e32 v0, s1, v0
	s_delay_alu instid0(VALU_DEP_3) | instskip(SKIP_1) | instid1(VALU_DEP_4)
	v_add_co_u32 v28, vcc_lo, s4, v48
	s_wait_alu 0xfffd
	v_add_co_ci_u32_e64 v29, null, s5, v49, vcc_lo
	s_delay_alu instid0(VALU_DEP_4)
	v_add_co_u32 v22, vcc_lo, s4, v50
	s_wait_alu 0xfffd
	v_add_co_ci_u32_e64 v23, null, s5, v51, vcc_lo
	global_load_b64 v[28:29], v[28:29], off
	v_lshlrev_b64_e32 v[52:53], 3, v[0:1]
	v_add_nc_u32_e32 v0, s1, v0
	global_load_b64 v[22:23], v[22:23], off
	v_lshlrev_b64_e32 v[54:55], 3, v[0:1]
	v_add_nc_u32_e32 v0, s1, v0
	s_delay_alu instid0(VALU_DEP_1) | instskip(SKIP_1) | instid1(VALU_DEP_1)
	v_lshlrev_b64_e32 v[56:57], 3, v[0:1]
	v_add_nc_u32_e32 v0, s1, v0
	v_lshlrev_b64_e32 v[58:59], 3, v[0:1]
	v_add_nc_u32_e32 v0, s1, v0
	s_delay_alu instid0(VALU_DEP_1) | instskip(SKIP_1) | instid1(VALU_DEP_1)
	v_lshlrev_b64_e32 v[60:61], 3, v[0:1]
	v_add_nc_u32_e32 v0, s1, v0
	v_lshlrev_b64_e32 v[62:63], 3, v[0:1]
	v_add_nc_u32_e32 v0, s1, v0
	s_delay_alu instid0(VALU_DEP_1)
	v_lshlrev_b64_e32 v[64:65], 3, v[0:1]
	s_wait_loadcnt 0x0
	v_add_f64_e32 v[22:23], v[28:29], v[22:23]
	v_add_co_u32 v28, vcc_lo, s4, v52
	s_wait_alu 0xfffd
	v_add_co_ci_u32_e64 v29, null, s5, v53, vcc_lo
	global_load_b64 v[28:29], v[28:29], off
	s_wait_loadcnt 0x0
	v_add_f64_e32 v[22:23], v[22:23], v[28:29]
	v_add_co_u32 v28, vcc_lo, s4, v54
	s_wait_alu 0xfffd
	v_add_co_ci_u32_e64 v29, null, s5, v55, vcc_lo
	global_load_b64 v[28:29], v[28:29], off
	;; [unrolled: 6-line block ×7, first 2 shown]
	s_wait_loadcnt 0x0
	v_add_f64_e32 v[22:23], v[22:23], v[28:29]
	v_mad_co_u64_u32 v[28:29], null, 0xffffffac, s1, v[0:1]
	v_mov_b32_e32 v29, v1
	s_delay_alu instid0(VALU_DEP_1) | instskip(SKIP_2) | instid1(VALU_DEP_3)
	v_lshlrev_b64_e32 v[66:67], 3, v[28:29]
	v_mad_co_u64_u32 v[28:29], null, s1, 62, v[28:29]
	v_mov_b32_e32 v29, v1
	v_add_co_u32 v40, vcc_lo, s6, v66
	s_wait_alu 0xfffd
	s_delay_alu instid0(VALU_DEP_4) | instskip(NEXT) | instid1(VALU_DEP_3)
	v_add_co_ci_u32_e64 v41, null, s7, v67, vcc_lo
	v_lshlrev_b64_e32 v[68:69], 3, v[28:29]
	v_mad_co_u64_u32 v[28:29], null, s1, 24, v[28:29]
	global_load_b64 v[40:41], v[40:41], off
	v_mov_b32_e32 v29, v1
	s_delay_alu instid0(VALU_DEP_1) | instskip(SKIP_1) | instid1(VALU_DEP_1)
	v_lshlrev_b64_e32 v[70:71], 3, v[28:29]
	v_add_nc_u32_e32 v0, s1, v28
	v_lshlrev_b64_e32 v[72:73], 3, v[0:1]
	v_add_nc_u32_e32 v0, s1, v0
	s_delay_alu instid0(VALU_DEP_1) | instskip(SKIP_1) | instid1(VALU_DEP_1)
	v_lshlrev_b64_e32 v[74:75], 3, v[0:1]
	v_add_nc_u32_e32 v0, s2, v0
	v_lshlrev_b64_e32 v[76:77], 3, v[0:1]
	v_add_nc_u32_e32 v0, s11, v0
	s_wait_loadcnt 0x0
	v_add_f64_e32 v[22:23], v[22:23], v[40:41]
	v_add_co_u32 v40, vcc_lo, s6, v68
	s_wait_alu 0xfffd
	v_add_co_ci_u32_e64 v41, null, s7, v69, vcc_lo
	global_load_b64 v[40:41], v[40:41], off
	s_wait_loadcnt 0x0
	v_add_f64_e32 v[22:23], v[22:23], v[40:41]
	global_load_b64 v[40:41], v[42:43], off
	s_wait_loadcnt 0x0
	v_add_f64_e32 v[22:23], v[22:23], v[40:41]
	v_add_co_u32 v40, vcc_lo, s6, v70
	s_wait_alu 0xfffd
	v_add_co_ci_u32_e64 v41, null, s7, v71, vcc_lo
	v_add_co_u32 v28, vcc_lo, s6, v72
	s_wait_alu 0xfffd
	v_add_co_ci_u32_e64 v29, null, s7, v73, vcc_lo
	s_clause 0x1
	global_load_b64 v[40:41], v[40:41], off
	global_load_b64 v[28:29], v[28:29], off
	s_wait_loadcnt 0x1
	v_add_f64_e32 v[22:23], v[22:23], v[40:41]
	v_lshlrev_b64_e32 v[40:41], 3, v[0:1]
	v_add_nc_u32_e32 v0, s2, v0
	s_delay_alu instid0(VALU_DEP_1)
	v_lshlrev_b64_e32 v[42:43], 3, v[0:1]
	v_add_nc_u32_e32 v0, s12, v0
	s_wait_loadcnt 0x0
	v_add_f64_e32 v[22:23], v[22:23], v[28:29]
	v_add_co_u32 v28, vcc_lo, s6, v74
	s_wait_alu 0xfffd
	v_add_co_ci_u32_e64 v29, null, s7, v75, vcc_lo
	global_load_b64 v[28:29], v[28:29], off
	s_wait_loadcnt 0x0
	v_add_f64_e32 v[22:23], v[22:23], v[28:29]
	global_load_b64 v[28:29], v[30:31], off
	s_wait_loadcnt 0x0
	v_add_f64_e32 v[22:23], v[22:23], v[28:29]
	v_add_co_u32 v28, vcc_lo, s6, v76
	s_wait_alu 0xfffd
	v_add_co_ci_u32_e64 v29, null, s7, v77, vcc_lo
	global_load_b64 v[28:29], v[28:29], off
	s_wait_loadcnt 0x0
	v_add_f64_e32 v[22:23], v[22:23], v[28:29]
	v_add_co_u32 v28, vcc_lo, s6, v40
	s_wait_alu 0xfffd
	v_add_co_ci_u32_e64 v29, null, s7, v41, vcc_lo
	;; [unrolled: 6-line block ×3, first 2 shown]
	global_load_b64 v[44:45], v[30:31], off
	s_wait_loadcnt 0x0
	v_add_f64_e32 v[78:79], v[22:23], v[44:45]
	v_lshlrev_b64_e32 v[44:45], 3, v[0:1]
	v_add_nc_u32_e32 v0, s3, v0
	s_delay_alu instid0(VALU_DEP_2) | instskip(SKIP_1) | instid1(VALU_DEP_3)
	v_add_co_u32 v22, vcc_lo, s6, v44
	s_wait_alu 0xfffd
	v_add_co_ci_u32_e64 v23, null, s7, v45, vcc_lo
	v_add_co_u32 v66, vcc_lo, s4, v66
	s_wait_alu 0xfffd
	v_add_co_ci_u32_e64 v67, null, s5, v67, vcc_lo
	;; [unrolled: 3-line block ×3, first 2 shown]
	global_load_b64 v[66:67], v[66:67], off
	v_add_co_u32 v48, vcc_lo, s6, v48
	global_load_b64 v[68:69], v[68:69], off
	s_wait_alu 0xfffd
	v_add_co_ci_u32_e64 v49, null, s7, v49, vcc_lo
	v_add_co_u32 v50, vcc_lo, s6, v50
	s_wait_alu 0xfffd
	v_add_co_ci_u32_e64 v51, null, s7, v51, vcc_lo
	s_clause 0x2
	global_load_b64 v[48:49], v[48:49], off
	global_load_b64 v[80:81], v[22:23], off
	;; [unrolled: 1-line block ×3, first 2 shown]
	s_wait_loadcnt 0x3
	v_add_f64_e32 v[66:67], v[66:67], v[68:69]
	s_wait_loadcnt 0x1
	v_add_f64_e32 v[78:79], v[78:79], v[80:81]
	s_delay_alu instid0(VALU_DEP_2) | instskip(SKIP_1) | instid1(VALU_DEP_1)
	v_add_f64_e32 v[48:49], v[66:67], v[48:49]
	s_wait_loadcnt 0x0
	v_add_f64_e32 v[48:49], v[48:49], v[50:51]
	v_add_co_u32 v50, vcc_lo, s6, v52
	s_wait_alu 0xfffd
	v_add_co_ci_u32_e64 v51, null, s7, v53, vcc_lo
	global_load_b64 v[50:51], v[50:51], off
	s_wait_loadcnt 0x0
	v_add_f64_e32 v[48:49], v[48:49], v[50:51]
	v_add_co_u32 v50, vcc_lo, s6, v54
	s_wait_alu 0xfffd
	v_add_co_ci_u32_e64 v51, null, s7, v55, vcc_lo
	global_load_b64 v[50:51], v[50:51], off
	;; [unrolled: 6-line block ×7, first 2 shown]
	s_wait_loadcnt 0x0
	v_add_f64_e32 v[48:49], v[48:49], v[50:51]
	s_delay_alu instid0(VALU_DEP_1)
	v_add_f64_e32 v[34:35], v[48:49], v[34:35]
	v_add_co_u32 v48, vcc_lo, s4, v70
	s_wait_alu 0xfffd
	v_add_co_ci_u32_e64 v49, null, s5, v71, vcc_lo
	global_load_b64 v[48:49], v[48:49], off
	s_wait_loadcnt 0x0
	v_add_f64_e32 v[34:35], v[34:35], v[48:49]
	v_add_co_u32 v48, vcc_lo, s4, v72
	s_wait_alu 0xfffd
	v_add_co_ci_u32_e64 v49, null, s5, v73, vcc_lo
	global_load_b64 v[48:49], v[48:49], off
	s_wait_loadcnt 0x0
	;; [unrolled: 6-line block ×4, first 2 shown]
	v_add_f64_e32 v[34:35], v[34:35], v[48:49]
	s_delay_alu instid0(VALU_DEP_1) | instskip(SKIP_4) | instid1(VALU_DEP_1)
	v_add_f64_e32 v[32:33], v[34:35], v[32:33]
	global_load_b64 v[34:35], v[46:47], off
	s_wait_loadcnt 0x0
	v_add_f64_e32 v[34:35], v[32:33], v[34:35]
	v_div_scale_f64 v[32:33], null, v[78:79], v[78:79], 1.0
	v_rcp_f64_e32 v[46:47], v[32:33]
	s_delay_alu instid0(TRANS32_DEP_1) | instskip(NEXT) | instid1(VALU_DEP_1)
	v_fma_f64 v[48:49], -v[32:33], v[46:47], 1.0
	v_fma_f64 v[46:47], v[46:47], v[48:49], v[46:47]
	s_delay_alu instid0(VALU_DEP_1) | instskip(NEXT) | instid1(VALU_DEP_1)
	v_fma_f64 v[48:49], -v[32:33], v[46:47], 1.0
	v_fma_f64 v[46:47], v[46:47], v[48:49], v[46:47]
	v_div_scale_f64 v[48:49], vcc_lo, 1.0, v[78:79], 1.0
	s_delay_alu instid0(VALU_DEP_1) | instskip(NEXT) | instid1(VALU_DEP_1)
	v_mul_f64_e32 v[50:51], v[48:49], v[46:47]
	v_fma_f64 v[32:33], -v[32:33], v[50:51], v[48:49]
	s_wait_alu 0xfffd
	s_delay_alu instid0(VALU_DEP_1)
	v_div_fmas_f64 v[32:33], v[32:33], v[46:47], v[50:51]
	v_add_co_u32 v26, vcc_lo, s8, v26
	s_wait_alu 0xfffd
	v_add_co_ci_u32_e64 v27, null, s9, v27, vcc_lo
	v_add_co_u32 v12, vcc_lo, s8, v12
	s_wait_alu 0xfffd
	v_add_co_ci_u32_e64 v13, null, s9, v13, vcc_lo
	;; [unrolled: 3-line block ×3, first 2 shown]
	v_div_fixup_f64 v[32:33], v[32:33], v[78:79], 1.0
	s_delay_alu instid0(VALU_DEP_1)
	v_mul_f64_e32 v[34:35], v[32:33], v[34:35]
	v_mul_f64_e32 v[14:15], v[32:33], v[14:15]
	;; [unrolled: 1-line block ×3, first 2 shown]
	s_clause 0x2
	global_store_b64 v[26:27], v[34:35], off
	global_store_b64 v[12:13], v[14:15], off
	;; [unrolled: 1-line block ×3, first 2 shown]
	v_add_co_u32 v6, vcc_lo, s4, v40
	s_wait_alu 0xfffd
	v_add_co_ci_u32_e64 v7, null, s5, v41, vcc_lo
	v_add_co_u32 v12, vcc_lo, s4, v42
	s_wait_alu 0xfffd
	v_add_co_ci_u32_e64 v13, null, s5, v43, vcc_lo
	s_clause 0x1
	global_load_b64 v[10:11], v[6:7], off
	global_load_b64 v[6:7], v[12:13], off
	s_wait_loadcnt 0x0
	v_add_f64_e32 v[14:15], v[10:11], v[6:7]
	v_add_co_u32 v6, vcc_lo, s4, v44
	s_wait_alu 0xfffd
	v_add_co_ci_u32_e64 v7, null, s5, v45, vcc_lo
	v_add_co_u32 v8, vcc_lo, s8, v8
	s_wait_alu 0xfffd
	v_add_co_ci_u32_e64 v9, null, s9, v9, vcc_lo
	global_load_b64 v[26:27], v[6:7], off
	s_wait_loadcnt 0x0
	v_add_f64_e32 v[14:15], v[14:15], v[26:27]
	s_delay_alu instid0(VALU_DEP_1) | instskip(SKIP_3) | instid1(VALU_DEP_1)
	v_mul_f64_e32 v[14:15], v[32:33], v[14:15]
	global_store_b64 v[8:9], v[14:15], off
	v_lshlrev_b64_e32 v[8:9], 3, v[0:1]
	v_add_nc_u32_e32 v0, s1, v0
	v_lshlrev_b64_e32 v[26:27], 3, v[0:1]
	s_delay_alu instid0(VALU_DEP_3) | instskip(SKIP_1) | instid1(VALU_DEP_4)
	v_add_co_u32 v14, vcc_lo, s4, v8
	s_wait_alu 0xfffd
	v_add_co_ci_u32_e64 v15, null, s5, v9, vcc_lo
	v_add_nc_u32_e32 v0, s2, v0
	s_delay_alu instid0(VALU_DEP_4)
	v_add_co_u32 v32, vcc_lo, s4, v26
	s_wait_alu 0xfffd
	v_add_co_ci_u32_e64 v33, null, s5, v27, vcc_lo
	s_clause 0x1
	global_load_b64 v[14:15], v[14:15], off
	global_load_b64 v[32:33], v[32:33], off
	s_wait_loadcnt 0x0
	v_add_f64_e32 v[14:15], v[14:15], v[32:33]
	s_delay_alu instid0(VALU_DEP_1) | instskip(SKIP_2) | instid1(VALU_DEP_2)
	v_add_f64_e32 v[14:15], v[14:15], v[24:25]
	v_lshlrev_b64_e32 v[24:25], 3, v[0:1]
	v_add_nc_u32_e32 v0, s1, v0
	v_add_co_u32 v32, vcc_lo, s4, v24
	s_wait_alu 0xfffd
	s_delay_alu instid0(VALU_DEP_3)
	v_add_co_ci_u32_e64 v33, null, s5, v25, vcc_lo
	global_load_b64 v[32:33], v[32:33], off
	s_wait_loadcnt 0x0
	v_add_f64_e32 v[14:15], v[14:15], v[32:33]
	v_lshlrev_b64_e32 v[32:33], 3, v[0:1]
	v_add_nc_u32_e32 v0, s1, v0
	s_delay_alu instid0(VALU_DEP_2) | instskip(SKIP_1) | instid1(VALU_DEP_3)
	v_add_co_u32 v34, vcc_lo, s4, v32
	s_wait_alu 0xfffd
	v_add_co_ci_u32_e64 v35, null, s5, v33, vcc_lo
	global_load_b64 v[34:35], v[34:35], off
	s_wait_loadcnt 0x0
	v_add_f64_e32 v[14:15], v[14:15], v[34:35]
	v_lshlrev_b64_e32 v[34:35], 3, v[0:1]
	v_add_nc_u32_e32 v0, s1, v0
	s_delay_alu instid0(VALU_DEP_2) | instskip(SKIP_1) | instid1(VALU_DEP_3)
	v_add_co_u32 v40, vcc_lo, s4, v34
	s_wait_alu 0xfffd
	;; [unrolled: 9-line block ×3, first 2 shown]
	v_add_co_ci_u32_e64 v43, null, s5, v41, vcc_lo
	global_load_b64 v[42:43], v[42:43], off
	s_wait_loadcnt 0x0
	v_add_f64_e32 v[14:15], v[14:15], v[42:43]
	v_lshlrev_b64_e32 v[42:43], 3, v[0:1]
	s_delay_alu instid0(VALU_DEP_1) | instskip(SKIP_1) | instid1(VALU_DEP_2)
	v_add_co_u32 v44, vcc_lo, s4, v42
	s_wait_alu 0xfffd
	v_add_co_ci_u32_e64 v45, null, s5, v43, vcc_lo
	global_load_b64 v[44:45], v[44:45], off
	s_wait_loadcnt 0x0
	v_add_f64_e32 v[44:45], v[14:15], v[44:45]
	v_mad_co_u64_u32 v[14:15], null, 0xffffffe4, s1, v[0:1]
	v_mov_b32_e32 v15, v1
	s_delay_alu instid0(VALU_DEP_1) | instskip(NEXT) | instid1(VALU_DEP_1)
	v_lshlrev_b64_e32 v[46:47], 3, v[14:15]
	v_add_co_u32 v48, vcc_lo, s6, v46
	s_wait_alu 0xfffd
	s_delay_alu instid0(VALU_DEP_2) | instskip(SKIP_3) | instid1(VALU_DEP_1)
	v_add_co_ci_u32_e64 v49, null, s7, v47, vcc_lo
	global_load_b64 v[48:49], v[48:49], off
	s_wait_loadcnt 0x0
	v_add_f64_e32 v[44:45], v[44:45], v[48:49]
	v_add_f64_e32 v[36:37], v[44:45], v[36:37]
	s_delay_alu instid0(VALU_DEP_1)
	v_add_f64_e32 v[36:37], v[36:37], v[38:39]
	v_add_co_u32 v38, vcc_lo, s4, v46
	s_wait_alu 0xfffd
	v_add_co_ci_u32_e64 v39, null, s5, v47, vcc_lo
	v_add_co_u32 v8, vcc_lo, s6, v8
	s_wait_alu 0xfffd
	v_add_co_ci_u32_e64 v9, null, s7, v9, vcc_lo
	global_load_b64 v[38:39], v[38:39], off
	v_add_co_u32 v26, vcc_lo, s6, v26
	global_load_b64 v[8:9], v[8:9], off
	s_wait_alu 0xfffd
	v_add_co_ci_u32_e64 v27, null, s7, v27, vcc_lo
	v_add_co_u32 v24, vcc_lo, s6, v24
	s_wait_alu 0xfffd
	v_add_co_ci_u32_e64 v25, null, s7, v25, vcc_lo
	s_clause 0x1
	global_load_b64 v[26:27], v[26:27], off
	global_load_b64 v[24:25], v[24:25], off
	s_wait_loadcnt 0x2
	v_add_f64_e32 v[8:9], v[38:39], v[8:9]
	s_wait_loadcnt 0x1
	s_delay_alu instid0(VALU_DEP_1) | instskip(SKIP_1) | instid1(VALU_DEP_1)
	v_add_f64_e32 v[8:9], v[8:9], v[26:27]
	s_wait_loadcnt 0x0
	v_add_f64_e32 v[8:9], v[8:9], v[24:25]
	v_add_co_u32 v24, vcc_lo, s6, v32
	s_wait_alu 0xfffd
	v_add_co_ci_u32_e64 v25, null, s7, v33, vcc_lo
	global_load_b64 v[24:25], v[24:25], off
	s_wait_loadcnt 0x0
	v_add_f64_e32 v[8:9], v[8:9], v[24:25]
	v_add_co_u32 v24, vcc_lo, s6, v34
	s_wait_alu 0xfffd
	v_add_co_ci_u32_e64 v25, null, s7, v35, vcc_lo
	global_load_b64 v[24:25], v[24:25], off
	s_wait_loadcnt 0x0
	v_add_f64_e32 v[8:9], v[8:9], v[24:25]
	v_add_co_u32 v24, vcc_lo, s6, v40
	s_wait_alu 0xfffd
	v_add_co_ci_u32_e64 v25, null, s7, v41, vcc_lo
	global_load_b64 v[24:25], v[24:25], off
	s_wait_loadcnt 0x0
	v_add_f64_e32 v[8:9], v[8:9], v[24:25]
	v_add_co_u32 v24, vcc_lo, s6, v42
	s_wait_alu 0xfffd
	v_add_co_ci_u32_e64 v25, null, s7, v43, vcc_lo
	global_load_b64 v[24:25], v[24:25], off
	s_wait_loadcnt 0x0
	v_add_f64_e32 v[24:25], v[8:9], v[24:25]
	v_div_scale_f64 v[8:9], null, v[36:37], v[36:37], 1.0
	s_delay_alu instid0(VALU_DEP_1) | instskip(NEXT) | instid1(TRANS32_DEP_1)
	v_rcp_f64_e32 v[26:27], v[8:9]
	v_fma_f64 v[32:33], -v[8:9], v[26:27], 1.0
	s_delay_alu instid0(VALU_DEP_1) | instskip(NEXT) | instid1(VALU_DEP_1)
	v_fma_f64 v[26:27], v[26:27], v[32:33], v[26:27]
	v_fma_f64 v[32:33], -v[8:9], v[26:27], 1.0
	s_delay_alu instid0(VALU_DEP_1) | instskip(SKIP_1) | instid1(VALU_DEP_1)
	v_fma_f64 v[26:27], v[26:27], v[32:33], v[26:27]
	v_div_scale_f64 v[32:33], vcc_lo, 1.0, v[36:37], 1.0
	v_mul_f64_e32 v[34:35], v[32:33], v[26:27]
	s_delay_alu instid0(VALU_DEP_1) | instskip(SKIP_1) | instid1(VALU_DEP_1)
	v_fma_f64 v[8:9], -v[8:9], v[34:35], v[32:33]
	s_wait_alu 0xfffd
	v_div_fmas_f64 v[8:9], v[8:9], v[26:27], v[34:35]
	v_add_co_u32 v20, vcc_lo, s8, v20
	s_wait_alu 0xfffd
	v_add_co_ci_u32_e64 v21, null, s9, v21, vcc_lo
	s_delay_alu instid0(VALU_DEP_3) | instskip(NEXT) | instid1(VALU_DEP_1)
	v_div_fixup_f64 v[8:9], v[8:9], v[36:37], 1.0
	v_mul_f64_e32 v[24:25], v[8:9], v[24:25]
	global_store_b64 v[20:21], v[24:25], off
	v_mul_f64_e32 v[20:21], v[8:9], v[4:5]
	v_mad_co_u64_u32 v[4:5], null, 0xffffffe9, s1, v[14:15]
	v_mov_b32_e32 v5, v1
	s_delay_alu instid0(VALU_DEP_1) | instskip(NEXT) | instid1(VALU_DEP_1)
	v_lshlrev_b64_e32 v[14:15], 3, v[4:5]
	v_add_co_u32 v14, vcc_lo, s8, v14
	s_wait_alu 0xfffd
	s_delay_alu instid0(VALU_DEP_2)
	v_add_co_ci_u32_e64 v15, null, s9, v15, vcc_lo
	v_add_co_u32 v2, vcc_lo, s8, v2
	s_wait_alu 0xfffd
	v_add_co_ci_u32_e64 v3, null, s9, v3, vcc_lo
	global_store_b64 v[14:15], v[20:21], off
	s_clause 0x1
	global_load_b64 v[14:15], v[18:19], off
	global_load_b64 v[16:17], v[16:17], off
	s_wait_loadcnt 0x0
	v_add_f64_e32 v[14:15], v[14:15], v[16:17]
	s_delay_alu instid0(VALU_DEP_1)
	v_mul_f64_e32 v[8:9], v[8:9], v[14:15]
	global_store_b64 v[2:3], v[8:9], off
	v_mad_co_u64_u32 v[2:3], null, 0x61, s1, v[4:5]
	v_mov_b32_e32 v3, v1
	global_load_b64 v[5:6], v[6:7], off
	v_lshlrev_b64_e32 v[3:4], 3, v[2:3]
	v_add_nc_u32_e32 v0, s2, v2
	s_delay_alu instid0(VALU_DEP_2) | instskip(SKIP_1) | instid1(VALU_DEP_3)
	v_add_co_u32 v8, vcc_lo, s4, v3
	s_wait_alu 0xfffd
	v_add_co_ci_u32_e64 v9, null, s5, v4, vcc_lo
	global_load_b64 v[8:9], v[8:9], off
	s_wait_loadcnt 0x0
	v_add_f64_e32 v[8:9], v[10:11], v[8:9]
	global_load_b64 v[10:11], v[12:13], off
	s_wait_loadcnt 0x0
	v_add_f64_e32 v[8:9], v[8:9], v[10:11]
	v_lshlrev_b64_e32 v[10:11], 3, v[0:1]
	v_add_nc_u32_e32 v0, s1, v0
	s_delay_alu instid0(VALU_DEP_2) | instskip(SKIP_1) | instid1(VALU_DEP_3)
	v_add_co_u32 v12, vcc_lo, s4, v10
	s_wait_alu 0xfffd
	v_add_co_ci_u32_e64 v13, null, s5, v11, vcc_lo
	global_load_b64 v[12:13], v[12:13], off
	s_wait_loadcnt 0x0
	v_add_f64_e32 v[8:9], v[8:9], v[12:13]
	v_lshlrev_b64_e32 v[12:13], 3, v[0:1]
	v_add_nc_u32_e32 v0, s2, v0
	s_delay_alu instid0(VALU_DEP_2) | instskip(SKIP_1) | instid1(VALU_DEP_3)
	v_add_co_u32 v14, vcc_lo, s4, v12
	s_wait_alu 0xfffd
	v_add_co_ci_u32_e64 v15, null, s5, v13, vcc_lo
	global_load_b64 v[14:15], v[14:15], off
	s_wait_loadcnt 0x0
	v_add_f64_e32 v[8:9], v[8:9], v[14:15]
	s_delay_alu instid0(VALU_DEP_1) | instskip(SKIP_1) | instid1(VALU_DEP_1)
	v_add_f64_e32 v[5:6], v[8:9], v[5:6]
	v_lshlrev_b64_e32 v[7:8], 3, v[0:1]
	v_add_co_u32 v14, vcc_lo, s4, v7
	s_wait_alu 0xfffd
	s_delay_alu instid0(VALU_DEP_2)
	v_add_co_ci_u32_e64 v15, null, s5, v8, vcc_lo
	global_load_b64 v[14:15], v[14:15], off
	s_wait_loadcnt 0x0
	v_add_f64_e32 v[5:6], v[5:6], v[14:15]
	v_mad_co_u64_u32 v[14:15], null, 0xffffffdc, s1, v[0:1]
	v_mov_b32_e32 v15, v1
	s_delay_alu instid0(VALU_DEP_1) | instskip(SKIP_1) | instid1(VALU_DEP_2)
	v_lshlrev_b64_e32 v[15:16], 3, v[14:15]
	v_add_nc_u32_e32 v0, s10, v14
	v_add_co_u32 v17, vcc_lo, s6, v15
	s_wait_alu 0xfffd
	s_delay_alu instid0(VALU_DEP_3) | instskip(SKIP_4) | instid1(VALU_DEP_1)
	v_add_co_ci_u32_e64 v18, null, s7, v16, vcc_lo
	global_load_b64 v[17:18], v[17:18], off
	s_wait_loadcnt 0x0
	v_add_f64_e32 v[5:6], v[5:6], v[17:18]
	v_lshlrev_b64_e32 v[17:18], 3, v[0:1]
	v_add_co_u32 v19, vcc_lo, s6, v17
	s_wait_alu 0xfffd
	s_delay_alu instid0(VALU_DEP_2)
	v_add_co_ci_u32_e64 v20, null, s7, v18, vcc_lo
	v_add_co_u32 v14, vcc_lo, s4, v15
	s_wait_alu 0xfffd
	v_add_co_ci_u32_e64 v15, null, s5, v16, vcc_lo
	v_add_co_u32 v16, vcc_lo, s4, v17
	s_wait_alu 0xfffd
	v_add_co_ci_u32_e64 v17, null, s5, v18, vcc_lo
	global_load_b64 v[14:15], v[14:15], off
	v_add_co_u32 v2, vcc_lo, s6, v3
	global_load_b64 v[16:17], v[16:17], off
	s_wait_alu 0xfffd
	v_add_co_ci_u32_e64 v3, null, s7, v4, vcc_lo
	v_add_co_u32 v9, vcc_lo, s6, v10
	s_wait_alu 0xfffd
	v_add_co_ci_u32_e64 v10, null, s7, v11, vcc_lo
	s_clause 0x2
	global_load_b64 v[2:3], v[2:3], off
	global_load_b64 v[19:20], v[19:20], off
	;; [unrolled: 1-line block ×3, first 2 shown]
	s_wait_loadcnt 0x3
	v_add_f64_e32 v[14:15], v[14:15], v[16:17]
	s_wait_loadcnt 0x2
	s_delay_alu instid0(VALU_DEP_1) | instskip(SKIP_1) | instid1(VALU_DEP_1)
	v_add_f64_e32 v[2:3], v[14:15], v[2:3]
	s_wait_loadcnt 0x0
	v_add_f64_e32 v[2:3], v[2:3], v[9:10]
	v_add_co_u32 v9, vcc_lo, s6, v12
	s_wait_alu 0xfffd
	v_add_co_ci_u32_e64 v10, null, s7, v13, vcc_lo
	v_add_co_u32 v7, vcc_lo, s6, v7
	s_wait_alu 0xfffd
	v_add_co_ci_u32_e64 v8, null, s7, v8, vcc_lo
	global_load_b64 v[9:10], v[9:10], off
	v_add_f64_e32 v[5:6], v[5:6], v[19:20]
	global_load_b64 v[7:8], v[7:8], off
	s_wait_loadcnt 0x1
	v_add_f64_e32 v[2:3], v[2:3], v[9:10]
	s_wait_loadcnt 0x0
	s_delay_alu instid0(VALU_DEP_1) | instskip(SKIP_1) | instid1(VALU_DEP_1)
	v_add_f64_e32 v[2:3], v[2:3], v[7:8]
	v_div_scale_f64 v[7:8], null, v[5:6], v[5:6], 1.0
	v_rcp_f64_e32 v[9:10], v[7:8]
	s_delay_alu instid0(TRANS32_DEP_1) | instskip(NEXT) | instid1(VALU_DEP_1)
	v_fma_f64 v[11:12], -v[7:8], v[9:10], 1.0
	v_fma_f64 v[9:10], v[9:10], v[11:12], v[9:10]
	s_delay_alu instid0(VALU_DEP_1) | instskip(NEXT) | instid1(VALU_DEP_1)
	v_fma_f64 v[11:12], -v[7:8], v[9:10], 1.0
	v_fma_f64 v[9:10], v[9:10], v[11:12], v[9:10]
	v_div_scale_f64 v[11:12], vcc_lo, 1.0, v[5:6], 1.0
	s_delay_alu instid0(VALU_DEP_1) | instskip(NEXT) | instid1(VALU_DEP_1)
	v_mul_f64_e32 v[13:14], v[11:12], v[9:10]
	v_fma_f64 v[7:8], -v[7:8], v[13:14], v[11:12]
	s_wait_alu 0xfffd
	s_delay_alu instid0(VALU_DEP_1) | instskip(NEXT) | instid1(VALU_DEP_1)
	v_div_fmas_f64 v[7:8], v[7:8], v[9:10], v[13:14]
	v_div_fixup_f64 v[4:5], v[7:8], v[5:6], 1.0
	s_delay_alu instid0(VALU_DEP_1) | instskip(SKIP_2) | instid1(VALU_DEP_1)
	v_mul_f64_e32 v[6:7], v[4:5], v[2:3]
	v_mad_co_u64_u32 v[2:3], null, 0xffffffb0, s1, v[0:1]
	v_mov_b32_e32 v3, v1
	v_lshlrev_b64_e32 v[8:9], 3, v[2:3]
	v_add_nc_u32_e32 v0, s0, v2
	s_delay_alu instid0(VALU_DEP_2) | instskip(SKIP_1) | instid1(VALU_DEP_3)
	v_add_co_u32 v8, vcc_lo, s8, v8
	s_wait_alu 0xfffd
	v_add_co_ci_u32_e64 v9, null, s9, v9, vcc_lo
	s_delay_alu instid0(VALU_DEP_3) | instskip(NEXT) | instid1(VALU_DEP_1)
	v_lshlrev_b64_e32 v[0:1], 3, v[0:1]
	v_add_co_u32 v0, vcc_lo, s8, v0
	s_wait_alu 0xfffd
	s_delay_alu instid0(VALU_DEP_2)
	v_add_co_ci_u32_e64 v1, null, s9, v1, vcc_lo
	global_store_b64 v[8:9], v[6:7], off
	s_clause 0x1
	global_load_b64 v[6:7], v[28:29], off
	global_load_b64 v[8:9], v[30:31], off
	s_wait_loadcnt 0x0
	v_add_f64_e32 v[6:7], v[6:7], v[8:9]
	global_load_b64 v[8:9], v[22:23], off
	s_wait_loadcnt 0x0
	v_add_f64_e32 v[6:7], v[6:7], v[8:9]
	s_delay_alu instid0(VALU_DEP_1)
	v_mul_f64_e32 v[3:4], v[4:5], v[6:7]
	global_store_b64 v[0:1], v[3:4], off
	s_nop 0
	s_sendmsg sendmsg(MSG_DEALLOC_VGPRS)
	s_endpgm
	.section	.rodata,"a",@progbits
	.p2align	6, 0x0
	.amdhsa_kernel _Z11qssa_kernelIdEvPT_S1_S1_
		.amdhsa_group_segment_fixed_size 0
		.amdhsa_private_segment_fixed_size 0
		.amdhsa_kernarg_size 280
		.amdhsa_user_sgpr_count 2
		.amdhsa_user_sgpr_dispatch_ptr 0
		.amdhsa_user_sgpr_queue_ptr 0
		.amdhsa_user_sgpr_kernarg_segment_ptr 1
		.amdhsa_user_sgpr_dispatch_id 0
		.amdhsa_user_sgpr_private_segment_size 0
		.amdhsa_wavefront_size32 1
		.amdhsa_uses_dynamic_stack 0
		.amdhsa_enable_private_segment 0
		.amdhsa_system_sgpr_workgroup_id_x 1
		.amdhsa_system_sgpr_workgroup_id_y 0
		.amdhsa_system_sgpr_workgroup_id_z 0
		.amdhsa_system_sgpr_workgroup_info 0
		.amdhsa_system_vgpr_workitem_id 0
		.amdhsa_next_free_vgpr 133
		.amdhsa_next_free_sgpr 19
		.amdhsa_reserve_vcc 1
		.amdhsa_float_round_mode_32 0
		.amdhsa_float_round_mode_16_64 0
		.amdhsa_float_denorm_mode_32 3
		.amdhsa_float_denorm_mode_16_64 3
		.amdhsa_fp16_overflow 0
		.amdhsa_workgroup_processor_mode 1
		.amdhsa_memory_ordered 1
		.amdhsa_forward_progress 1
		.amdhsa_inst_pref_size 136
		.amdhsa_round_robin_scheduling 0
		.amdhsa_exception_fp_ieee_invalid_op 0
		.amdhsa_exception_fp_denorm_src 0
		.amdhsa_exception_fp_ieee_div_zero 0
		.amdhsa_exception_fp_ieee_overflow 0
		.amdhsa_exception_fp_ieee_underflow 0
		.amdhsa_exception_fp_ieee_inexact 0
		.amdhsa_exception_int_div_zero 0
	.end_amdhsa_kernel
	.section	.text._Z11qssa_kernelIdEvPT_S1_S1_,"axG",@progbits,_Z11qssa_kernelIdEvPT_S1_S1_,comdat
.Lfunc_end43:
	.size	_Z11qssa_kernelIdEvPT_S1_S1_, .Lfunc_end43-_Z11qssa_kernelIdEvPT_S1_S1_
                                        ; -- End function
	.set _Z11qssa_kernelIdEvPT_S1_S1_.num_vgpr, 133
	.set _Z11qssa_kernelIdEvPT_S1_S1_.num_agpr, 0
	.set _Z11qssa_kernelIdEvPT_S1_S1_.numbered_sgpr, 19
	.set _Z11qssa_kernelIdEvPT_S1_S1_.num_named_barrier, 0
	.set _Z11qssa_kernelIdEvPT_S1_S1_.private_seg_size, 0
	.set _Z11qssa_kernelIdEvPT_S1_S1_.uses_vcc, 1
	.set _Z11qssa_kernelIdEvPT_S1_S1_.uses_flat_scratch, 0
	.set _Z11qssa_kernelIdEvPT_S1_S1_.has_dyn_sized_stack, 0
	.set _Z11qssa_kernelIdEvPT_S1_S1_.has_recursion, 0
	.set _Z11qssa_kernelIdEvPT_S1_S1_.has_indirect_call, 0
	.section	.AMDGPU.csdata,"",@progbits
; Kernel info:
; codeLenInByte = 17396
; TotalNumSgprs: 21
; NumVgprs: 133
; ScratchSize: 0
; MemoryBound: 1
; FloatMode: 240
; IeeeMode: 1
; LDSByteSize: 0 bytes/workgroup (compile time only)
; SGPRBlocks: 0
; VGPRBlocks: 16
; NumSGPRsForWavesPerEU: 21
; NumVGPRsForWavesPerEU: 133
; Occupancy: 10
; WaveLimiterHint : 1
; COMPUTE_PGM_RSRC2:SCRATCH_EN: 0
; COMPUTE_PGM_RSRC2:USER_SGPR: 2
; COMPUTE_PGM_RSRC2:TRAP_HANDLER: 0
; COMPUTE_PGM_RSRC2:TGID_X_EN: 1
; COMPUTE_PGM_RSRC2:TGID_Y_EN: 0
; COMPUTE_PGM_RSRC2:TGID_Z_EN: 0
; COMPUTE_PGM_RSRC2:TIDIG_COMP_CNT: 0
	.section	.text._Z12qssab_kernelIdEvPT_S1_S1_,"axG",@progbits,_Z12qssab_kernelIdEvPT_S1_S1_,comdat
	.protected	_Z12qssab_kernelIdEvPT_S1_S1_ ; -- Begin function _Z12qssab_kernelIdEvPT_S1_S1_
	.globl	_Z12qssab_kernelIdEvPT_S1_S1_
	.p2align	8
	.type	_Z12qssab_kernelIdEvPT_S1_S1_,@function
_Z12qssab_kernelIdEvPT_S1_S1_:          ; @_Z12qssab_kernelIdEvPT_S1_S1_
; %bb.0:
	s_clause 0x1
	s_load_b32 s3, s[0:1], 0x24
	s_load_b96 s[0:2], s[0:1], 0x10
	s_wait_kmcnt 0x0
	s_and_b32 s3, s3, 0xffff
	s_delay_alu instid0(SALU_CYCLE_1)
	s_mul_i32 s2, s2, s3
	s_mul_i32 s3, ttmp9, s3
	s_mul_i32 s4, s2, 0x57
	s_mul_i32 s5, s2, 0xffffffc6
	v_mov_b32_e32 v13, 0
	v_add3_u32 v12, s4, s3, v0
	s_mul_i32 s8, s2, 5
	s_mul_i32 s4, s2, 3
	;; [unrolled: 1-line block ×4, first 2 shown]
	v_mad_co_u64_u32 v[0:1], null, s2, 10, v[12:13]
	v_mov_b32_e32 v1, v13
	v_lshlrev_b64_e32 v[2:3], 3, v[12:13]
	s_lshl_b32 s3, s2, 1
	s_mul_i32 s7, s2, -3
	s_delay_alu instid0(VALU_DEP_2) | instskip(SKIP_3) | instid1(VALU_DEP_1)
	v_mad_co_u64_u32 v[4:5], null, s2, 12, v[0:1]
	v_mov_b32_e32 v5, v13
	v_lshlrev_b64_e32 v[0:1], 3, v[0:1]
	v_add_co_u32 v18, vcc_lo, s0, v2
	v_add_co_ci_u32_e64 v19, null, s1, v3, vcc_lo
	s_delay_alu instid0(VALU_DEP_4) | instskip(NEXT) | instid1(VALU_DEP_4)
	v_lshlrev_b64_e32 v[2:3], 3, v[4:5]
	v_add_co_u32 v0, vcc_lo, s0, v0
	s_wait_alu 0xfffd
	v_add_co_ci_u32_e64 v1, null, s1, v1, vcc_lo
	v_lshl_add_u32 v12, s2, 3, v4
	s_delay_alu instid0(VALU_DEP_4)
	v_add_co_u32 v2, vcc_lo, s0, v2
	s_wait_alu 0xfffd
	v_add_co_ci_u32_e64 v3, null, s1, v3, vcc_lo
	s_clause 0x2
	global_load_b64 v[5:6], v[18:19], off
	global_load_b64 v[7:8], v[0:1], off
	;; [unrolled: 1-line block ×3, first 2 shown]
	s_wait_loadcnt 0x0
	v_fma_f64 v[2:3], v[7:8], v[2:3], v[5:6]
	v_lshlrev_b64_e32 v[4:5], 3, v[12:13]
	s_delay_alu instid0(VALU_DEP_1) | instskip(SKIP_1) | instid1(VALU_DEP_2)
	v_add_co_u32 v4, vcc_lo, s0, v4
	s_wait_alu 0xfffd
	v_add_co_ci_u32_e64 v5, null, s1, v5, vcc_lo
	global_store_b64 v[18:19], v[2:3], off
	s_clause 0x1
	global_load_b64 v[0:1], v[0:1], off
	global_load_b64 v[4:5], v[4:5], off
	s_wait_loadcnt 0x0
	v_fma_f64 v[0:1], -v[0:1], v[4:5], 1.0
	s_delay_alu instid0(VALU_DEP_1) | instskip(SKIP_1) | instid1(VALU_DEP_2)
	v_div_scale_f64 v[4:5], null, v[0:1], v[0:1], 1.0
	v_div_scale_f64 v[10:11], vcc_lo, 1.0, v[0:1], 1.0
	v_rcp_f64_e32 v[6:7], v[4:5]
	s_delay_alu instid0(TRANS32_DEP_1) | instskip(NEXT) | instid1(VALU_DEP_1)
	v_fma_f64 v[8:9], -v[4:5], v[6:7], 1.0
	v_fma_f64 v[6:7], v[6:7], v[8:9], v[6:7]
	s_delay_alu instid0(VALU_DEP_1) | instskip(NEXT) | instid1(VALU_DEP_1)
	v_fma_f64 v[8:9], -v[4:5], v[6:7], 1.0
	v_fma_f64 v[6:7], v[6:7], v[8:9], v[6:7]
	s_delay_alu instid0(VALU_DEP_1) | instskip(NEXT) | instid1(VALU_DEP_1)
	v_mul_f64_e32 v[8:9], v[10:11], v[6:7]
	v_fma_f64 v[4:5], -v[4:5], v[8:9], v[10:11]
	s_wait_alu 0xfffd
	s_delay_alu instid0(VALU_DEP_1) | instskip(NEXT) | instid1(VALU_DEP_1)
	v_div_fmas_f64 v[4:5], v[4:5], v[6:7], v[8:9]
	v_div_fixup_f64 v[0:1], v[4:5], v[0:1], 1.0
	v_mad_co_u64_u32 v[4:5], null, 0xffffffe6, s2, v[12:13]
	v_mov_b32_e32 v5, v13
	s_delay_alu instid0(VALU_DEP_1) | instskip(SKIP_1) | instid1(VALU_DEP_2)
	v_lshlrev_b64_e32 v[5:6], 3, v[4:5]
	v_subrev_nc_u32_e32 v12, s2, v4
	v_add_co_u32 v28, vcc_lo, s0, v5
	s_wait_alu 0xfffd
	s_delay_alu instid0(VALU_DEP_3) | instskip(NEXT) | instid1(VALU_DEP_3)
	v_add_co_ci_u32_e64 v29, null, s1, v6, vcc_lo
	v_lshlrev_b64_e32 v[4:5], 3, v[12:13]
	v_add_nc_u32_e32 v12, s5, v12
	s_delay_alu instid0(VALU_DEP_2) | instskip(SKIP_1) | instid1(VALU_DEP_3)
	v_add_co_u32 v30, vcc_lo, s0, v4
	s_wait_alu 0xfffd
	v_add_co_ci_u32_e64 v31, null, s1, v5, vcc_lo
	v_mul_f64_e32 v[2:3], v[2:3], v[0:1]
	global_store_b64 v[18:19], v[2:3], off
	global_load_b64 v[2:3], v[28:29], off
	s_wait_loadcnt 0x0
	v_mul_f64_e32 v[2:3], v[2:3], v[0:1]
	global_store_b64 v[28:29], v[2:3], off
	global_load_b64 v[2:3], v[30:31], off
	s_wait_loadcnt 0x0
	v_mul_f64_e32 v[2:3], v[0:1], v[2:3]
	v_lshlrev_b64_e32 v[0:1], 3, v[12:13]
	v_add_nc_u32_e32 v12, s8, v12
	s_delay_alu instid0(VALU_DEP_1)
	v_mad_co_u64_u32 v[4:5], null, s2, 17, v[12:13]
	v_mov_b32_e32 v5, v13
	v_lshlrev_b64_e32 v[6:7], 3, v[12:13]
	v_add_co_u32 v0, vcc_lo, s0, v0
	s_wait_alu 0xfffd
	v_add_co_ci_u32_e64 v1, null, s1, v1, vcc_lo
	v_lshlrev_b64_e32 v[8:9], 3, v[4:5]
	s_delay_alu instid0(VALU_DEP_4)
	v_add_co_u32 v5, vcc_lo, s0, v6
	s_wait_alu 0xfffd
	v_add_co_ci_u32_e64 v6, null, s1, v7, vcc_lo
	s_wait_alu 0xfffe
	v_add_nc_u32_e32 v12, s4, v4
	v_add_co_u32 v7, vcc_lo, s0, v8
	s_wait_alu 0xfffd
	v_add_co_ci_u32_e64 v8, null, s1, v9, vcc_lo
	global_store_b64 v[30:31], v[2:3], off
	s_clause 0x2
	global_load_b64 v[2:3], v[0:1], off
	global_load_b64 v[9:10], v[5:6], off
	;; [unrolled: 1-line block ×3, first 2 shown]
	s_wait_loadcnt 0x0
	v_fma_f64 v[2:3], v[9:10], v[7:8], v[2:3]
	v_lshlrev_b64_e32 v[7:8], 3, v[12:13]
	s_delay_alu instid0(VALU_DEP_1) | instskip(SKIP_1) | instid1(VALU_DEP_2)
	v_add_co_u32 v7, vcc_lo, s0, v7
	s_wait_alu 0xfffd
	v_add_co_ci_u32_e64 v8, null, s1, v8, vcc_lo
	global_store_b64 v[0:1], v[2:3], off
	s_clause 0x1
	global_load_b64 v[4:5], v[5:6], off
	global_load_b64 v[6:7], v[7:8], off
	s_wait_loadcnt 0x0
	v_fma_f64 v[4:5], -v[4:5], v[6:7], 1.0
	s_delay_alu instid0(VALU_DEP_1) | instskip(SKIP_1) | instid1(VALU_DEP_2)
	v_div_scale_f64 v[6:7], null, v[4:5], v[4:5], 1.0
	v_div_scale_f64 v[14:15], vcc_lo, 1.0, v[4:5], 1.0
	v_rcp_f64_e32 v[8:9], v[6:7]
	s_delay_alu instid0(TRANS32_DEP_1) | instskip(NEXT) | instid1(VALU_DEP_1)
	v_fma_f64 v[10:11], -v[6:7], v[8:9], 1.0
	v_fma_f64 v[8:9], v[8:9], v[10:11], v[8:9]
	s_delay_alu instid0(VALU_DEP_1) | instskip(NEXT) | instid1(VALU_DEP_1)
	v_fma_f64 v[10:11], -v[6:7], v[8:9], 1.0
	v_fma_f64 v[8:9], v[8:9], v[10:11], v[8:9]
	s_delay_alu instid0(VALU_DEP_1) | instskip(NEXT) | instid1(VALU_DEP_1)
	v_mul_f64_e32 v[10:11], v[14:15], v[8:9]
	v_fma_f64 v[6:7], -v[6:7], v[10:11], v[14:15]
	s_wait_alu 0xfffd
	s_delay_alu instid0(VALU_DEP_1) | instskip(SKIP_2) | instid1(VALU_DEP_2)
	v_div_fmas_f64 v[6:7], v[6:7], v[8:9], v[10:11]
	v_mad_co_u64_u32 v[8:9], null, 0xffffffeb, s2, v[12:13]
	v_mov_b32_e32 v9, v13
	v_subrev_nc_u32_e32 v12, s3, v8
	s_delay_alu instid0(VALU_DEP_4) | instskip(NEXT) | instid1(VALU_DEP_1)
	v_div_fixup_f64 v[4:5], v[6:7], v[4:5], 1.0
	v_mul_f64_e32 v[6:7], v[2:3], v[4:5]
	s_delay_alu instid0(VALU_DEP_4) | instskip(NEXT) | instid1(VALU_DEP_1)
	v_lshlrev_b64_e32 v[2:3], 3, v[8:9]
	v_add_co_u32 v2, vcc_lo, s0, v2
	s_wait_alu 0xfffd
	s_delay_alu instid0(VALU_DEP_2)
	v_add_co_ci_u32_e64 v3, null, s1, v3, vcc_lo
	global_store_b64 v[0:1], v[6:7], off
	global_load_b64 v[6:7], v[2:3], off
	s_wait_loadcnt 0x0
	v_mul_f64_e32 v[9:10], v[6:7], v[4:5]
	v_lshlrev_b64_e32 v[6:7], 3, v[12:13]
	v_subrev_nc_u32_e32 v12, s2, v12
	s_delay_alu instid0(VALU_DEP_2) | instskip(SKIP_1) | instid1(VALU_DEP_3)
	v_add_co_u32 v6, vcc_lo, s0, v6
	s_wait_alu 0xfffd
	v_add_co_ci_u32_e64 v7, null, s1, v7, vcc_lo
	global_store_b64 v[2:3], v[9:10], off
	global_load_b64 v[8:9], v[6:7], off
	v_lshlrev_b64_e32 v[10:11], 3, v[12:13]
	v_add_nc_u32_e32 v12, s9, v12
	s_delay_alu instid0(VALU_DEP_2) | instskip(SKIP_1) | instid1(VALU_DEP_3)
	v_add_co_u32 v20, vcc_lo, s0, v10
	s_wait_alu 0xfffd
	v_add_co_ci_u32_e64 v21, null, s1, v11, vcc_lo
	s_delay_alu instid0(VALU_DEP_3) | instskip(SKIP_1) | instid1(VALU_DEP_2)
	v_lshlrev_b64_e32 v[10:11], 3, v[12:13]
	v_subrev_nc_u32_e32 v12, s3, v12
	v_add_co_u32 v34, vcc_lo, s0, v10
	s_wait_alu 0xfffd
	s_delay_alu instid0(VALU_DEP_3) | instskip(NEXT) | instid1(VALU_DEP_3)
	v_add_co_ci_u32_e64 v35, null, s1, v11, vcc_lo
	v_lshlrev_b64_e32 v[10:11], 3, v[12:13]
	v_add_nc_u32_e32 v12, s8, v12
	s_delay_alu instid0(VALU_DEP_2) | instskip(SKIP_1) | instid1(VALU_DEP_3)
	v_add_co_u32 v32, vcc_lo, s0, v10
	s_wait_alu 0xfffd
	v_add_co_ci_u32_e64 v33, null, s1, v11, vcc_lo
	s_wait_loadcnt 0x0
	v_mul_f64_e32 v[8:9], v[4:5], v[8:9]
	global_store_b64 v[6:7], v[8:9], off
	global_load_b64 v[8:9], v[20:21], off
	s_wait_loadcnt 0x0
	v_mul_f64_e32 v[8:9], v[4:5], v[8:9]
	global_store_b64 v[20:21], v[8:9], off
	global_load_b64 v[8:9], v[34:35], off
	;; [unrolled: 4-line block ×3, first 2 shown]
	s_wait_loadcnt 0x0
	v_mul_f64_e32 v[8:9], v[4:5], v[8:9]
	v_lshlrev_b64_e32 v[4:5], 3, v[12:13]
	v_add_nc_u32_e32 v12, s6, v12
	s_delay_alu instid0(VALU_DEP_1)
	v_mad_co_u64_u32 v[10:11], null, s2, 46, v[12:13]
	v_mov_b32_e32 v11, v13
	v_lshlrev_b64_e32 v[14:15], 3, v[12:13]
	v_add_co_u32 v4, vcc_lo, s0, v4
	s_wait_alu 0xfffd
	v_add_co_ci_u32_e64 v5, null, s1, v5, vcc_lo
	v_lshlrev_b64_e32 v[11:12], 3, v[10:11]
	s_delay_alu instid0(VALU_DEP_4) | instskip(SKIP_2) | instid1(VALU_DEP_3)
	v_add_co_u32 v14, vcc_lo, s0, v14
	s_wait_alu 0xfffd
	v_add_co_ci_u32_e64 v15, null, s1, v15, vcc_lo
	v_add_co_u32 v16, vcc_lo, s0, v11
	s_wait_alu 0xfffd
	v_add_co_ci_u32_e64 v17, null, s1, v12, vcc_lo
	global_store_b64 v[32:33], v[8:9], off
	s_clause 0x2
	global_load_b64 v[8:9], v[4:5], off
	global_load_b64 v[11:12], v[14:15], off
	;; [unrolled: 1-line block ×3, first 2 shown]
	s_wait_loadcnt 0x0
	v_fma_f64 v[8:9], v[11:12], v[22:23], v[8:9]
	v_mad_co_u64_u32 v[10:11], null, 0xffffffd0, s2, v[10:11]
	v_mov_b32_e32 v11, v13
	s_delay_alu instid0(VALU_DEP_1) | instskip(SKIP_2) | instid1(VALU_DEP_2)
	v_mad_co_u64_u32 v[22:23], null, s2, 55, v[10:11]
	v_mov_b32_e32 v23, v13
	v_lshlrev_b64_e32 v[10:11], 3, v[10:11]
	v_lshlrev_b64_e32 v[23:24], 3, v[22:23]
	s_delay_alu instid0(VALU_DEP_2) | instskip(SKIP_1) | instid1(VALU_DEP_3)
	v_add_co_u32 v10, vcc_lo, s0, v10
	s_wait_alu 0xfffd
	v_add_co_ci_u32_e64 v11, null, s1, v11, vcc_lo
	v_add_nc_u32_e32 v12, s7, v22
	s_delay_alu instid0(VALU_DEP_4)
	v_add_co_u32 v25, vcc_lo, s0, v23
	s_wait_alu 0xfffd
	v_add_co_ci_u32_e64 v26, null, s1, v24, vcc_lo
	global_store_b64 v[4:5], v[8:9], off
	s_clause 0x2
	global_load_b64 v[8:9], v[10:11], off
	global_load_b64 v[23:24], v[25:26], off
	;; [unrolled: 1-line block ×3, first 2 shown]
	s_wait_loadcnt 0x0
	v_fma_f64 v[8:9], v[36:37], v[23:24], v[8:9]
	v_lshlrev_b64_e32 v[22:23], 3, v[12:13]
	s_delay_alu instid0(VALU_DEP_1) | instskip(SKIP_1) | instid1(VALU_DEP_2)
	v_add_co_u32 v36, vcc_lo, s0, v22
	s_wait_alu 0xfffd
	v_add_co_ci_u32_e64 v37, null, s1, v23, vcc_lo
	global_store_b64 v[10:11], v[8:9], off
	s_clause 0x2
	global_load_b64 v[8:9], v[14:15], off
	global_load_b64 v[14:15], v[36:37], off
	;; [unrolled: 1-line block ×3, first 2 shown]
	s_wait_loadcnt 0x1
	v_fma_f64 v[8:9], -v[8:9], v[14:15], 1.0
	s_delay_alu instid0(VALU_DEP_1) | instskip(SKIP_1) | instid1(VALU_DEP_2)
	v_div_scale_f64 v[14:15], null, v[8:9], v[8:9], 1.0
	v_div_scale_f64 v[42:43], vcc_lo, 1.0, v[8:9], 1.0
	v_rcp_f64_e32 v[38:39], v[14:15]
	s_delay_alu instid0(TRANS32_DEP_1) | instskip(NEXT) | instid1(VALU_DEP_1)
	v_fma_f64 v[40:41], -v[14:15], v[38:39], 1.0
	v_fma_f64 v[38:39], v[38:39], v[40:41], v[38:39]
	s_delay_alu instid0(VALU_DEP_1) | instskip(NEXT) | instid1(VALU_DEP_1)
	v_fma_f64 v[40:41], -v[14:15], v[38:39], 1.0
	v_fma_f64 v[38:39], v[38:39], v[40:41], v[38:39]
	s_delay_alu instid0(VALU_DEP_1) | instskip(NEXT) | instid1(VALU_DEP_1)
	v_mul_f64_e32 v[40:41], v[42:43], v[38:39]
	v_fma_f64 v[14:15], -v[14:15], v[40:41], v[42:43]
	s_wait_alu 0xfffd
	s_delay_alu instid0(VALU_DEP_1) | instskip(SKIP_2) | instid1(VALU_DEP_2)
	v_div_fmas_f64 v[14:15], v[14:15], v[38:39], v[40:41]
	v_mad_co_u64_u32 v[38:39], null, 0xffffffc8, s2, v[12:13]
	v_mov_b32_e32 v39, v13
	v_subrev_nc_u32_e32 v12, s2, v38
	s_delay_alu instid0(VALU_DEP_4) | instskip(NEXT) | instid1(VALU_DEP_3)
	v_div_fixup_f64 v[14:15], v[14:15], v[8:9], 1.0
	v_lshlrev_b64_e32 v[8:9], 3, v[38:39]
	s_delay_alu instid0(VALU_DEP_1) | instskip(SKIP_1) | instid1(VALU_DEP_2)
	v_add_co_u32 v8, vcc_lo, s0, v8
	s_wait_alu 0xfffd
	v_add_co_ci_u32_e64 v9, null, s1, v9, vcc_lo
	s_wait_loadcnt 0x0
	s_delay_alu instid0(VALU_DEP_4)
	v_mul_f64_e32 v[22:23], v[22:23], v[14:15]
	global_store_b64 v[4:5], v[22:23], off
	global_load_b64 v[22:23], v[8:9], off
	s_wait_loadcnt 0x0
	v_mul_f64_e32 v[22:23], v[22:23], v[14:15]
	global_store_b64 v[8:9], v[22:23], off
	global_load_b64 v[22:23], v[10:11], off
	s_wait_loadcnt 0x0
	v_mul_f64_e32 v[39:40], v[14:15], v[22:23]
	v_lshlrev_b64_e32 v[22:23], 3, v[12:13]
	v_subrev_nc_u32_e32 v12, s2, v12
	s_delay_alu instid0(VALU_DEP_2) | instskip(SKIP_1) | instid1(VALU_DEP_3)
	v_add_co_u32 v22, vcc_lo, s0, v22
	s_wait_alu 0xfffd
	v_add_co_ci_u32_e64 v23, null, s1, v23, vcc_lo
	global_store_b64 v[10:11], v[39:40], off
	global_load_b64 v[38:39], v[22:23], off
	s_wait_loadcnt 0x0
	v_mul_f64_e32 v[40:41], v[14:15], v[38:39]
	v_lshlrev_b64_e32 v[38:39], 3, v[12:13]
	v_add_nc_u32_e32 v12, s9, v12
	s_delay_alu instid0(VALU_DEP_1) | instskip(NEXT) | instid1(VALU_DEP_3)
	v_lshlrev_b64_e32 v[42:43], 3, v[12:13]
	v_add_co_u32 v38, vcc_lo, s0, v38
	s_wait_alu 0xfffd
	s_delay_alu instid0(VALU_DEP_4) | instskip(NEXT) | instid1(VALU_DEP_3)
	v_add_co_ci_u32_e64 v39, null, s1, v39, vcc_lo
	v_add_co_u32 v48, vcc_lo, s0, v42
	s_wait_alu 0xfffd
	v_add_co_ci_u32_e64 v49, null, s1, v43, vcc_lo
	global_store_b64 v[22:23], v[40:41], off
	global_load_b64 v[40:41], v[38:39], off
	s_wait_loadcnt 0x0
	v_mul_f64_e32 v[40:41], v[14:15], v[40:41]
	global_store_b64 v[38:39], v[40:41], off
	global_load_b64 v[40:41], v[48:49], off
	s_wait_loadcnt 0x0
	v_mul_f64_e32 v[40:41], v[14:15], v[40:41]
	v_mad_co_u64_u32 v[14:15], null, s2, 25, v[12:13]
	s_delay_alu instid0(VALU_DEP_1) | instskip(NEXT) | instid1(VALU_DEP_1)
	v_dual_mov_b32 v15, v13 :: v_dual_add_nc_u32 v12, s6, v14
	v_lshlrev_b64_e32 v[14:15], 3, v[14:15]
	s_mul_i32 s6, s2, -5
	s_delay_alu instid0(VALU_DEP_2) | instskip(SKIP_2) | instid1(VALU_DEP_3)
	v_lshlrev_b64_e32 v[42:43], 3, v[12:13]
	s_wait_alu 0xfffe
	v_add_nc_u32_e32 v12, s6, v12
	v_add_co_u32 v14, vcc_lo, s0, v14
	s_wait_alu 0xfffd
	v_add_co_ci_u32_e64 v15, null, s1, v15, vcc_lo
	v_add_co_u32 v42, vcc_lo, s0, v42
	s_wait_alu 0xfffd
	v_add_co_ci_u32_e64 v43, null, s1, v43, vcc_lo
	global_store_b64 v[48:49], v[40:41], off
	s_clause 0x2
	global_load_b64 v[40:41], v[14:15], off
	global_load_b64 v[44:45], v[42:43], off
	global_load_b64 v[16:17], v[16:17], off
	s_wait_loadcnt 0x0
	v_fma_f64 v[40:41], v[44:45], v[16:17], v[40:41]
	v_lshlrev_b64_e32 v[16:17], 3, v[12:13]
	v_subrev_nc_u32_e32 v12, s3, v12
	s_delay_alu instid0(VALU_DEP_2) | instskip(SKIP_1) | instid1(VALU_DEP_3)
	v_add_co_u32 v16, vcc_lo, s0, v16
	s_wait_alu 0xfffd
	v_add_co_ci_u32_e64 v17, null, s1, v17, vcc_lo
	global_store_b64 v[14:15], v[40:41], off
	s_clause 0x2
	global_load_b64 v[40:41], v[16:17], off
	global_load_b64 v[44:45], v[42:43], off
	;; [unrolled: 1-line block ×3, first 2 shown]
	s_wait_loadcnt 0x0
	v_fma_f64 v[36:37], v[44:45], v[36:37], v[40:41]
	global_store_b64 v[16:17], v[36:37], off
	s_clause 0x2
	global_load_b64 v[36:37], v[42:43], off
	global_load_b64 v[24:25], v[25:26], off
	;; [unrolled: 1-line block ×3, first 2 shown]
	s_wait_loadcnt 0x1
	v_fma_f64 v[24:25], -v[36:37], v[24:25], 1.0
	s_delay_alu instid0(VALU_DEP_1) | instskip(SKIP_1) | instid1(VALU_DEP_2)
	v_div_scale_f64 v[36:37], null, v[24:25], v[24:25], 1.0
	v_div_scale_f64 v[44:45], vcc_lo, 1.0, v[24:25], 1.0
	v_rcp_f64_e32 v[40:41], v[36:37]
	s_delay_alu instid0(TRANS32_DEP_1) | instskip(NEXT) | instid1(VALU_DEP_1)
	v_fma_f64 v[42:43], -v[36:37], v[40:41], 1.0
	v_fma_f64 v[40:41], v[40:41], v[42:43], v[40:41]
	s_delay_alu instid0(VALU_DEP_1) | instskip(NEXT) | instid1(VALU_DEP_1)
	v_fma_f64 v[42:43], -v[36:37], v[40:41], 1.0
	v_fma_f64 v[40:41], v[40:41], v[42:43], v[40:41]
	s_delay_alu instid0(VALU_DEP_1) | instskip(NEXT) | instid1(VALU_DEP_1)
	v_mul_f64_e32 v[42:43], v[44:45], v[40:41]
	v_fma_f64 v[36:37], -v[36:37], v[42:43], v[44:45]
	s_wait_alu 0xfffd
	s_delay_alu instid0(VALU_DEP_1) | instskip(NEXT) | instid1(VALU_DEP_1)
	v_div_fmas_f64 v[36:37], v[36:37], v[40:41], v[42:43]
	v_div_fixup_f64 v[40:41], v[36:37], v[24:25], 1.0
	s_wait_loadcnt 0x0
	s_delay_alu instid0(VALU_DEP_1)
	v_mul_f64_e32 v[24:25], v[26:27], v[40:41]
	global_store_b64 v[14:15], v[24:25], off
	global_load_b64 v[24:25], v[16:17], off
	s_wait_loadcnt 0x0
	v_mul_f64_e32 v[26:27], v[24:25], v[40:41]
	v_lshlrev_b64_e32 v[24:25], 3, v[12:13]
	v_subrev_nc_u32_e32 v12, s2, v12
	s_delay_alu instid0(VALU_DEP_1) | instskip(NEXT) | instid1(VALU_DEP_3)
	v_lshlrev_b64_e32 v[36:37], 3, v[12:13]
	v_add_co_u32 v24, vcc_lo, s0, v24
	s_wait_alu 0xfffd
	s_delay_alu instid0(VALU_DEP_4) | instskip(SKIP_1) | instid1(VALU_DEP_4)
	v_add_co_ci_u32_e64 v25, null, s1, v25, vcc_lo
	v_add_nc_u32_e32 v12, s8, v12
	v_add_co_u32 v36, vcc_lo, s0, v36
	s_wait_alu 0xfffd
	v_add_co_ci_u32_e64 v37, null, s1, v37, vcc_lo
	s_delay_alu instid0(VALU_DEP_3) | instskip(NEXT) | instid1(VALU_DEP_1)
	v_lshlrev_b64_e32 v[42:43], 3, v[12:13]
	v_add_co_u32 v42, vcc_lo, s0, v42
	s_wait_alu 0xfffd
	s_delay_alu instid0(VALU_DEP_2)
	v_add_co_ci_u32_e64 v43, null, s1, v43, vcc_lo
	global_store_b64 v[16:17], v[26:27], off
	global_load_b64 v[26:27], v[24:25], off
	s_wait_loadcnt 0x0
	v_mul_f64_e32 v[26:27], v[40:41], v[26:27]
	global_store_b64 v[24:25], v[26:27], off
	global_load_b64 v[26:27], v[36:37], off
	s_wait_loadcnt 0x0
	v_mul_f64_e32 v[26:27], v[40:41], v[26:27]
	;; [unrolled: 4-line block ×3, first 2 shown]
	v_mad_co_u64_u32 v[40:41], null, 0xffffffef, s2, v[12:13]
	s_delay_alu instid0(VALU_DEP_1) | instskip(NEXT) | instid1(VALU_DEP_1)
	v_dual_mov_b32 v41, v13 :: v_dual_add_nc_u32 v12, s9, v40
	v_lshlrev_b64_e32 v[44:45], 3, v[40:41]
	s_delay_alu instid0(VALU_DEP_2) | instskip(NEXT) | instid1(VALU_DEP_2)
	v_lshlrev_b64_e32 v[40:41], 3, v[12:13]
	v_add_co_u32 v44, vcc_lo, s0, v44
	s_wait_alu 0xfffd
	s_delay_alu instid0(VALU_DEP_3)
	v_add_co_ci_u32_e64 v45, null, s1, v45, vcc_lo
	global_store_b64 v[42:43], v[26:27], off
	s_clause 0x2
	global_load_b64 v[26:27], v[0:1], off
	global_load_b64 v[46:47], v[32:33], off
	global_load_b64 v[50:51], v[44:45], off
	s_wait_loadcnt 0x0
	v_fma_f64 v[26:27], v[46:47], v[50:51], v[26:27]
	v_add_co_u32 v46, vcc_lo, s0, v40
	s_wait_alu 0xfffd
	v_add_co_ci_u32_e64 v47, null, s1, v41, vcc_lo
	global_store_b64 v[0:1], v[26:27], off
	s_clause 0x1
	global_load_b64 v[26:27], v[32:33], off
	global_load_b64 v[40:41], v[46:47], off
	s_wait_loadcnt 0x0
	v_mul_f64_e32 v[40:41], v[26:27], v[40:41]
	v_mad_co_u64_u32 v[26:27], null, 0xffffffdf, s2, v[12:13]
	v_mov_b32_e32 v27, v13
	s_delay_alu instid0(VALU_DEP_1) | instskip(NEXT) | instid1(VALU_DEP_1)
	v_mad_co_u64_u32 v[50:51], null, s2, 28, v[26:27]
	v_dual_mov_b32 v51, v13 :: v_dual_add_nc_u32 v12, s2, v50
	v_lshlrev_b64_e32 v[26:27], 3, v[26:27]
	s_delay_alu instid0(VALU_DEP_2) | instskip(NEXT) | instid1(VALU_DEP_2)
	v_lshlrev_b64_e32 v[51:52], 3, v[50:51]
	v_add_co_u32 v26, vcc_lo, s0, v26
	s_wait_alu 0xfffd
	s_delay_alu instid0(VALU_DEP_3) | instskip(NEXT) | instid1(VALU_DEP_3)
	v_add_co_ci_u32_e64 v27, null, s1, v27, vcc_lo
	v_add_co_u32 v51, vcc_lo, s0, v51
	s_wait_alu 0xfffd
	v_add_co_ci_u32_e64 v52, null, s1, v52, vcc_lo
	global_store_b64 v[26:27], v[40:41], off
	s_clause 0x2
	global_load_b64 v[40:41], v[6:7], off
	global_load_b64 v[53:54], v[32:33], off
	;; [unrolled: 1-line block ×3, first 2 shown]
	s_wait_loadcnt 0x0
	v_fma_f64 v[40:41], v[53:54], v[55:56], v[40:41]
	v_lshlrev_b64_e32 v[53:54], 3, v[12:13]
	s_delay_alu instid0(VALU_DEP_1) | instskip(SKIP_1) | instid1(VALU_DEP_2)
	v_add_co_u32 v53, vcc_lo, s0, v53
	s_wait_alu 0xfffd
	v_add_co_ci_u32_e64 v54, null, s1, v54, vcc_lo
	global_store_b64 v[6:7], v[40:41], off
	s_clause 0x2
	global_load_b64 v[32:33], v[32:33], off
	global_load_b64 v[40:41], v[53:54], off
	;; [unrolled: 1-line block ×3, first 2 shown]
	s_wait_loadcnt 0x1
	v_fma_f64 v[32:33], -v[32:33], v[40:41], 1.0
	s_delay_alu instid0(VALU_DEP_1) | instskip(SKIP_1) | instid1(VALU_DEP_2)
	v_div_scale_f64 v[40:41], null, v[32:33], v[32:33], 1.0
	v_div_scale_f64 v[61:62], vcc_lo, 1.0, v[32:33], 1.0
	v_rcp_f64_e32 v[57:58], v[40:41]
	s_delay_alu instid0(TRANS32_DEP_1) | instskip(NEXT) | instid1(VALU_DEP_1)
	v_fma_f64 v[59:60], -v[40:41], v[57:58], 1.0
	v_fma_f64 v[57:58], v[57:58], v[59:60], v[57:58]
	s_delay_alu instid0(VALU_DEP_1) | instskip(NEXT) | instid1(VALU_DEP_1)
	v_fma_f64 v[59:60], -v[40:41], v[57:58], 1.0
	v_fma_f64 v[57:58], v[57:58], v[59:60], v[57:58]
	s_delay_alu instid0(VALU_DEP_1) | instskip(NEXT) | instid1(VALU_DEP_1)
	v_mul_f64_e32 v[59:60], v[61:62], v[57:58]
	v_fma_f64 v[40:41], -v[40:41], v[59:60], v[61:62]
	s_wait_alu 0xfffd
	s_delay_alu instid0(VALU_DEP_1) | instskip(NEXT) | instid1(VALU_DEP_1)
	v_div_fmas_f64 v[40:41], v[40:41], v[57:58], v[59:60]
	v_div_fixup_f64 v[32:33], v[40:41], v[32:33], 1.0
	s_wait_loadcnt 0x0
	s_delay_alu instid0(VALU_DEP_1)
	v_mul_f64_e32 v[40:41], v[55:56], v[32:33]
	global_store_b64 v[0:1], v[40:41], off
	global_load_b64 v[40:41], v[2:3], off
	s_wait_loadcnt 0x0
	v_mul_f64_e32 v[40:41], v[40:41], v[32:33]
	global_store_b64 v[2:3], v[40:41], off
	global_load_b64 v[40:41], v[26:27], off
	s_wait_loadcnt 0x0
	;; [unrolled: 4-line block ×5, first 2 shown]
	v_mul_f64_e32 v[32:33], v[32:33], v[40:41]
	global_store_b64 v[34:35], v[32:33], off
	s_clause 0x2
	global_load_b64 v[32:33], v[14:15], off
	global_load_b64 v[40:41], v[42:43], off
	;; [unrolled: 1-line block ×3, first 2 shown]
	s_wait_loadcnt 0x0
	v_fma_f64 v[32:33], v[40:41], v[55:56], v[32:33]
	v_mad_co_u64_u32 v[55:56], null, s2, 11, v[12:13]
	v_mov_b32_e32 v56, v13
	s_delay_alu instid0(VALU_DEP_2)
	v_add_nc_u32_e32 v12, s5, v55
	s_lshl_b32 s5, s2, 2
	global_store_b64 v[14:15], v[32:33], off
	s_clause 0x1
	global_load_b64 v[32:33], v[42:43], off
	global_load_b64 v[40:41], v[53:54], off
	s_wait_loadcnt 0x0
	v_mul_f64_e32 v[40:41], v[32:33], v[40:41]
	v_lshlrev_b64_e32 v[32:33], 3, v[55:56]
	s_delay_alu instid0(VALU_DEP_1) | instskip(SKIP_1) | instid1(VALU_DEP_2)
	v_add_co_u32 v32, vcc_lo, s0, v32
	s_wait_alu 0xfffd
	v_add_co_ci_u32_e64 v33, null, s1, v33, vcc_lo
	global_store_b64 v[32:33], v[40:41], off
	s_clause 0x2
	global_load_b64 v[40:41], v[24:25], off
	global_load_b64 v[56:57], v[42:43], off
	;; [unrolled: 1-line block ×3, first 2 shown]
	s_wait_loadcnt 0x0
	v_fma_f64 v[40:41], v[56:57], v[58:59], v[40:41]
	global_store_b64 v[24:25], v[40:41], off
	s_clause 0x2
	global_load_b64 v[40:41], v[42:43], off
	global_load_b64 v[42:43], v[46:47], off
	;; [unrolled: 1-line block ×3, first 2 shown]
	s_wait_loadcnt 0x1
	v_fma_f64 v[40:41], -v[40:41], v[42:43], 1.0
	s_delay_alu instid0(VALU_DEP_1) | instskip(SKIP_1) | instid1(VALU_DEP_2)
	v_div_scale_f64 v[42:43], null, v[40:41], v[40:41], 1.0
	v_div_scale_f64 v[62:63], vcc_lo, 1.0, v[40:41], 1.0
	v_rcp_f64_e32 v[58:59], v[42:43]
	s_delay_alu instid0(TRANS32_DEP_1) | instskip(NEXT) | instid1(VALU_DEP_1)
	v_fma_f64 v[60:61], -v[42:43], v[58:59], 1.0
	v_fma_f64 v[58:59], v[58:59], v[60:61], v[58:59]
	s_delay_alu instid0(VALU_DEP_1) | instskip(NEXT) | instid1(VALU_DEP_1)
	v_fma_f64 v[60:61], -v[42:43], v[58:59], 1.0
	v_fma_f64 v[58:59], v[58:59], v[60:61], v[58:59]
	s_delay_alu instid0(VALU_DEP_1) | instskip(NEXT) | instid1(VALU_DEP_1)
	v_mul_f64_e32 v[60:61], v[62:63], v[58:59]
	v_fma_f64 v[42:43], -v[42:43], v[60:61], v[62:63]
	s_wait_alu 0xfffd
	s_delay_alu instid0(VALU_DEP_1) | instskip(NEXT) | instid1(VALU_DEP_1)
	v_div_fmas_f64 v[42:43], v[42:43], v[58:59], v[60:61]
	v_div_fixup_f64 v[40:41], v[42:43], v[40:41], 1.0
	s_wait_loadcnt 0x0
	s_delay_alu instid0(VALU_DEP_1) | instskip(SKIP_2) | instid1(VALU_DEP_1)
	v_mul_f64_e32 v[42:43], v[56:57], v[40:41]
	v_mad_co_u64_u32 v[55:56], null, s2, 6, v[12:13]
	v_mov_b32_e32 v56, v13
	v_lshlrev_b64_e32 v[56:57], 3, v[55:56]
	global_store_b64 v[14:15], v[42:43], off
	global_load_b64 v[42:43], v[16:17], off
	s_wait_loadcnt 0x0
	v_mul_f64_e32 v[42:43], v[42:43], v[40:41]
	global_store_b64 v[16:17], v[42:43], off
	global_load_b64 v[42:43], v[32:33], off
	s_wait_loadcnt 0x0
	v_mul_f64_e32 v[42:43], v[40:41], v[42:43]
	;; [unrolled: 4-line block ×4, first 2 shown]
	v_lshlrev_b64_e32 v[40:41], 3, v[12:13]
	v_add_nc_u32_e32 v12, s7, v55
	s_delay_alu instid0(VALU_DEP_2) | instskip(SKIP_1) | instid1(VALU_DEP_3)
	v_add_co_u32 v40, vcc_lo, s0, v40
	s_wait_alu 0xfffd
	v_add_co_ci_u32_e64 v41, null, s1, v41, vcc_lo
	v_add_co_u32 v56, vcc_lo, s0, v56
	s_wait_alu 0xfffd
	v_add_co_ci_u32_e64 v57, null, s1, v57, vcc_lo
	global_store_b64 v[36:37], v[42:43], off
	s_clause 0x2
	global_load_b64 v[42:43], v[40:41], off
	global_load_b64 v[58:59], v[56:57], off
	;; [unrolled: 1-line block ×3, first 2 shown]
	s_wait_loadcnt 0x0
	v_fma_f64 v[44:45], v[58:59], v[44:45], v[42:43]
	v_lshlrev_b64_e32 v[42:43], 3, v[12:13]
	s_wait_alu 0xfffe
	v_add_nc_u32_e32 v12, s5, v12
	s_delay_alu instid0(VALU_DEP_2) | instskip(SKIP_1) | instid1(VALU_DEP_3)
	v_add_co_u32 v42, vcc_lo, s0, v42
	s_wait_alu 0xfffd
	v_add_co_ci_u32_e64 v43, null, s1, v43, vcc_lo
	global_store_b64 v[40:41], v[44:45], off
	s_clause 0x2
	global_load_b64 v[44:45], v[42:43], off
	global_load_b64 v[58:59], v[56:57], off
	;; [unrolled: 1-line block ×3, first 2 shown]
	s_wait_loadcnt 0x0
	v_fma_f64 v[53:54], v[58:59], v[53:54], v[44:45]
	v_lshlrev_b64_e32 v[44:45], 3, v[12:13]
	v_add_nc_u32_e32 v12, s7, v12
	s_delay_alu instid0(VALU_DEP_2) | instskip(SKIP_1) | instid1(VALU_DEP_3)
	v_add_co_u32 v44, vcc_lo, s0, v44
	s_wait_alu 0xfffd
	v_add_co_ci_u32_e64 v45, null, s1, v45, vcc_lo
	global_store_b64 v[42:43], v[53:54], off
	s_clause 0x2
	global_load_b64 v[53:54], v[44:45], off
	global_load_b64 v[58:59], v[56:57], off
	;; [unrolled: 1-line block ×3, first 2 shown]
	s_wait_loadcnt 0x0
	v_fma_f64 v[46:47], v[58:59], v[46:47], v[53:54]
	global_store_b64 v[44:45], v[46:47], off
	s_clause 0x2
	global_load_b64 v[46:47], v[56:57], off
	global_load_b64 v[50:51], v[51:52], off
	;; [unrolled: 1-line block ×3, first 2 shown]
	s_wait_loadcnt 0x1
	v_fma_f64 v[46:47], -v[46:47], v[50:51], 1.0
	s_delay_alu instid0(VALU_DEP_1) | instskip(SKIP_1) | instid1(VALU_DEP_2)
	v_div_scale_f64 v[50:51], null, v[46:47], v[46:47], 1.0
	v_div_scale_f64 v[58:59], vcc_lo, 1.0, v[46:47], 1.0
	v_rcp_f64_e32 v[54:55], v[50:51]
	s_delay_alu instid0(TRANS32_DEP_1) | instskip(NEXT) | instid1(VALU_DEP_1)
	v_fma_f64 v[56:57], -v[50:51], v[54:55], 1.0
	v_fma_f64 v[54:55], v[54:55], v[56:57], v[54:55]
	s_delay_alu instid0(VALU_DEP_1) | instskip(NEXT) | instid1(VALU_DEP_1)
	v_fma_f64 v[56:57], -v[50:51], v[54:55], 1.0
	v_fma_f64 v[54:55], v[54:55], v[56:57], v[54:55]
	s_delay_alu instid0(VALU_DEP_1) | instskip(NEXT) | instid1(VALU_DEP_1)
	v_mul_f64_e32 v[56:57], v[58:59], v[54:55]
	v_fma_f64 v[50:51], -v[50:51], v[56:57], v[58:59]
	s_wait_alu 0xfffd
	s_delay_alu instid0(VALU_DEP_1) | instskip(NEXT) | instid1(VALU_DEP_1)
	v_div_fmas_f64 v[50:51], v[50:51], v[54:55], v[56:57]
	v_div_fixup_f64 v[50:51], v[50:51], v[46:47], 1.0
	v_lshlrev_b64_e32 v[46:47], 3, v[12:13]
	v_add_nc_u32_e32 v12, s7, v12
	s_delay_alu instid0(VALU_DEP_1) | instskip(NEXT) | instid1(VALU_DEP_3)
	v_lshlrev_b64_e32 v[54:55], 3, v[12:13]
	v_add_co_u32 v46, vcc_lo, s0, v46
	s_wait_alu 0xfffd
	s_delay_alu instid0(VALU_DEP_4) | instskip(NEXT) | instid1(VALU_DEP_3)
	v_add_co_ci_u32_e64 v47, null, s1, v47, vcc_lo
	v_add_co_u32 v54, vcc_lo, s0, v54
	s_wait_alu 0xfffd
	v_add_co_ci_u32_e64 v55, null, s1, v55, vcc_lo
	s_wait_loadcnt 0x0
	v_mul_f64_e32 v[52:53], v[52:53], v[50:51]
	global_store_b64 v[40:41], v[52:53], off
	global_load_b64 v[52:53], v[46:47], off
	s_wait_loadcnt 0x0
	v_mul_f64_e32 v[52:53], v[52:53], v[50:51]
	global_store_b64 v[46:47], v[52:53], off
	global_load_b64 v[52:53], v[42:43], off
	s_wait_loadcnt 0x0
	v_mul_f64_e32 v[52:53], v[50:51], v[52:53]
	global_store_b64 v[42:43], v[52:53], off
	global_load_b64 v[52:53], v[44:45], off
	s_wait_loadcnt 0x0
	v_mul_f64_e32 v[52:53], v[50:51], v[52:53]
	global_store_b64 v[44:45], v[52:53], off
	global_load_b64 v[52:53], v[54:55], off
	s_wait_loadcnt 0x0
	v_mul_f64_e32 v[50:51], v[50:51], v[52:53]
	global_store_b64 v[54:55], v[50:51], off
	s_clause 0x2
	global_load_b64 v[50:51], v[4:5], off
	global_load_b64 v[52:53], v[48:49], off
	;; [unrolled: 1-line block ×3, first 2 shown]
	s_wait_loadcnt 0x0
	v_fma_f64 v[50:51], v[52:53], v[56:57], v[50:51]
	global_store_b64 v[4:5], v[50:51], off
	s_clause 0x2
	global_load_b64 v[50:51], v[8:9], off
	global_load_b64 v[52:53], v[48:49], off
	;; [unrolled: 1-line block ×3, first 2 shown]
	s_wait_loadcnt 0x0
	v_fma_f64 v[50:51], v[52:53], v[56:57], v[50:51]
	global_store_b64 v[8:9], v[50:51], off
	s_clause 0x2
	global_load_b64 v[48:49], v[48:49], off
	global_load_b64 v[50:51], v[28:29], off
	;; [unrolled: 1-line block ×3, first 2 shown]
	s_wait_loadcnt 0x1
	v_fma_f64 v[48:49], -v[48:49], v[50:51], 1.0
	s_delay_alu instid0(VALU_DEP_1) | instskip(SKIP_1) | instid1(VALU_DEP_2)
	v_div_scale_f64 v[50:51], null, v[48:49], v[48:49], 1.0
	v_div_scale_f64 v[60:61], vcc_lo, 1.0, v[48:49], 1.0
	v_rcp_f64_e32 v[56:57], v[50:51]
	s_delay_alu instid0(TRANS32_DEP_1) | instskip(NEXT) | instid1(VALU_DEP_1)
	v_fma_f64 v[58:59], -v[50:51], v[56:57], 1.0
	v_fma_f64 v[56:57], v[56:57], v[58:59], v[56:57]
	s_delay_alu instid0(VALU_DEP_1) | instskip(NEXT) | instid1(VALU_DEP_1)
	v_fma_f64 v[58:59], -v[50:51], v[56:57], 1.0
	v_fma_f64 v[56:57], v[56:57], v[58:59], v[56:57]
	s_delay_alu instid0(VALU_DEP_1) | instskip(NEXT) | instid1(VALU_DEP_1)
	v_mul_f64_e32 v[58:59], v[60:61], v[56:57]
	v_fma_f64 v[50:51], -v[50:51], v[58:59], v[60:61]
	s_wait_alu 0xfffd
	s_delay_alu instid0(VALU_DEP_1) | instskip(NEXT) | instid1(VALU_DEP_1)
	v_div_fmas_f64 v[50:51], v[50:51], v[56:57], v[58:59]
	v_div_fixup_f64 v[48:49], v[50:51], v[48:49], 1.0
	s_wait_loadcnt 0x0
	s_delay_alu instid0(VALU_DEP_1)
	v_mul_f64_e32 v[50:51], v[52:53], v[48:49]
	global_store_b64 v[4:5], v[50:51], off
	global_load_b64 v[50:51], v[8:9], off
	s_wait_loadcnt 0x0
	v_mul_f64_e32 v[50:51], v[50:51], v[48:49]
	global_store_b64 v[8:9], v[50:51], off
	global_load_b64 v[50:51], v[10:11], off
	s_wait_loadcnt 0x0
	;; [unrolled: 4-line block ×4, first 2 shown]
	v_mul_f64_e32 v[48:49], v[48:49], v[50:51]
	global_store_b64 v[38:39], v[48:49], off
	s_clause 0x2
	global_load_b64 v[48:49], v[0:1], off
	global_load_b64 v[50:51], v[34:35], off
	;; [unrolled: 1-line block ×3, first 2 shown]
	s_wait_loadcnt 0x0
	v_fma_f64 v[18:19], v[50:51], v[18:19], v[48:49]
	global_store_b64 v[0:1], v[18:19], off
	s_clause 0x2
	global_load_b64 v[18:19], v[2:3], off
	global_load_b64 v[48:49], v[34:35], off
	;; [unrolled: 1-line block ×3, first 2 shown]
	s_wait_loadcnt 0x0
	v_fma_f64 v[18:19], v[48:49], v[28:29], v[18:19]
	global_store_b64 v[2:3], v[18:19], off
	s_clause 0x2
	global_load_b64 v[18:19], v[34:35], off
	global_load_b64 v[28:29], v[30:31], off
	;; [unrolled: 1-line block ×3, first 2 shown]
	s_wait_loadcnt 0x1
	v_fma_f64 v[18:19], -v[18:19], v[28:29], 1.0
	s_delay_alu instid0(VALU_DEP_1) | instskip(SKIP_1) | instid1(VALU_DEP_2)
	v_div_scale_f64 v[28:29], null, v[18:19], v[18:19], 1.0
	v_div_scale_f64 v[50:51], vcc_lo, 1.0, v[18:19], 1.0
	v_rcp_f64_e32 v[34:35], v[28:29]
	s_delay_alu instid0(TRANS32_DEP_1) | instskip(NEXT) | instid1(VALU_DEP_1)
	v_fma_f64 v[48:49], -v[28:29], v[34:35], 1.0
	v_fma_f64 v[34:35], v[34:35], v[48:49], v[34:35]
	s_delay_alu instid0(VALU_DEP_1) | instskip(NEXT) | instid1(VALU_DEP_1)
	v_fma_f64 v[48:49], -v[28:29], v[34:35], 1.0
	v_fma_f64 v[34:35], v[34:35], v[48:49], v[34:35]
	s_delay_alu instid0(VALU_DEP_1) | instskip(NEXT) | instid1(VALU_DEP_1)
	v_mul_f64_e32 v[48:49], v[50:51], v[34:35]
	v_fma_f64 v[28:29], -v[28:29], v[48:49], v[50:51]
	s_wait_alu 0xfffd
	s_delay_alu instid0(VALU_DEP_1) | instskip(NEXT) | instid1(VALU_DEP_1)
	v_div_fmas_f64 v[28:29], v[28:29], v[34:35], v[48:49]
	v_div_fixup_f64 v[18:19], v[28:29], v[18:19], 1.0
	s_wait_loadcnt 0x0
	s_delay_alu instid0(VALU_DEP_1)
	v_mul_f64_e32 v[28:29], v[30:31], v[18:19]
	global_store_b64 v[0:1], v[28:29], off
	global_load_b64 v[28:29], v[2:3], off
	s_wait_loadcnt 0x0
	v_mul_f64_e32 v[28:29], v[28:29], v[18:19]
	global_store_b64 v[2:3], v[28:29], off
	global_load_b64 v[28:29], v[26:27], off
	s_wait_loadcnt 0x0
	;; [unrolled: 4-line block ×4, first 2 shown]
	v_mul_f64_e32 v[18:19], v[18:19], v[28:29]
	v_mad_co_u64_u32 v[28:29], null, s2, -12, v[12:13]
	v_mov_b32_e32 v29, v13
	s_delay_alu instid0(VALU_DEP_1) | instskip(SKIP_1) | instid1(VALU_DEP_2)
	v_lshlrev_b64_e32 v[29:30], 3, v[28:29]
	v_add_nc_u32_e32 v12, s4, v28
	v_add_co_u32 v29, vcc_lo, s0, v29
	s_wait_alu 0xfffd
	s_delay_alu instid0(VALU_DEP_3)
	v_add_co_ci_u32_e64 v30, null, s1, v30, vcc_lo
	global_store_b64 v[20:21], v[18:19], off
	s_clause 0x2
	global_load_b64 v[18:19], v[4:5], off
	global_load_b64 v[34:35], v[38:39], off
	;; [unrolled: 1-line block ×3, first 2 shown]
	s_wait_loadcnt 0x0
	v_fma_f64 v[18:19], v[34:35], v[48:49], v[18:19]
	v_lshlrev_b64_e32 v[34:35], 3, v[12:13]
	v_add_nc_u32_e32 v12, s5, v12
	s_delay_alu instid0(VALU_DEP_2) | instskip(SKIP_1) | instid1(VALU_DEP_3)
	v_add_co_u32 v34, vcc_lo, s0, v34
	s_wait_alu 0xfffd
	v_add_co_ci_u32_e64 v35, null, s1, v35, vcc_lo
	global_store_b64 v[4:5], v[18:19], off
	s_clause 0x2
	global_load_b64 v[18:19], v[8:9], off
	global_load_b64 v[48:49], v[38:39], off
	;; [unrolled: 1-line block ×3, first 2 shown]
	s_wait_loadcnt 0x0
	v_fma_f64 v[18:19], v[48:49], v[50:51], v[18:19]
	v_lshlrev_b64_e32 v[48:49], 3, v[12:13]
	v_add_nc_u32_e32 v12, s6, v12
	s_delay_alu instid0(VALU_DEP_2) | instskip(SKIP_1) | instid1(VALU_DEP_3)
	v_add_co_u32 v48, vcc_lo, s0, v48
	s_wait_alu 0xfffd
	v_add_co_ci_u32_e64 v49, null, s1, v49, vcc_lo
	global_store_b64 v[8:9], v[18:19], off
	s_clause 0x2
	global_load_b64 v[18:19], v[10:11], off
	global_load_b64 v[50:51], v[38:39], off
	;; [unrolled: 1-line block ×3, first 2 shown]
	s_wait_loadcnt 0x0
	v_fma_f64 v[18:19], v[50:51], v[52:53], v[18:19]
	v_lshlrev_b64_e32 v[50:51], 3, v[12:13]
	v_add_nc_u32_e32 v12, s3, v12
	s_delay_alu instid0(VALU_DEP_1) | instskip(NEXT) | instid1(VALU_DEP_3)
	v_lshlrev_b64_e32 v[12:13], 3, v[12:13]
	v_add_co_u32 v50, vcc_lo, s0, v50
	s_wait_alu 0xfffd
	s_delay_alu instid0(VALU_DEP_4) | instskip(NEXT) | instid1(VALU_DEP_3)
	v_add_co_ci_u32_e64 v51, null, s1, v51, vcc_lo
	v_add_co_u32 v12, vcc_lo, s0, v12
	s_wait_alu 0xfffd
	v_add_co_ci_u32_e64 v13, null, s1, v13, vcc_lo
	global_store_b64 v[10:11], v[18:19], off
	s_clause 0x2
	global_load_b64 v[18:19], v[22:23], off
	global_load_b64 v[52:53], v[38:39], off
	;; [unrolled: 1-line block ×3, first 2 shown]
	s_wait_loadcnt 0x0
	v_fma_f64 v[18:19], v[52:53], v[56:57], v[18:19]
	global_store_b64 v[22:23], v[18:19], off
	s_clause 0x2
	global_load_b64 v[18:19], v[38:39], off
	global_load_b64 v[38:39], v[12:13], off
	;; [unrolled: 1-line block ×3, first 2 shown]
	s_wait_loadcnt 0x1
	v_fma_f64 v[18:19], -v[18:19], v[38:39], 1.0
	s_delay_alu instid0(VALU_DEP_1) | instskip(SKIP_1) | instid1(VALU_DEP_2)
	v_div_scale_f64 v[38:39], null, v[18:19], v[18:19], 1.0
	v_div_scale_f64 v[60:61], vcc_lo, 1.0, v[18:19], 1.0
	v_rcp_f64_e32 v[56:57], v[38:39]
	s_delay_alu instid0(TRANS32_DEP_1) | instskip(NEXT) | instid1(VALU_DEP_1)
	v_fma_f64 v[58:59], -v[38:39], v[56:57], 1.0
	v_fma_f64 v[56:57], v[56:57], v[58:59], v[56:57]
	s_delay_alu instid0(VALU_DEP_1) | instskip(NEXT) | instid1(VALU_DEP_1)
	v_fma_f64 v[58:59], -v[38:39], v[56:57], 1.0
	v_fma_f64 v[56:57], v[56:57], v[58:59], v[56:57]
	s_delay_alu instid0(VALU_DEP_1) | instskip(NEXT) | instid1(VALU_DEP_1)
	v_mul_f64_e32 v[58:59], v[60:61], v[56:57]
	v_fma_f64 v[38:39], -v[38:39], v[58:59], v[60:61]
	s_wait_alu 0xfffd
	s_delay_alu instid0(VALU_DEP_1) | instskip(NEXT) | instid1(VALU_DEP_1)
	v_div_fmas_f64 v[38:39], v[38:39], v[56:57], v[58:59]
	v_div_fixup_f64 v[18:19], v[38:39], v[18:19], 1.0
	s_wait_loadcnt 0x0
	s_delay_alu instid0(VALU_DEP_1)
	v_mul_f64_e32 v[38:39], v[52:53], v[18:19]
	global_store_b64 v[4:5], v[38:39], off
	global_load_b64 v[38:39], v[8:9], off
	s_wait_loadcnt 0x0
	v_mul_f64_e32 v[38:39], v[38:39], v[18:19]
	global_store_b64 v[8:9], v[38:39], off
	global_load_b64 v[38:39], v[10:11], off
	s_wait_loadcnt 0x0
	;; [unrolled: 4-line block ×3, first 2 shown]
	v_mul_f64_e32 v[18:19], v[18:19], v[38:39]
	global_store_b64 v[22:23], v[18:19], off
	s_clause 0x2
	global_load_b64 v[18:19], v[0:1], off
	global_load_b64 v[38:39], v[20:21], off
	global_load_b64 v[52:53], v[29:30], off
	s_wait_loadcnt 0x0
	v_fma_f64 v[18:19], v[38:39], v[52:53], v[18:19]
	global_store_b64 v[0:1], v[18:19], off
	s_clause 0x2
	global_load_b64 v[18:19], v[2:3], off
	global_load_b64 v[38:39], v[20:21], off
	global_load_b64 v[52:53], v[12:13], off
	s_wait_loadcnt 0x0
	v_fma_f64 v[18:19], v[38:39], v[52:53], v[18:19]
	;; [unrolled: 7-line block ×4, first 2 shown]
	global_store_b64 v[6:7], v[18:19], off
	s_clause 0x2
	global_load_b64 v[18:19], v[20:21], off
	global_load_b64 v[20:21], v[34:35], off
	;; [unrolled: 1-line block ×3, first 2 shown]
	s_wait_loadcnt 0x1
	v_fma_f64 v[18:19], -v[18:19], v[20:21], 1.0
	s_delay_alu instid0(VALU_DEP_1) | instskip(SKIP_1) | instid1(VALU_DEP_2)
	v_div_scale_f64 v[20:21], null, v[18:19], v[18:19], 1.0
	v_div_scale_f64 v[58:59], vcc_lo, 1.0, v[18:19], 1.0
	v_rcp_f64_e32 v[52:53], v[20:21]
	s_delay_alu instid0(TRANS32_DEP_1) | instskip(NEXT) | instid1(VALU_DEP_1)
	v_fma_f64 v[56:57], -v[20:21], v[52:53], 1.0
	v_fma_f64 v[52:53], v[52:53], v[56:57], v[52:53]
	s_delay_alu instid0(VALU_DEP_1) | instskip(NEXT) | instid1(VALU_DEP_1)
	v_fma_f64 v[56:57], -v[20:21], v[52:53], 1.0
	v_fma_f64 v[52:53], v[52:53], v[56:57], v[52:53]
	s_delay_alu instid0(VALU_DEP_1) | instskip(NEXT) | instid1(VALU_DEP_1)
	v_mul_f64_e32 v[56:57], v[58:59], v[52:53]
	v_fma_f64 v[20:21], -v[20:21], v[56:57], v[58:59]
	s_wait_alu 0xfffd
	s_delay_alu instid0(VALU_DEP_1) | instskip(NEXT) | instid1(VALU_DEP_1)
	v_div_fmas_f64 v[20:21], v[20:21], v[52:53], v[56:57]
	v_div_fixup_f64 v[18:19], v[20:21], v[18:19], 1.0
	s_wait_loadcnt 0x0
	s_delay_alu instid0(VALU_DEP_1)
	v_mul_f64_e32 v[20:21], v[38:39], v[18:19]
	global_store_b64 v[0:1], v[20:21], off
	global_load_b64 v[20:21], v[2:3], off
	s_wait_loadcnt 0x0
	v_mul_f64_e32 v[20:21], v[20:21], v[18:19]
	global_store_b64 v[2:3], v[20:21], off
	global_load_b64 v[20:21], v[26:27], off
	s_wait_loadcnt 0x0
	;; [unrolled: 4-line block ×3, first 2 shown]
	v_mul_f64_e32 v[18:19], v[18:19], v[20:21]
	global_store_b64 v[6:7], v[18:19], off
	s_clause 0x2
	global_load_b64 v[18:19], v[14:15], off
	global_load_b64 v[20:21], v[36:37], off
	global_load_b64 v[38:39], v[29:30], off
	s_wait_loadcnt 0x0
	v_fma_f64 v[18:19], v[20:21], v[38:39], v[18:19]
	global_store_b64 v[14:15], v[18:19], off
	s_clause 0x2
	global_load_b64 v[18:19], v[16:17], off
	global_load_b64 v[20:21], v[36:37], off
	global_load_b64 v[38:39], v[12:13], off
	s_wait_loadcnt 0x0
	v_fma_f64 v[18:19], v[20:21], v[38:39], v[18:19]
	;; [unrolled: 7-line block ×4, first 2 shown]
	global_store_b64 v[24:25], v[18:19], off
	s_clause 0x2
	global_load_b64 v[18:19], v[36:37], off
	global_load_b64 v[20:21], v[48:49], off
	;; [unrolled: 1-line block ×3, first 2 shown]
	s_wait_loadcnt 0x1
	v_fma_f64 v[18:19], -v[18:19], v[20:21], 1.0
	s_delay_alu instid0(VALU_DEP_1) | instskip(SKIP_1) | instid1(VALU_DEP_2)
	v_div_scale_f64 v[20:21], null, v[18:19], v[18:19], 1.0
	v_div_scale_f64 v[56:57], vcc_lo, 1.0, v[18:19], 1.0
	v_rcp_f64_e32 v[38:39], v[20:21]
	s_delay_alu instid0(TRANS32_DEP_1) | instskip(NEXT) | instid1(VALU_DEP_1)
	v_fma_f64 v[52:53], -v[20:21], v[38:39], 1.0
	v_fma_f64 v[38:39], v[38:39], v[52:53], v[38:39]
	s_delay_alu instid0(VALU_DEP_1) | instskip(NEXT) | instid1(VALU_DEP_1)
	v_fma_f64 v[52:53], -v[20:21], v[38:39], 1.0
	v_fma_f64 v[38:39], v[38:39], v[52:53], v[38:39]
	s_delay_alu instid0(VALU_DEP_1) | instskip(NEXT) | instid1(VALU_DEP_1)
	v_mul_f64_e32 v[52:53], v[56:57], v[38:39]
	v_fma_f64 v[20:21], -v[20:21], v[52:53], v[56:57]
	s_wait_alu 0xfffd
	s_delay_alu instid0(VALU_DEP_1) | instskip(NEXT) | instid1(VALU_DEP_1)
	v_div_fmas_f64 v[20:21], v[20:21], v[38:39], v[52:53]
	v_div_fixup_f64 v[18:19], v[20:21], v[18:19], 1.0
	s_wait_loadcnt 0x0
	s_delay_alu instid0(VALU_DEP_1)
	v_mul_f64_e32 v[20:21], v[36:37], v[18:19]
	global_store_b64 v[14:15], v[20:21], off
	global_load_b64 v[20:21], v[16:17], off
	s_wait_loadcnt 0x0
	v_mul_f64_e32 v[20:21], v[20:21], v[18:19]
	global_store_b64 v[16:17], v[20:21], off
	global_load_b64 v[20:21], v[32:33], off
	s_wait_loadcnt 0x0
	;; [unrolled: 4-line block ×3, first 2 shown]
	v_mul_f64_e32 v[18:19], v[18:19], v[20:21]
	global_store_b64 v[24:25], v[18:19], off
	s_clause 0x2
	global_load_b64 v[18:19], v[40:41], off
	global_load_b64 v[20:21], v[54:55], off
	global_load_b64 v[28:29], v[29:30], off
	s_wait_loadcnt 0x0
	v_fma_f64 v[18:19], v[20:21], v[28:29], v[18:19]
	global_store_b64 v[40:41], v[18:19], off
	s_clause 0x2
	global_load_b64 v[18:19], v[46:47], off
	global_load_b64 v[20:21], v[54:55], off
	global_load_b64 v[12:13], v[12:13], off
	s_wait_loadcnt 0x0
	v_fma_f64 v[12:13], v[20:21], v[12:13], v[18:19]
	global_store_b64 v[46:47], v[12:13], off
	s_clause 0x2
	global_load_b64 v[12:13], v[42:43], off
	global_load_b64 v[18:19], v[54:55], off
	global_load_b64 v[20:21], v[34:35], off
	s_wait_loadcnt 0x0
	v_fma_f64 v[12:13], v[18:19], v[20:21], v[12:13]
	global_store_b64 v[42:43], v[12:13], off
	s_clause 0x2
	global_load_b64 v[12:13], v[44:45], off
	global_load_b64 v[18:19], v[54:55], off
	global_load_b64 v[20:21], v[48:49], off
	s_wait_loadcnt 0x0
	v_fma_f64 v[12:13], v[18:19], v[20:21], v[12:13]
	global_store_b64 v[44:45], v[12:13], off
	s_clause 0x2
	global_load_b64 v[12:13], v[54:55], off
	global_load_b64 v[18:19], v[50:51], off
	;; [unrolled: 1-line block ×3, first 2 shown]
	s_wait_loadcnt 0x1
	v_fma_f64 v[12:13], -v[12:13], v[18:19], 1.0
	s_delay_alu instid0(VALU_DEP_1) | instskip(SKIP_1) | instid1(VALU_DEP_2)
	v_div_scale_f64 v[18:19], null, v[12:13], v[12:13], 1.0
	v_div_scale_f64 v[34:35], vcc_lo, 1.0, v[12:13], 1.0
	v_rcp_f64_e32 v[28:29], v[18:19]
	s_delay_alu instid0(TRANS32_DEP_1) | instskip(NEXT) | instid1(VALU_DEP_1)
	v_fma_f64 v[30:31], -v[18:19], v[28:29], 1.0
	v_fma_f64 v[28:29], v[28:29], v[30:31], v[28:29]
	s_delay_alu instid0(VALU_DEP_1) | instskip(NEXT) | instid1(VALU_DEP_1)
	v_fma_f64 v[30:31], -v[18:19], v[28:29], 1.0
	v_fma_f64 v[28:29], v[28:29], v[30:31], v[28:29]
	s_delay_alu instid0(VALU_DEP_1) | instskip(NEXT) | instid1(VALU_DEP_1)
	v_mul_f64_e32 v[30:31], v[34:35], v[28:29]
	v_fma_f64 v[18:19], -v[18:19], v[30:31], v[34:35]
	s_wait_alu 0xfffd
	s_delay_alu instid0(VALU_DEP_1) | instskip(NEXT) | instid1(VALU_DEP_1)
	v_div_fmas_f64 v[18:19], v[18:19], v[28:29], v[30:31]
	v_div_fixup_f64 v[12:13], v[18:19], v[12:13], 1.0
	s_wait_loadcnt 0x0
	s_delay_alu instid0(VALU_DEP_1)
	v_mul_f64_e32 v[18:19], v[20:21], v[12:13]
	global_store_b64 v[40:41], v[18:19], off
	global_load_b64 v[18:19], v[46:47], off
	s_wait_loadcnt 0x0
	v_mul_f64_e32 v[18:19], v[18:19], v[12:13]
	global_store_b64 v[46:47], v[18:19], off
	global_load_b64 v[18:19], v[42:43], off
	s_wait_loadcnt 0x0
	;; [unrolled: 4-line block ×3, first 2 shown]
	v_mul_f64_e32 v[12:13], v[12:13], v[18:19]
	global_store_b64 v[44:45], v[12:13], off
	s_clause 0x2
	global_load_b64 v[12:13], v[4:5], off
	global_load_b64 v[18:19], v[22:23], off
	global_load_b64 v[20:21], v[40:41], off
	s_wait_loadcnt 0x0
	v_fma_f64 v[12:13], v[18:19], v[20:21], v[12:13]
	global_store_b64 v[4:5], v[12:13], off
	s_clause 0x2
	global_load_b64 v[12:13], v[8:9], off
	global_load_b64 v[18:19], v[22:23], off
	global_load_b64 v[20:21], v[42:43], off
	s_wait_loadcnt 0x0
	v_fma_f64 v[12:13], v[18:19], v[20:21], v[12:13]
	global_store_b64 v[8:9], v[12:13], off
	s_clause 0x2
	global_load_b64 v[12:13], v[10:11], off
	global_load_b64 v[18:19], v[22:23], off
	global_load_b64 v[20:21], v[44:45], off
	s_wait_loadcnt 0x0
	v_fma_f64 v[12:13], v[18:19], v[20:21], v[12:13]
	global_store_b64 v[10:11], v[12:13], off
	s_clause 0x2
	global_load_b64 v[12:13], v[22:23], off
	global_load_b64 v[18:19], v[46:47], off
	global_load_b64 v[20:21], v[4:5], off
	s_wait_loadcnt 0x1
	v_fma_f64 v[12:13], -v[12:13], v[18:19], 1.0
	s_delay_alu instid0(VALU_DEP_1) | instskip(SKIP_1) | instid1(VALU_DEP_2)
	v_div_scale_f64 v[18:19], null, v[12:13], v[12:13], 1.0
	v_div_scale_f64 v[30:31], vcc_lo, 1.0, v[12:13], 1.0
	v_rcp_f64_e32 v[22:23], v[18:19]
	s_delay_alu instid0(TRANS32_DEP_1) | instskip(NEXT) | instid1(VALU_DEP_1)
	v_fma_f64 v[28:29], -v[18:19], v[22:23], 1.0
	v_fma_f64 v[22:23], v[22:23], v[28:29], v[22:23]
	s_delay_alu instid0(VALU_DEP_1) | instskip(NEXT) | instid1(VALU_DEP_1)
	v_fma_f64 v[28:29], -v[18:19], v[22:23], 1.0
	v_fma_f64 v[22:23], v[22:23], v[28:29], v[22:23]
	s_delay_alu instid0(VALU_DEP_1) | instskip(NEXT) | instid1(VALU_DEP_1)
	v_mul_f64_e32 v[28:29], v[30:31], v[22:23]
	v_fma_f64 v[18:19], -v[18:19], v[28:29], v[30:31]
	s_wait_alu 0xfffd
	s_delay_alu instid0(VALU_DEP_1) | instskip(NEXT) | instid1(VALU_DEP_1)
	v_div_fmas_f64 v[18:19], v[18:19], v[22:23], v[28:29]
	v_div_fixup_f64 v[12:13], v[18:19], v[12:13], 1.0
	s_wait_loadcnt 0x0
	s_delay_alu instid0(VALU_DEP_1)
	v_mul_f64_e32 v[18:19], v[20:21], v[12:13]
	global_store_b64 v[4:5], v[18:19], off
	global_load_b64 v[18:19], v[8:9], off
	s_wait_loadcnt 0x0
	v_mul_f64_e32 v[18:19], v[18:19], v[12:13]
	global_store_b64 v[8:9], v[18:19], off
	global_load_b64 v[18:19], v[10:11], off
	s_wait_loadcnt 0x0
	v_mul_f64_e32 v[12:13], v[12:13], v[18:19]
	global_store_b64 v[10:11], v[12:13], off
	s_clause 0x2
	global_load_b64 v[12:13], v[0:1], off
	global_load_b64 v[18:19], v[6:7], off
	global_load_b64 v[20:21], v[40:41], off
	s_wait_loadcnt 0x0
	v_fma_f64 v[12:13], v[18:19], v[20:21], v[12:13]
	global_store_b64 v[0:1], v[12:13], off
	s_clause 0x2
	global_load_b64 v[12:13], v[2:3], off
	global_load_b64 v[18:19], v[6:7], off
	global_load_b64 v[20:21], v[46:47], off
	s_wait_loadcnt 0x0
	v_fma_f64 v[12:13], v[18:19], v[20:21], v[12:13]
	global_store_b64 v[2:3], v[12:13], off
	s_clause 0x2
	global_load_b64 v[12:13], v[26:27], off
	global_load_b64 v[18:19], v[44:45], off
	global_load_b64 v[20:21], v[6:7], off
	s_wait_loadcnt 0x0
	v_fma_f64 v[12:13], v[20:21], v[18:19], v[12:13]
	global_store_b64 v[26:27], v[12:13], off
	s_clause 0x2
	global_load_b64 v[6:7], v[6:7], off
	global_load_b64 v[12:13], v[42:43], off
	global_load_b64 v[18:19], v[0:1], off
	s_wait_loadcnt 0x1
	v_fma_f64 v[6:7], -v[6:7], v[12:13], 1.0
	s_delay_alu instid0(VALU_DEP_1) | instskip(SKIP_1) | instid1(VALU_DEP_2)
	v_div_scale_f64 v[12:13], null, v[6:7], v[6:7], 1.0
	v_div_scale_f64 v[28:29], vcc_lo, 1.0, v[6:7], 1.0
	v_rcp_f64_e32 v[20:21], v[12:13]
	s_delay_alu instid0(TRANS32_DEP_1) | instskip(NEXT) | instid1(VALU_DEP_1)
	v_fma_f64 v[22:23], -v[12:13], v[20:21], 1.0
	v_fma_f64 v[20:21], v[20:21], v[22:23], v[20:21]
	s_delay_alu instid0(VALU_DEP_1) | instskip(NEXT) | instid1(VALU_DEP_1)
	v_fma_f64 v[22:23], -v[12:13], v[20:21], 1.0
	v_fma_f64 v[20:21], v[20:21], v[22:23], v[20:21]
	s_delay_alu instid0(VALU_DEP_1) | instskip(NEXT) | instid1(VALU_DEP_1)
	v_mul_f64_e32 v[22:23], v[28:29], v[20:21]
	v_fma_f64 v[12:13], -v[12:13], v[22:23], v[28:29]
	s_wait_alu 0xfffd
	s_delay_alu instid0(VALU_DEP_1) | instskip(NEXT) | instid1(VALU_DEP_1)
	v_div_fmas_f64 v[12:13], v[12:13], v[20:21], v[22:23]
	v_div_fixup_f64 v[6:7], v[12:13], v[6:7], 1.0
	s_wait_loadcnt 0x0
	s_delay_alu instid0(VALU_DEP_1)
	v_mul_f64_e32 v[12:13], v[18:19], v[6:7]
	global_store_b64 v[0:1], v[12:13], off
	global_load_b64 v[12:13], v[2:3], off
	s_wait_loadcnt 0x0
	v_mul_f64_e32 v[12:13], v[12:13], v[6:7]
	global_store_b64 v[2:3], v[12:13], off
	global_load_b64 v[12:13], v[26:27], off
	s_wait_loadcnt 0x0
	;; [unrolled: 56-line block ×3, first 2 shown]
	v_mul_f64_e32 v[6:7], v[6:7], v[12:13]
	global_store_b64 v[32:33], v[6:7], off
	s_clause 0x2
	global_load_b64 v[6:7], v[4:5], off
	global_load_b64 v[12:13], v[10:11], off
	global_load_b64 v[18:19], v[14:15], off
	s_wait_loadcnt 0x0
	v_fma_f64 v[6:7], v[12:13], v[18:19], v[6:7]
	global_store_b64 v[4:5], v[6:7], off
	s_clause 0x2
	global_load_b64 v[6:7], v[8:9], off
	global_load_b64 v[12:13], v[32:33], off
	;; [unrolled: 1-line block ×3, first 2 shown]
	s_wait_loadcnt 0x0
	v_fma_f64 v[6:7], v[18:19], v[12:13], v[6:7]
	global_store_b64 v[8:9], v[6:7], off
	s_clause 0x2
	global_load_b64 v[6:7], v[10:11], off
	global_load_b64 v[10:11], v[16:17], off
	;; [unrolled: 1-line block ×3, first 2 shown]
	s_wait_loadcnt 0x1
	v_fma_f64 v[6:7], -v[6:7], v[10:11], 1.0
	s_delay_alu instid0(VALU_DEP_1) | instskip(SKIP_1) | instid1(VALU_DEP_2)
	v_div_scale_f64 v[10:11], null, v[6:7], v[6:7], 1.0
	v_div_scale_f64 v[22:23], vcc_lo, 1.0, v[6:7], 1.0
	v_rcp_f64_e32 v[18:19], v[10:11]
	s_delay_alu instid0(TRANS32_DEP_1) | instskip(NEXT) | instid1(VALU_DEP_1)
	v_fma_f64 v[20:21], -v[10:11], v[18:19], 1.0
	v_fma_f64 v[18:19], v[18:19], v[20:21], v[18:19]
	s_delay_alu instid0(VALU_DEP_1) | instskip(NEXT) | instid1(VALU_DEP_1)
	v_fma_f64 v[20:21], -v[10:11], v[18:19], 1.0
	v_fma_f64 v[18:19], v[18:19], v[20:21], v[18:19]
	s_delay_alu instid0(VALU_DEP_1) | instskip(NEXT) | instid1(VALU_DEP_1)
	v_mul_f64_e32 v[20:21], v[22:23], v[18:19]
	v_fma_f64 v[10:11], -v[10:11], v[20:21], v[22:23]
	s_wait_alu 0xfffd
	s_delay_alu instid0(VALU_DEP_1) | instskip(NEXT) | instid1(VALU_DEP_1)
	v_div_fmas_f64 v[10:11], v[10:11], v[18:19], v[20:21]
	v_div_fixup_f64 v[6:7], v[10:11], v[6:7], 1.0
	s_wait_loadcnt 0x0
	s_delay_alu instid0(VALU_DEP_1)
	v_mul_f64_e32 v[10:11], v[12:13], v[6:7]
	global_store_b64 v[4:5], v[10:11], off
	global_load_b64 v[10:11], v[8:9], off
	s_wait_loadcnt 0x0
	v_mul_f64_e32 v[6:7], v[10:11], v[6:7]
	global_store_b64 v[8:9], v[6:7], off
	s_clause 0x2
	global_load_b64 v[6:7], v[0:1], off
	global_load_b64 v[10:11], v[26:27], off
	;; [unrolled: 1-line block ×3, first 2 shown]
	s_wait_loadcnt 0x0
	v_fma_f64 v[6:7], v[10:11], v[12:13], v[6:7]
	global_store_b64 v[0:1], v[6:7], off
	s_clause 0x2
	global_load_b64 v[6:7], v[2:3], off
	global_load_b64 v[10:11], v[26:27], off
	;; [unrolled: 1-line block ×3, first 2 shown]
	s_wait_loadcnt 0x0
	v_fma_f64 v[6:7], v[10:11], v[12:13], v[6:7]
	global_store_b64 v[2:3], v[6:7], off
	s_clause 0x2
	global_load_b64 v[6:7], v[26:27], off
	global_load_b64 v[10:11], v[32:33], off
	;; [unrolled: 1-line block ×3, first 2 shown]
	s_wait_loadcnt 0x1
	v_fma_f64 v[6:7], -v[6:7], v[10:11], 1.0
	s_delay_alu instid0(VALU_DEP_1) | instskip(SKIP_1) | instid1(VALU_DEP_2)
	v_div_scale_f64 v[10:11], null, v[6:7], v[6:7], 1.0
	v_div_scale_f64 v[18:19], vcc_lo, 1.0, v[6:7], 1.0
	v_rcp_f64_e32 v[14:15], v[10:11]
	s_delay_alu instid0(TRANS32_DEP_1) | instskip(NEXT) | instid1(VALU_DEP_1)
	v_fma_f64 v[16:17], -v[10:11], v[14:15], 1.0
	v_fma_f64 v[14:15], v[14:15], v[16:17], v[14:15]
	s_delay_alu instid0(VALU_DEP_1) | instskip(NEXT) | instid1(VALU_DEP_1)
	v_fma_f64 v[16:17], -v[10:11], v[14:15], 1.0
	v_fma_f64 v[14:15], v[14:15], v[16:17], v[14:15]
	s_delay_alu instid0(VALU_DEP_1) | instskip(NEXT) | instid1(VALU_DEP_1)
	v_mul_f64_e32 v[16:17], v[18:19], v[14:15]
	v_fma_f64 v[10:11], -v[10:11], v[16:17], v[18:19]
	s_wait_alu 0xfffd
	s_delay_alu instid0(VALU_DEP_1) | instskip(NEXT) | instid1(VALU_DEP_1)
	v_div_fmas_f64 v[10:11], v[10:11], v[14:15], v[16:17]
	v_div_fixup_f64 v[6:7], v[10:11], v[6:7], 1.0
	s_wait_loadcnt 0x0
	s_delay_alu instid0(VALU_DEP_1)
	v_mul_f64_e32 v[10:11], v[12:13], v[6:7]
	global_store_b64 v[0:1], v[10:11], off
	global_load_b64 v[10:11], v[2:3], off
	s_wait_loadcnt 0x0
	v_mul_f64_e32 v[6:7], v[10:11], v[6:7]
	global_store_b64 v[2:3], v[6:7], off
	s_clause 0x2
	global_load_b64 v[6:7], v[4:5], off
	global_load_b64 v[10:11], v[8:9], off
	;; [unrolled: 1-line block ×3, first 2 shown]
	s_wait_loadcnt 0x0
	v_fma_f64 v[0:1], v[10:11], v[0:1], v[6:7]
	global_store_b64 v[4:5], v[0:1], off
	s_clause 0x1
	global_load_b64 v[6:7], v[8:9], off
	global_load_b64 v[2:3], v[2:3], off
	s_wait_loadcnt 0x0
	v_fma_f64 v[2:3], -v[6:7], v[2:3], 1.0
	s_delay_alu instid0(VALU_DEP_1) | instskip(NEXT) | instid1(VALU_DEP_1)
	v_div_scale_f64 v[6:7], null, v[2:3], v[2:3], 1.0
	v_rcp_f64_e32 v[8:9], v[6:7]
	s_delay_alu instid0(TRANS32_DEP_1) | instskip(NEXT) | instid1(VALU_DEP_1)
	v_fma_f64 v[10:11], -v[6:7], v[8:9], 1.0
	v_fma_f64 v[8:9], v[8:9], v[10:11], v[8:9]
	s_delay_alu instid0(VALU_DEP_1) | instskip(NEXT) | instid1(VALU_DEP_1)
	v_fma_f64 v[10:11], -v[6:7], v[8:9], 1.0
	v_fma_f64 v[8:9], v[8:9], v[10:11], v[8:9]
	v_div_scale_f64 v[10:11], vcc_lo, 1.0, v[2:3], 1.0
	s_delay_alu instid0(VALU_DEP_1) | instskip(NEXT) | instid1(VALU_DEP_1)
	v_mul_f64_e32 v[12:13], v[10:11], v[8:9]
	v_fma_f64 v[6:7], -v[6:7], v[12:13], v[10:11]
	s_wait_alu 0xfffd
	s_delay_alu instid0(VALU_DEP_1) | instskip(NEXT) | instid1(VALU_DEP_1)
	v_div_fmas_f64 v[6:7], v[6:7], v[8:9], v[12:13]
	v_div_fixup_f64 v[2:3], v[6:7], v[2:3], 1.0
	s_delay_alu instid0(VALU_DEP_1)
	v_mul_f64_e32 v[0:1], v[0:1], v[2:3]
	global_store_b64 v[4:5], v[0:1], off
	s_endpgm
	.section	.rodata,"a",@progbits
	.p2align	6, 0x0
	.amdhsa_kernel _Z12qssab_kernelIdEvPT_S1_S1_
		.amdhsa_group_segment_fixed_size 0
		.amdhsa_private_segment_fixed_size 0
		.amdhsa_kernarg_size 280
		.amdhsa_user_sgpr_count 2
		.amdhsa_user_sgpr_dispatch_ptr 0
		.amdhsa_user_sgpr_queue_ptr 0
		.amdhsa_user_sgpr_kernarg_segment_ptr 1
		.amdhsa_user_sgpr_dispatch_id 0
		.amdhsa_user_sgpr_private_segment_size 0
		.amdhsa_wavefront_size32 1
		.amdhsa_uses_dynamic_stack 0
		.amdhsa_enable_private_segment 0
		.amdhsa_system_sgpr_workgroup_id_x 1
		.amdhsa_system_sgpr_workgroup_id_y 0
		.amdhsa_system_sgpr_workgroup_id_z 0
		.amdhsa_system_sgpr_workgroup_info 0
		.amdhsa_system_vgpr_workitem_id 0
		.amdhsa_next_free_vgpr 64
		.amdhsa_next_free_sgpr 10
		.amdhsa_reserve_vcc 1
		.amdhsa_float_round_mode_32 0
		.amdhsa_float_round_mode_16_64 0
		.amdhsa_float_denorm_mode_32 3
		.amdhsa_float_denorm_mode_16_64 3
		.amdhsa_fp16_overflow 0
		.amdhsa_workgroup_processor_mode 1
		.amdhsa_memory_ordered 1
		.amdhsa_forward_progress 1
		.amdhsa_inst_pref_size 80
		.amdhsa_round_robin_scheduling 0
		.amdhsa_exception_fp_ieee_invalid_op 0
		.amdhsa_exception_fp_denorm_src 0
		.amdhsa_exception_fp_ieee_div_zero 0
		.amdhsa_exception_fp_ieee_overflow 0
		.amdhsa_exception_fp_ieee_underflow 0
		.amdhsa_exception_fp_ieee_inexact 0
		.amdhsa_exception_int_div_zero 0
	.end_amdhsa_kernel
	.section	.text._Z12qssab_kernelIdEvPT_S1_S1_,"axG",@progbits,_Z12qssab_kernelIdEvPT_S1_S1_,comdat
.Lfunc_end44:
	.size	_Z12qssab_kernelIdEvPT_S1_S1_, .Lfunc_end44-_Z12qssab_kernelIdEvPT_S1_S1_
                                        ; -- End function
	.set _Z12qssab_kernelIdEvPT_S1_S1_.num_vgpr, 64
	.set _Z12qssab_kernelIdEvPT_S1_S1_.num_agpr, 0
	.set _Z12qssab_kernelIdEvPT_S1_S1_.numbered_sgpr, 10
	.set _Z12qssab_kernelIdEvPT_S1_S1_.num_named_barrier, 0
	.set _Z12qssab_kernelIdEvPT_S1_S1_.private_seg_size, 0
	.set _Z12qssab_kernelIdEvPT_S1_S1_.uses_vcc, 1
	.set _Z12qssab_kernelIdEvPT_S1_S1_.uses_flat_scratch, 0
	.set _Z12qssab_kernelIdEvPT_S1_S1_.has_dyn_sized_stack, 0
	.set _Z12qssab_kernelIdEvPT_S1_S1_.has_recursion, 0
	.set _Z12qssab_kernelIdEvPT_S1_S1_.has_indirect_call, 0
	.section	.AMDGPU.csdata,"",@progbits
; Kernel info:
; codeLenInByte = 10124
; TotalNumSgprs: 12
; NumVgprs: 64
; ScratchSize: 0
; MemoryBound: 1
; FloatMode: 240
; IeeeMode: 1
; LDSByteSize: 0 bytes/workgroup (compile time only)
; SGPRBlocks: 0
; VGPRBlocks: 7
; NumSGPRsForWavesPerEU: 12
; NumVGPRsForWavesPerEU: 64
; Occupancy: 16
; WaveLimiterHint : 1
; COMPUTE_PGM_RSRC2:SCRATCH_EN: 0
; COMPUTE_PGM_RSRC2:USER_SGPR: 2
; COMPUTE_PGM_RSRC2:TRAP_HANDLER: 0
; COMPUTE_PGM_RSRC2:TGID_X_EN: 1
; COMPUTE_PGM_RSRC2:TGID_Y_EN: 0
; COMPUTE_PGM_RSRC2:TGID_Z_EN: 0
; COMPUTE_PGM_RSRC2:TIDIG_COMP_CNT: 0
	.section	.text._Z12qssa2_kernelIdEvPT_S1_PKS0_,"axG",@progbits,_Z12qssa2_kernelIdEvPT_S1_PKS0_,comdat
	.protected	_Z12qssa2_kernelIdEvPT_S1_PKS0_ ; -- Begin function _Z12qssa2_kernelIdEvPT_S1_PKS0_
	.globl	_Z12qssa2_kernelIdEvPT_S1_PKS0_
	.p2align	8
	.type	_Z12qssa2_kernelIdEvPT_S1_PKS0_,@function
_Z12qssa2_kernelIdEvPT_S1_PKS0_:        ; @_Z12qssa2_kernelIdEvPT_S1_PKS0_
; %bb.0:
	s_clause 0x1
	s_load_b32 s2, s[0:1], 0x24
	s_load_b96 s[4:6], s[0:1], 0x10
	s_wait_kmcnt 0x0
	s_and_b32 s2, s2, 0xffff
	s_delay_alu instid0(SALU_CYCLE_1)
	s_mul_i32 s6, s6, s2
	s_mul_i32 s2, ttmp9, s2
	s_mul_i32 s3, s6, 43
	s_lshl_b32 s8, s6, 2
	v_mov_b32_e32 v1, 0
	v_add3_u32 v0, s3, s2, v0
	s_mul_i32 s2, s6, -5
	s_mul_i32 s9, s6, 3
	s_lshl_b32 s7, s6, 1
	s_delay_alu instid0(VALU_DEP_1) | instskip(SKIP_1) | instid1(VALU_DEP_1)
	v_mad_co_u64_u32 v[2:3], null, s6, -11, v[0:1]
	v_lshlrev_b64_e32 v[52:53], 3, v[0:1]
	v_add_co_u32 v6, vcc_lo, s4, v52
	s_delay_alu instid0(VALU_DEP_3) | instskip(NEXT) | instid1(VALU_DEP_3)
	v_add_nc_u32_e32 v0, s8, v2
	v_add_co_ci_u32_e64 v7, null, s5, v53, vcc_lo
	s_delay_alu instid0(VALU_DEP_2) | instskip(SKIP_2) | instid1(VALU_DEP_3)
	v_mad_co_u64_u32 v[4:5], null, s6, 40, v[0:1]
	v_mov_b32_e32 v3, v1
	v_lshlrev_b64_e32 v[44:45], 3, v[0:1]
	v_add_nc_u32_e32 v0, s8, v4
	s_delay_alu instid0(VALU_DEP_3) | instskip(NEXT) | instid1(VALU_DEP_2)
	v_lshlrev_b64_e32 v[2:3], 3, v[2:3]
	v_lshlrev_b64_e32 v[14:15], 3, v[0:1]
	v_subrev_nc_u32_e32 v0, s6, v0
	s_delay_alu instid0(VALU_DEP_3) | instskip(SKIP_1) | instid1(VALU_DEP_4)
	v_add_co_u32 v10, vcc_lo, s4, v2
	s_wait_alu 0xfffd
	v_add_co_ci_u32_e64 v11, null, s5, v3, vcc_lo
	s_delay_alu instid0(VALU_DEP_3) | instskip(SKIP_2) | instid1(VALU_DEP_3)
	v_mad_co_u64_u32 v[8:9], null, 0xffffffc6, s6, v[0:1]
	v_mov_b32_e32 v5, v1
	v_lshlrev_b64_e32 v[16:17], 3, v[0:1]
	v_add_nc_u32_e32 v0, s8, v8
	s_delay_alu instid0(VALU_DEP_3)
	v_lshlrev_b64_e32 v[24:25], 3, v[4:5]
	v_add_co_u32 v4, vcc_lo, s4, v44
	s_wait_alu 0xfffd
	v_add_co_ci_u32_e64 v5, null, s5, v45, vcc_lo
	v_lshlrev_b64_e32 v[12:13], 3, v[0:1]
	v_subrev_nc_u32_e32 v0, s6, v0
	v_mov_b32_e32 v9, v1
	v_add_co_u32 v18, vcc_lo, s4, v24
	s_wait_alu 0xfffd
	v_add_co_ci_u32_e64 v19, null, s5, v25, vcc_lo
	v_lshlrev_b64_e32 v[20:21], 3, v[0:1]
	v_add_nc_u32_e32 v0, s8, v0
	s_clause 0x3
	global_load_b64 v[2:3], v[6:7], off
	global_load_b64 v[6:7], v[10:11], off
	;; [unrolled: 1-line block ×4, first 2 shown]
	v_lshlrev_b64_e32 v[8:9], 3, v[8:9]
	v_add_co_u32 v22, vcc_lo, s4, v14
	v_mad_co_u64_u32 v[18:19], null, 0xffffffee, s6, v[0:1]
	v_mov_b32_e32 v19, v1
	v_lshlrev_b64_e32 v[26:27], 3, v[0:1]
	s_wait_alu 0xfffd
	v_add_co_ci_u32_e64 v23, null, s5, v15, vcc_lo
	v_add_co_u32 v8, vcc_lo, s4, v8
	v_add_nc_u32_e32 v0, s8, v18
	v_lshlrev_b64_e32 v[28:29], 3, v[18:19]
	s_wait_alu 0xfffd
	v_add_co_ci_u32_e64 v9, null, s5, v9, vcc_lo
	v_add_co_u32 v12, vcc_lo, s4, v12
	v_lshlrev_b64_e32 v[18:19], 3, v[0:1]
	s_wait_alu 0xfffd
	v_add_co_ci_u32_e64 v13, null, s5, v13, vcc_lo
	v_add_co_u32 v28, vcc_lo, s4, v28
	s_wait_alu 0xfffd
	v_add_co_ci_u32_e64 v29, null, s5, v29, vcc_lo
	v_add_co_u32 v18, vcc_lo, s4, v18
	s_wait_alu 0xfffd
	v_add_co_ci_u32_e64 v19, null, s5, v19, vcc_lo
	s_clause 0x4
	global_load_b64 v[22:23], v[22:23], off
	global_load_b64 v[8:9], v[8:9], off
	;; [unrolled: 1-line block ×5, first 2 shown]
	v_subrev_nc_u32_e32 v0, s6, v0
	v_add_co_u32 v12, vcc_lo, s4, v16
	s_wait_alu 0xfffd
	v_add_co_ci_u32_e64 v13, null, s5, v17, vcc_lo
	s_delay_alu instid0(VALU_DEP_3) | instskip(SKIP_4) | instid1(VALU_DEP_4)
	v_lshlrev_b64_e32 v[18:19], 3, v[0:1]
	v_add_co_u32 v20, vcc_lo, s4, v20
	s_wait_alu 0xfffd
	v_add_co_ci_u32_e64 v21, null, s5, v21, vcc_lo
	v_add_nc_u32_e32 v0, s8, v0
	v_add_co_u32 v18, vcc_lo, s4, v18
	s_wait_alu 0xfffd
	v_add_co_ci_u32_e64 v19, null, s5, v19, vcc_lo
	s_clause 0x2
	global_load_b64 v[46:47], v[12:13], off
	global_load_b64 v[48:49], v[20:21], off
	;; [unrolled: 1-line block ×3, first 2 shown]
	v_lshlrev_b64_e32 v[28:29], 3, v[0:1]
	s_wait_alu 0xfffe
	v_add_nc_u32_e32 v0, s2, v0
	v_add_co_u32 v26, vcc_lo, s4, v26
	s_wait_alu 0xfffd
	v_add_co_ci_u32_e64 v27, null, s5, v27, vcc_lo
	s_delay_alu instid0(VALU_DEP_3)
	v_mad_co_u64_u32 v[56:57], null, 0x4b, s6, v[0:1]
	v_lshlrev_b64_e32 v[12:13], 3, v[0:1]
	v_add_co_u32 v28, vcc_lo, s4, v28
	s_wait_alu 0xfffd
	v_add_co_ci_u32_e64 v29, null, s5, v29, vcc_lo
	global_load_b64 v[58:59], v[26:27], off
	v_dual_mov_b32 v57, v1 :: v_dual_add_nc_u32 v0, s8, v56
	global_load_b64 v[60:61], v[28:29], off
	v_lshlrev_b64_e32 v[18:19], 3, v[0:1]
	v_subrev_nc_u32_e32 v0, s6, v0
	s_delay_alu instid0(VALU_DEP_1) | instskip(SKIP_1) | instid1(VALU_DEP_2)
	v_mad_co_u64_u32 v[50:51], null, 0xffffffe7, s6, v[0:1]
	v_lshlrev_b64_e32 v[20:21], 3, v[0:1]
	v_add_nc_u32_e32 v0, s9, v50
	s_delay_alu instid0(VALU_DEP_1) | instskip(SKIP_1) | instid1(VALU_DEP_1)
	v_lshlrev_b64_e32 v[26:27], 3, v[0:1]
	v_add_nc_u32_e32 v0, s8, v0
	v_lshlrev_b64_e32 v[30:31], 3, v[0:1]
	v_add_nc_u32_e32 v0, s2, v0
	s_load_b128 s[0:3], s[0:1], 0x0
	s_delay_alu instid0(VALU_DEP_1) | instskip(SKIP_4) | instid1(VALU_DEP_4)
	v_mad_co_u64_u32 v[36:37], null, s6, 31, v[0:1]
	v_lshlrev_b64_e32 v[32:33], 3, v[0:1]
	v_add_co_u32 v37, vcc_lo, s4, v12
	s_wait_alu 0xfffd
	v_add_co_ci_u32_e64 v38, null, s5, v13, vcc_lo
	v_add_nc_u32_e32 v0, s8, v36
	global_load_b64 v[62:63], v[37:38], off
	v_lshlrev_b64_e32 v[28:29], 3, v[0:1]
	v_add_nc_u32_e32 v0, s9, v0
	s_delay_alu instid0(VALU_DEP_1) | instskip(SKIP_1) | instid1(VALU_DEP_2)
	v_mad_co_u64_u32 v[64:65], null, 0xffffffcd, s6, v[0:1]
	v_lshlrev_b64_e32 v[12:13], 3, v[0:1]
	v_add_nc_u32_e32 v0, s9, v64
	s_delay_alu instid0(VALU_DEP_1) | instskip(SKIP_1) | instid1(VALU_DEP_2)
	v_mad_co_u64_u32 v[37:38], null, s6, 52, v[0:1]
	v_lshlrev_b64_e32 v[38:39], 3, v[0:1]
	v_lshl_add_u32 v0, s6, 3, v37
	s_delay_alu instid0(VALU_DEP_1) | instskip(SKIP_1) | instid1(VALU_DEP_1)
	v_mad_co_u64_u32 v[65:66], null, 0xffffffac, s6, v[0:1]
	v_mov_b32_e32 v66, v1
	v_lshlrev_b64_e32 v[66:67], 3, v[65:66]
	s_wait_kmcnt 0x0
	s_delay_alu instid0(VALU_DEP_1) | instskip(SKIP_1) | instid1(VALU_DEP_2)
	v_add_co_u32 v66, vcc_lo, s0, v66
	s_wait_alu 0xfffd
	v_add_co_ci_u32_e64 v67, null, s1, v67, vcc_lo
	global_load_b64 v[68:69], v[66:67], off
	s_wait_loadcnt 0xd
	v_fma_f64 v[6:7], v[2:3], v[4:5], v[6:7]
	s_wait_loadcnt 0xb
	v_fma_f64 v[4:5], v[2:3], v[22:23], v[10:11]
	;; [unrolled: 2-line block ×4, first 2 shown]
	v_lshlrev_b64_e32 v[40:41], 3, v[56:57]
	s_delay_alu instid0(VALU_DEP_1) | instskip(SKIP_1) | instid1(VALU_DEP_2)
	v_add_co_u32 v22, vcc_lo, s4, v40
	s_wait_alu 0xfffd
	v_add_co_ci_u32_e64 v23, null, s5, v41, vcc_lo
	global_load_b64 v[22:23], v[22:23], off
	s_wait_loadcnt 0x7
	v_fma_f64 v[4:5], v[6:7], v[46:47], v[4:5]
	s_wait_loadcnt 0x6
	v_fma_f64 v[8:9], v[6:7], v[48:49], v[8:9]
	s_wait_loadcnt 0x5
	v_fma_f64 v[34:35], v[6:7], v[54:55], v[10:11]
	s_wait_loadcnt 0x4
	s_delay_alu instid0(VALU_DEP_2) | instskip(SKIP_1) | instid1(VALU_DEP_2)
	v_fma_f64 v[10:11], v[4:5], v[58:59], v[8:9]
	s_wait_loadcnt 0x3
	v_fma_f64 v[8:9], v[4:5], v[60:61], v[34:35]
	s_wait_loadcnt 0x2
	s_delay_alu instid0(VALU_DEP_1) | instskip(SKIP_2) | instid1(VALU_DEP_1)
	v_fma_f64 v[34:35], v[10:11], v[62:63], v[8:9]
	v_lshlrev_b64_e32 v[8:9], 3, v[0:1]
	v_dual_mov_b32 v65, v1 :: v_dual_add_nc_u32 v0, s6, v65
	v_lshlrev_b64_e32 v[42:43], 3, v[0:1]
	v_add_nc_u32_e32 v0, s6, v0
	s_delay_alu instid0(VALU_DEP_3) | instskip(NEXT) | instid1(VALU_DEP_3)
	v_lshlrev_b64_e32 v[78:79], 3, v[64:65]
	v_add_co_u32 v48, vcc_lo, s0, v42
	s_wait_alu 0xfffd
	s_delay_alu instid0(VALU_DEP_4)
	v_add_co_ci_u32_e64 v49, null, s1, v43, vcc_lo
	s_wait_loadcnt 0x1
	v_mul_f64_e32 v[46:47], v[34:35], v[68:69]
	global_store_b64 v[66:67], v[46:47], off
	global_load_b64 v[46:47], v[48:49], off
	s_wait_loadcnt 0x0
	v_mul_f64_e32 v[54:55], v[34:35], v[46:47]
	v_lshlrev_b64_e32 v[46:47], 3, v[0:1]
	v_add_nc_u32_e32 v0, s7, v0
	s_delay_alu instid0(VALU_DEP_2) | instskip(SKIP_1) | instid1(VALU_DEP_3)
	v_add_co_u32 v56, vcc_lo, s0, v46
	s_wait_alu 0xfffd
	v_add_co_ci_u32_e64 v57, null, s1, v47, vcc_lo
	v_add_co_u32 v44, vcc_lo, s0, v44
	s_wait_alu 0xfffd
	v_add_co_ci_u32_e64 v45, null, s1, v45, vcc_lo
	global_store_b64 v[48:49], v[54:55], off
	global_load_b64 v[48:49], v[56:57], off
	s_wait_loadcnt 0x0
	v_mul_f64_e32 v[48:49], v[34:35], v[48:49]
	global_store_b64 v[56:57], v[48:49], off
	global_load_b64 v[48:49], v[44:45], off
	s_wait_loadcnt 0x0
	v_mul_f64_e32 v[54:55], v[34:35], v[48:49]
	v_lshlrev_b64_e32 v[48:49], 3, v[0:1]
	v_add_nc_u32_e32 v0, s6, v0
	s_delay_alu instid0(VALU_DEP_2) | instskip(SKIP_1) | instid1(VALU_DEP_3)
	v_add_co_u32 v56, vcc_lo, s0, v48
	s_wait_alu 0xfffd
	v_add_co_ci_u32_e64 v57, null, s1, v49, vcc_lo
	global_store_b64 v[44:45], v[54:55], off
	global_load_b64 v[44:45], v[56:57], off
	v_lshlrev_b64_e32 v[54:55], 3, v[0:1]
	v_add_nc_u32_e32 v0, s6, v0
	s_delay_alu instid0(VALU_DEP_2) | instskip(SKIP_1) | instid1(VALU_DEP_3)
	v_add_co_u32 v54, vcc_lo, s0, v54
	s_wait_alu 0xfffd
	v_add_co_ci_u32_e64 v55, null, s1, v55, vcc_lo
	s_wait_loadcnt 0x0
	v_mul_f64_e32 v[44:45], v[34:35], v[44:45]
	global_store_b64 v[56:57], v[44:45], off
	global_load_b64 v[44:45], v[54:55], off
	s_wait_loadcnt 0x0
	v_mul_f64_e32 v[56:57], v[34:35], v[44:45]
	v_lshlrev_b64_e32 v[44:45], 3, v[0:1]
	v_add_nc_u32_e32 v0, s6, v0
	s_delay_alu instid0(VALU_DEP_2) | instskip(SKIP_1) | instid1(VALU_DEP_3)
	v_add_co_u32 v58, vcc_lo, s0, v44
	s_wait_alu 0xfffd
	v_add_co_ci_u32_e64 v59, null, s1, v45, vcc_lo
	global_store_b64 v[54:55], v[56:57], off
	global_load_b64 v[54:55], v[58:59], off
	v_lshlrev_b64_e32 v[56:57], 3, v[0:1]
	v_add_nc_u32_e32 v0, s6, v0
	s_delay_alu instid0(VALU_DEP_2) | instskip(SKIP_1) | instid1(VALU_DEP_3)
	v_add_co_u32 v56, vcc_lo, s0, v56
	s_wait_alu 0xfffd
	v_add_co_ci_u32_e64 v57, null, s1, v57, vcc_lo
	s_wait_loadcnt 0x0
	v_mul_f64_e32 v[54:55], v[34:35], v[54:55]
	global_store_b64 v[58:59], v[54:55], off
	global_load_b64 v[54:55], v[56:57], off
	v_lshlrev_b64_e32 v[58:59], 3, v[0:1]
	v_add_nc_u32_e32 v0, s6, v0
	s_delay_alu instid0(VALU_DEP_2) | instskip(SKIP_1) | instid1(VALU_DEP_3)
	v_add_co_u32 v58, vcc_lo, s0, v58
	s_wait_alu 0xfffd
	v_add_co_ci_u32_e64 v59, null, s1, v59, vcc_lo
	s_wait_loadcnt 0x0
	v_mul_f64_e32 v[54:55], v[2:3], v[54:55]
	global_store_b64 v[56:57], v[54:55], off
	global_load_b64 v[54:55], v[58:59], off
	v_lshlrev_b64_e32 v[56:57], 3, v[0:1]
	v_add_nc_u32_e32 v0, s7, v0
	s_delay_alu instid0(VALU_DEP_2) | instskip(SKIP_1) | instid1(VALU_DEP_3)
	v_add_co_u32 v56, vcc_lo, s0, v56
	s_wait_alu 0xfffd
	v_add_co_ci_u32_e64 v57, null, s1, v57, vcc_lo
	v_add_co_u32 v51, vcc_lo, s0, v52
	s_wait_alu 0xfffd
	v_add_co_ci_u32_e64 v52, null, s1, v53, vcc_lo
	s_wait_loadcnt 0x0
	v_mul_f64_e32 v[54:55], v[2:3], v[54:55]
	global_store_b64 v[58:59], v[54:55], off
	global_load_b64 v[54:55], v[56:57], off
	s_wait_loadcnt 0x0
	v_mul_f64_e32 v[54:55], v[2:3], v[54:55]
	global_store_b64 v[56:57], v[54:55], off
	global_load_b64 v[53:54], v[51:52], off
	v_lshlrev_b64_e32 v[55:56], 3, v[0:1]
	v_add_nc_u32_e32 v0, s6, v0
	s_delay_alu instid0(VALU_DEP_2) | instskip(SKIP_1) | instid1(VALU_DEP_3)
	v_add_co_u32 v55, vcc_lo, s0, v55
	s_wait_alu 0xfffd
	v_add_co_ci_u32_e64 v56, null, s1, v56, vcc_lo
	s_wait_loadcnt 0x0
	v_mul_f64_e32 v[53:54], v[2:3], v[53:54]
	global_store_b64 v[51:52], v[53:54], off
	global_load_b64 v[51:52], v[55:56], off
	v_lshlrev_b64_e32 v[53:54], 3, v[0:1]
	v_add_nc_u32_e32 v0, s6, v0
	s_delay_alu instid0(VALU_DEP_2) | instskip(SKIP_1) | instid1(VALU_DEP_3)
	v_add_co_u32 v53, vcc_lo, s0, v53
	s_wait_alu 0xfffd
	v_add_co_ci_u32_e64 v54, null, s1, v54, vcc_lo
	s_wait_loadcnt 0x0
	v_mul_f64_e32 v[51:52], v[2:3], v[51:52]
	global_store_b64 v[55:56], v[51:52], off
	global_load_b64 v[51:52], v[53:54], off
	v_lshlrev_b64_e32 v[55:56], 3, v[0:1]
	v_add_nc_u32_e32 v0, s6, v0
	s_delay_alu instid0(VALU_DEP_2) | instskip(SKIP_1) | instid1(VALU_DEP_3)
	v_add_co_u32 v55, vcc_lo, s0, v55
	s_wait_alu 0xfffd
	v_add_co_ci_u32_e64 v56, null, s1, v56, vcc_lo
	s_wait_loadcnt 0x0
	v_mul_f64_e32 v[51:52], v[2:3], v[51:52]
	global_store_b64 v[53:54], v[51:52], off
	global_load_b64 v[51:52], v[55:56], off
	v_lshlrev_b64_e32 v[53:54], 3, v[0:1]
	v_add_nc_u32_e32 v0, s6, v0
	s_delay_alu instid0(VALU_DEP_2) | instskip(SKIP_1) | instid1(VALU_DEP_3)
	v_add_co_u32 v53, vcc_lo, s0, v53
	s_wait_alu 0xfffd
	v_add_co_ci_u32_e64 v54, null, s1, v54, vcc_lo
	s_wait_loadcnt 0x0
	v_mul_f64_e32 v[51:52], v[2:3], v[51:52]
	global_store_b64 v[55:56], v[51:52], off
	global_load_b64 v[51:52], v[53:54], off
	v_lshlrev_b64_e32 v[55:56], 3, v[0:1]
	v_add_nc_u32_e32 v0, s6, v0
	s_delay_alu instid0(VALU_DEP_2) | instskip(SKIP_1) | instid1(VALU_DEP_3)
	v_add_co_u32 v55, vcc_lo, s0, v55
	s_wait_alu 0xfffd
	v_add_co_ci_u32_e64 v56, null, s1, v56, vcc_lo
	s_delay_alu instid0(VALU_DEP_3) | instskip(SKIP_1) | instid1(VALU_DEP_1)
	v_lshlrev_b64_e32 v[58:59], 3, v[0:1]
	v_add_nc_u32_e32 v0, s6, v0
	v_lshlrev_b64_e32 v[60:61], 3, v[0:1]
	v_add_nc_u32_e32 v0, s6, v0
	s_wait_loadcnt 0x0
	v_mul_f64_e32 v[51:52], v[10:11], v[51:52]
	global_store_b64 v[53:54], v[51:52], off
	global_load_b64 v[51:52], v[55:56], off
	v_add_co_u32 v53, vcc_lo, s0, v58
	s_wait_alu 0xfffd
	v_add_co_ci_u32_e64 v54, null, s1, v59, vcc_lo
	s_wait_loadcnt 0x0
	v_mul_f64_e32 v[51:52], v[10:11], v[51:52]
	global_store_b64 v[55:56], v[51:52], off
	global_load_b64 v[51:52], v[53:54], off
	v_add_co_u32 v55, vcc_lo, s0, v60
	s_wait_alu 0xfffd
	v_add_co_ci_u32_e64 v56, null, s1, v61, vcc_lo
	s_wait_loadcnt 0x0
	v_mul_f64_e32 v[51:52], v[10:11], v[51:52]
	global_store_b64 v[53:54], v[51:52], off
	global_load_b64 v[51:52], v[55:56], off
	v_lshlrev_b64_e32 v[53:54], 3, v[0:1]
	v_add_nc_u32_e32 v0, s6, v0
	s_delay_alu instid0(VALU_DEP_2) | instskip(SKIP_1) | instid1(VALU_DEP_3)
	v_add_co_u32 v53, vcc_lo, s0, v53
	s_wait_alu 0xfffd
	v_add_co_ci_u32_e64 v54, null, s1, v54, vcc_lo
	s_wait_loadcnt 0x0
	v_mul_f64_e32 v[51:52], v[10:11], v[51:52]
	global_store_b64 v[55:56], v[51:52], off
	global_load_b64 v[51:52], v[53:54], off
	v_lshlrev_b64_e32 v[55:56], 3, v[0:1]
	v_add_nc_u32_e32 v0, s6, v0
	s_delay_alu instid0(VALU_DEP_2) | instskip(SKIP_1) | instid1(VALU_DEP_3)
	v_add_co_u32 v55, vcc_lo, s0, v55
	s_wait_alu 0xfffd
	v_add_co_ci_u32_e64 v56, null, s1, v56, vcc_lo
	s_delay_alu instid0(VALU_DEP_3)
	v_lshlrev_b64_e32 v[62:63], 3, v[0:1]
	v_add_nc_u32_e32 v0, s7, v0
	s_wait_loadcnt 0x0
	v_mul_f64_e32 v[51:52], v[10:11], v[51:52]
	global_store_b64 v[53:54], v[51:52], off
	global_load_b64 v[51:52], v[55:56], off
	v_add_co_u32 v53, vcc_lo, s0, v62
	s_wait_alu 0xfffd
	v_add_co_ci_u32_e64 v54, null, s1, v63, vcc_lo
	s_wait_loadcnt 0x0
	v_mul_f64_e32 v[51:52], v[10:11], v[51:52]
	global_store_b64 v[55:56], v[51:52], off
	global_load_b64 v[51:52], v[53:54], off
	v_add_co_u32 v55, vcc_lo, s0, v78
	s_wait_alu 0xfffd
	v_add_co_ci_u32_e64 v56, null, s1, v79, vcc_lo
	s_wait_loadcnt 0x0
	v_mul_f64_e32 v[51:52], v[10:11], v[51:52]
	global_store_b64 v[53:54], v[51:52], off
	global_load_b64 v[51:52], v[55:56], off
	v_lshlrev_b64_e32 v[53:54], 3, v[0:1]
	v_add_nc_u32_e32 v0, s9, v0
	s_delay_alu instid0(VALU_DEP_2) | instskip(SKIP_1) | instid1(VALU_DEP_3)
	v_add_co_u32 v53, vcc_lo, s0, v53
	s_wait_alu 0xfffd
	v_add_co_ci_u32_e64 v54, null, s1, v54, vcc_lo
	s_delay_alu instid0(VALU_DEP_3) | instskip(SKIP_1) | instid1(VALU_DEP_1)
	v_lshlrev_b64_e32 v[64:65], 3, v[0:1]
	v_add_nc_u32_e32 v0, s6, v0
	v_lshlrev_b64_e32 v[66:67], 3, v[0:1]
	v_add_nc_u32_e32 v0, s6, v0
	s_wait_loadcnt 0x0
	v_mul_f64_e32 v[51:52], v[10:11], v[51:52]
	global_store_b64 v[55:56], v[51:52], off
	global_load_b64 v[51:52], v[53:54], off
	v_add_co_u32 v55, vcc_lo, s0, v64
	s_wait_alu 0xfffd
	v_add_co_ci_u32_e64 v56, null, s1, v65, vcc_lo
	s_wait_loadcnt 0x0
	v_mul_f64_e32 v[51:52], v[10:11], v[51:52]
	global_store_b64 v[53:54], v[51:52], off
	global_load_b64 v[51:52], v[55:56], off
	v_add_co_u32 v53, vcc_lo, s0, v66
	s_wait_alu 0xfffd
	v_add_co_ci_u32_e64 v54, null, s1, v67, vcc_lo
	s_wait_loadcnt 0x0
	v_mul_f64_e32 v[51:52], v[6:7], v[51:52]
	global_store_b64 v[55:56], v[51:52], off
	global_load_b64 v[51:52], v[53:54], off
	v_lshlrev_b64_e32 v[55:56], 3, v[0:1]
	v_add_nc_u32_e32 v0, s6, v0
	s_delay_alu instid0(VALU_DEP_2) | instskip(SKIP_1) | instid1(VALU_DEP_3)
	v_add_co_u32 v55, vcc_lo, s0, v55
	s_wait_alu 0xfffd
	v_add_co_ci_u32_e64 v56, null, s1, v56, vcc_lo
	s_delay_alu instid0(VALU_DEP_3)
	v_lshlrev_b64_e32 v[72:73], 3, v[0:1]
	v_add_nc_u32_e32 v0, s6, v0
	s_wait_loadcnt 0x0
	v_mul_f64_e32 v[51:52], v[6:7], v[51:52]
	global_store_b64 v[53:54], v[51:52], off
	global_load_b64 v[51:52], v[55:56], off
	v_add_co_u32 v53, vcc_lo, s0, v72
	s_wait_alu 0xfffd
	v_add_co_ci_u32_e64 v54, null, s1, v73, vcc_lo
	s_wait_loadcnt 0x0
	v_mul_f64_e32 v[51:52], v[6:7], v[51:52]
	global_store_b64 v[55:56], v[51:52], off
	global_load_b64 v[51:52], v[53:54], off
	v_lshlrev_b64_e32 v[55:56], 3, v[0:1]
	v_add_nc_u32_e32 v0, s6, v0
	s_delay_alu instid0(VALU_DEP_2) | instskip(SKIP_1) | instid1(VALU_DEP_3)
	v_add_co_u32 v55, vcc_lo, s0, v55
	s_wait_alu 0xfffd
	v_add_co_ci_u32_e64 v56, null, s1, v56, vcc_lo
	s_wait_loadcnt 0x0
	v_mul_f64_e32 v[51:52], v[6:7], v[51:52]
	global_store_b64 v[53:54], v[51:52], off
	global_load_b64 v[51:52], v[55:56], off
	v_lshlrev_b64_e32 v[53:54], 3, v[0:1]
	v_add_nc_u32_e32 v0, s6, v0
	s_delay_alu instid0(VALU_DEP_2) | instskip(SKIP_1) | instid1(VALU_DEP_3)
	;; [unrolled: 10-line block ×3, first 2 shown]
	v_add_co_u32 v55, vcc_lo, s0, v55
	s_wait_alu 0xfffd
	v_add_co_ci_u32_e64 v56, null, s1, v56, vcc_lo
	s_delay_alu instid0(VALU_DEP_3)
	v_lshlrev_b64_e32 v[76:77], 3, v[0:1]
	v_add_nc_u32_e32 v0, s9, v0
	s_wait_loadcnt 0x0
	v_mul_f64_e32 v[51:52], v[6:7], v[51:52]
	global_store_b64 v[53:54], v[51:52], off
	global_load_b64 v[51:52], v[55:56], off
	s_wait_loadcnt 0x0
	v_mul_f64_e32 v[68:69], v[6:7], v[51:52]
	v_mov_b32_e32 v51, v1
	s_delay_alu instid0(VALU_DEP_1) | instskip(NEXT) | instid1(VALU_DEP_1)
	v_lshlrev_b64_e32 v[52:53], 3, v[50:51]
	v_add_co_u32 v50, vcc_lo, s0, v52
	s_wait_alu 0xfffd
	s_delay_alu instid0(VALU_DEP_2)
	v_add_co_ci_u32_e64 v51, null, s1, v53, vcc_lo
	global_store_b64 v[55:56], v[68:69], off
	global_load_b64 v[54:55], v[50:51], off
	v_add_co_u32 v56, vcc_lo, s0, v76
	s_wait_alu 0xfffd
	v_add_co_ci_u32_e64 v57, null, s1, v77, vcc_lo
	s_wait_loadcnt 0x0
	v_mul_f64_e32 v[54:55], v[6:7], v[54:55]
	global_store_b64 v[50:51], v[54:55], off
	global_load_b64 v[50:51], v[56:57], off
	v_add_co_u32 v54, vcc_lo, s0, v32
	s_wait_alu 0xfffd
	v_add_co_ci_u32_e64 v55, null, s1, v33, vcc_lo
	s_wait_loadcnt 0x0
	v_mul_f64_e32 v[50:51], v[6:7], v[50:51]
	;; [unrolled: 7-line block ×3, first 2 shown]
	global_store_b64 v[54:55], v[50:51], off
	global_load_b64 v[50:51], v[56:57], off
	v_lshlrev_b64_e32 v[54:55], 3, v[0:1]
	v_add_nc_u32_e32 v0, s6, v0
	s_delay_alu instid0(VALU_DEP_2) | instskip(SKIP_1) | instid1(VALU_DEP_3)
	v_add_co_u32 v54, vcc_lo, s0, v54
	s_wait_alu 0xfffd
	v_add_co_ci_u32_e64 v55, null, s1, v55, vcc_lo
	v_add_co_u32 v24, vcc_lo, s0, v24
	s_wait_alu 0xfffd
	v_add_co_ci_u32_e64 v25, null, s1, v25, vcc_lo
	v_lshlrev_b64_e32 v[80:81], 3, v[0:1]
	v_add_nc_u32_e32 v0, s6, v0
	s_delay_alu instid0(VALU_DEP_1) | instskip(SKIP_1) | instid1(VALU_DEP_1)
	v_lshlrev_b64_e32 v[82:83], 3, v[0:1]
	v_add_nc_u32_e32 v0, s7, v0
	v_lshlrev_b64_e32 v[74:75], 3, v[0:1]
	v_add_nc_u32_e32 v0, s6, v0
	s_delay_alu instid0(VALU_DEP_1) | instskip(SKIP_1) | instid1(VALU_DEP_1)
	v_lshlrev_b64_e32 v[70:71], 3, v[0:1]
	v_add_nc_u32_e32 v0, s6, v0
	v_lshlrev_b64_e32 v[68:69], 3, v[0:1]
	s_wait_loadcnt 0x0
	v_mul_f64_e32 v[50:51], v[6:7], v[50:51]
	global_store_b64 v[56:57], v[50:51], off
	global_load_b64 v[50:51], v[54:55], off
	v_mad_co_u64_u32 v[56:57], null, s6, 6, v[0:1]
	s_delay_alu instid0(VALU_DEP_1)
	v_add_nc_u32_e32 v0, s9, v56
	s_wait_loadcnt 0x0
	v_mul_f64_e32 v[50:51], v[6:7], v[50:51]
	global_store_b64 v[54:55], v[50:51], off
	global_load_b64 v[50:51], v[24:25], off
	v_lshlrev_b64_e32 v[54:55], 3, v[0:1]
	v_add_nc_u32_e32 v0, s7, v0
	s_wait_loadcnt 0x0
	v_mul_f64_e32 v[84:85], v[34:35], v[50:51]
	s_delay_alu instid0(VALU_DEP_2) | instskip(SKIP_1) | instid1(VALU_DEP_2)
	v_lshlrev_b64_e32 v[50:51], 3, v[0:1]
	v_add_nc_u32_e32 v0, s7, v0
	v_add_co_u32 v86, vcc_lo, s0, v50
	s_wait_alu 0xfffd
	s_delay_alu instid0(VALU_DEP_3)
	v_add_co_ci_u32_e64 v87, null, s1, v51, vcc_lo
	v_add_co_u32 v40, vcc_lo, s0, v40
	s_wait_alu 0xfffd
	v_add_co_ci_u32_e64 v41, null, s1, v41, vcc_lo
	v_add_co_u32 v42, vcc_lo, s2, v42
	s_wait_alu 0xfffd
	v_add_co_ci_u32_e64 v43, null, s3, v43, vcc_lo
	global_store_b64 v[24:25], v[84:85], off
	global_load_b64 v[24:25], v[86:87], off
	v_lshlrev_b64_e32 v[84:85], 3, v[0:1]
	v_add_nc_u32_e32 v0, s6, v0
	s_delay_alu instid0(VALU_DEP_2) | instskip(SKIP_1) | instid1(VALU_DEP_3)
	v_add_co_u32 v84, vcc_lo, s0, v84
	s_wait_alu 0xfffd
	v_add_co_ci_u32_e64 v85, null, s1, v85, vcc_lo
	v_add_co_u32 v46, vcc_lo, s2, v46
	s_wait_alu 0xfffd
	v_add_co_ci_u32_e64 v47, null, s3, v47, vcc_lo
	s_wait_loadcnt 0x0
	v_mul_f64_e32 v[24:25], v[34:35], v[24:25]
	global_store_b64 v[86:87], v[24:25], off
	global_load_b64 v[24:25], v[40:41], off
	global_load_b64 v[86:87], v[42:43], off
	s_wait_loadcnt 0x1
	v_mul_f64_e32 v[24:25], v[2:3], v[24:25]
	global_store_b64 v[40:41], v[24:25], off
	global_load_b64 v[24:25], v[84:85], off
	s_wait_loadcnt 0x1
	v_mul_f64_e32 v[40:41], v[2:3], v[86:87]
	v_add_co_u32 v86, vcc_lo, s0, v20
	s_wait_alu 0xfffd
	v_add_co_ci_u32_e64 v87, null, s1, v21, vcc_lo
	v_add_co_u32 v48, vcc_lo, s2, v48
	s_wait_alu 0xfffd
	v_add_co_ci_u32_e64 v49, null, s3, v49, vcc_lo
	global_store_b64 v[42:43], v[40:41], off
	global_load_b64 v[40:41], v[46:47], off
	s_wait_loadcnt 0x1
	v_mul_f64_e32 v[24:25], v[2:3], v[24:25]
	global_store_b64 v[84:85], v[24:25], off
	global_load_b64 v[24:25], v[86:87], off
	s_wait_loadcnt 0x1
	v_mul_f64_e32 v[40:41], v[10:11], v[40:41]
	v_add_co_u32 v84, vcc_lo, s0, v18
	s_wait_alu 0xfffd
	v_add_co_ci_u32_e64 v85, null, s1, v19, vcc_lo
	v_add_co_u32 v42, vcc_lo, s4, v78
	s_wait_alu 0xfffd
	v_add_co_ci_u32_e64 v43, null, s5, v79, vcc_lo
	v_add_co_u32 v38, vcc_lo, s4, v38
	s_wait_alu 0xfffd
	v_add_co_ci_u32_e64 v39, null, s5, v39, vcc_lo
	global_store_b64 v[46:47], v[40:41], off
	global_load_b64 v[40:41], v[48:49], off
	s_wait_loadcnt 0x1
	v_mul_f64_e32 v[24:25], v[10:11], v[24:25]
	global_store_b64 v[86:87], v[24:25], off
	global_load_b64 v[24:25], v[84:85], off
	s_wait_loadcnt 0x1
	v_mul_f64_e32 v[46:47], v[2:3], v[40:41]
	s_clause 0x1
	global_load_b64 v[78:79], v[42:43], off
	global_load_b64 v[86:87], v[38:39], off
	v_lshlrev_b64_e32 v[41:42], 3, v[0:1]
	v_add_nc_u32_e32 v0, s8, v0
	v_add_co_u32 v43, vcc_lo, s2, v44
	s_wait_alu 0xfffd
	v_add_co_ci_u32_e64 v44, null, s3, v45, vcc_lo
	s_delay_alu instid0(VALU_DEP_3) | instskip(SKIP_2) | instid1(VALU_DEP_2)
	v_lshlrev_b64_e32 v[39:40], 3, v[0:1]
	v_add_nc_u32_e32 v0, s7, v0
	v_mov_b32_e32 v38, v1
	v_lshlrev_b64_e32 v[88:89], 3, v[0:1]
	v_add_nc_u32_e32 v0, s6, v0
	s_delay_alu instid0(VALU_DEP_2) | instskip(SKIP_1) | instid1(VALU_DEP_3)
	v_add_co_u32 v88, vcc_lo, s0, v88
	s_wait_alu 0xfffd
	v_add_co_ci_u32_e64 v89, null, s1, v89, vcc_lo
	global_store_b64 v[48:49], v[46:47], off
	global_load_b64 v[47:48], v[43:44], off
	s_wait_loadcnt 0x3
	v_mul_f64_e32 v[24:25], v[6:7], v[24:25]
	s_wait_loadcnt 0x1
	v_fma_f64 v[45:46], v[6:7], v[86:87], v[78:79]
	v_lshlrev_b64_e32 v[78:79], 3, v[0:1]
	v_add_nc_u32_e32 v0, s6, v0
	global_store_b64 v[84:85], v[24:25], off
	global_load_b64 v[84:85], v[88:89], off
	v_lshlrev_b64_e32 v[24:25], 3, v[37:38]
	s_wait_loadcnt 0x1
	v_mul_f64_e32 v[37:38], v[2:3], v[47:48]
	s_delay_alu instid0(VALU_DEP_2) | instskip(SKIP_1) | instid1(VALU_DEP_3)
	v_add_co_u32 v24, vcc_lo, s4, v24
	s_wait_alu 0xfffd
	v_add_co_ci_u32_e64 v25, null, s5, v25, vcc_lo
	v_add_co_u32 v57, vcc_lo, s2, v58
	s_wait_alu 0xfffd
	v_add_co_ci_u32_e64 v58, null, s3, v59, vcc_lo
	;; [unrolled: 3-line block ×4, first 2 shown]
	global_load_b64 v[24:25], v[24:25], off
	global_store_b64 v[43:44], v[37:38], off
	global_load_b64 v[37:38], v[57:58], off
	s_wait_loadcnt 0x2
	v_mul_f64_e32 v[47:48], v[45:46], v[84:85]
	global_store_b64 v[88:89], v[47:48], off
	global_load_b64 v[43:44], v[78:79], off
	s_wait_loadcnt 0x1
	v_mul_f64_e32 v[37:38], v[2:3], v[37:38]
	;; [unrolled: 4-line block ×3, first 2 shown]
	v_lshlrev_b64_e32 v[43:44], 3, v[0:1]
	v_add_nc_u32_e32 v0, s7, v0
	s_delay_alu instid0(VALU_DEP_2) | instskip(SKIP_1) | instid1(VALU_DEP_3)
	v_add_co_u32 v84, vcc_lo, s0, v43
	s_wait_alu 0xfffd
	v_add_co_ci_u32_e64 v85, null, s1, v44, vcc_lo
	v_add_co_u32 v61, vcc_lo, s2, v62
	s_wait_alu 0xfffd
	v_add_co_ci_u32_e64 v62, null, s3, v63, vcc_lo
	global_store_b64 v[78:79], v[47:48], off
	global_load_b64 v[47:48], v[84:85], off
	s_wait_loadcnt 0x1
	v_mul_f64_e32 v[57:58], v[2:3], v[37:38]
	v_mov_b32_e32 v37, v1
	s_delay_alu instid0(VALU_DEP_1) | instskip(NEXT) | instid1(VALU_DEP_1)
	v_lshlrev_b64_e32 v[36:37], 3, v[36:37]
	v_add_co_u32 v78, vcc_lo, s0, v36
	s_wait_alu 0xfffd
	s_delay_alu instid0(VALU_DEP_2)
	v_add_co_ci_u32_e64 v79, null, s1, v37, vcc_lo
	v_add_co_u32 v63, vcc_lo, s2, v64
	s_wait_alu 0xfffd
	v_add_co_ci_u32_e64 v64, null, s3, v65, vcc_lo
	global_store_b64 v[59:60], v[57:58], off
	global_load_b64 v[57:58], v[61:62], off
	v_lshlrev_b64_e32 v[59:60], 3, v[0:1]
	v_add_nc_u32_e32 v0, s6, v0
	s_delay_alu instid0(VALU_DEP_2) | instskip(SKIP_1) | instid1(VALU_DEP_3)
	v_add_co_u32 v59, vcc_lo, s0, v59
	s_wait_alu 0xfffd
	v_add_co_ci_u32_e64 v60, null, s1, v60, vcc_lo
	v_add_co_u32 v65, vcc_lo, s2, v66
	s_wait_alu 0xfffd
	v_add_co_ci_u32_e64 v66, null, s3, v67, vcc_lo
	s_wait_loadcnt 0x1
	v_mul_f64_e32 v[47:48], v[45:46], v[47:48]
	global_store_b64 v[84:85], v[47:48], off
	global_load_b64 v[47:48], v[78:79], off
	s_wait_loadcnt 0x1
	v_mul_f64_e32 v[57:58], v[34:35], v[57:58]
	global_store_b64 v[61:62], v[57:58], off
	global_load_b64 v[57:58], v[63:64], off
	v_lshlrev_b64_e32 v[61:62], 3, v[0:1]
	v_add_nc_u32_e32 v0, s8, v0
	s_delay_alu instid0(VALU_DEP_2) | instskip(SKIP_1) | instid1(VALU_DEP_3)
	v_add_co_u32 v61, vcc_lo, s0, v61
	s_wait_alu 0xfffd
	v_add_co_ci_u32_e64 v62, null, s1, v62, vcc_lo
	s_wait_loadcnt 0x1
	v_mul_f64_e32 v[47:48], v[45:46], v[47:48]
	global_store_b64 v[78:79], v[47:48], off
	global_load_b64 v[47:48], v[59:60], off
	s_wait_loadcnt 0x1
	v_mul_f64_e32 v[57:58], v[10:11], v[57:58]
	global_store_b64 v[63:64], v[57:58], off
	global_load_b64 v[57:58], v[65:66], off
	v_add_co_u32 v63, vcc_lo, s2, v72
	s_wait_alu 0xfffd
	v_add_co_ci_u32_e64 v64, null, s3, v73, vcc_lo
	s_wait_loadcnt 0x1
	v_mul_f64_e32 v[47:48], v[45:46], v[47:48]
	global_store_b64 v[59:60], v[47:48], off
	global_load_b64 v[47:48], v[61:62], off
	v_lshlrev_b64_e32 v[59:60], 3, v[0:1]
	s_wait_loadcnt 0x1
	v_mul_f64_e32 v[57:58], v[34:35], v[57:58]
	v_add_nc_u32_e32 v0, s7, v0
	s_delay_alu instid0(VALU_DEP_3)
	v_add_co_u32 v59, vcc_lo, s0, v59
	s_wait_alu 0xfffd
	v_add_co_ci_u32_e64 v60, null, s1, v60, vcc_lo
	global_store_b64 v[65:66], v[57:58], off
	global_load_b64 v[57:58], v[63:64], off
	s_wait_loadcnt 0x1
	v_mul_f64_e32 v[47:48], v[45:46], v[47:48]
	global_store_b64 v[61:62], v[47:48], off
	global_load_b64 v[47:48], v[59:60], off
	v_add_co_u32 v61, vcc_lo, s2, v76
	s_wait_loadcnt 0x1
	v_mul_f64_e32 v[57:58], v[2:3], v[57:58]
	s_wait_alu 0xfffd
	v_add_co_ci_u32_e64 v62, null, s3, v77, vcc_lo
	v_add_co_u32 v65, vcc_lo, s0, v12
	s_wait_alu 0xfffd
	v_add_co_ci_u32_e64 v66, null, s1, v13, vcc_lo
	global_store_b64 v[63:64], v[57:58], off
	global_load_b64 v[57:58], v[61:62], off
	v_add_co_u32 v63, vcc_lo, s2, v32
	s_wait_alu 0xfffd
	v_add_co_ci_u32_e64 v64, null, s3, v33, vcc_lo
	s_wait_loadcnt 0x1
	v_mul_f64_e32 v[47:48], v[34:35], v[47:48]
	global_store_b64 v[59:60], v[47:48], off
	global_load_b64 v[47:48], v[65:66], off
	v_lshlrev_b64_e32 v[59:60], 3, v[0:1]
	v_add_nc_u32_e32 v0, s6, v0
	s_wait_loadcnt 0x1
	v_mul_f64_e32 v[57:58], v[10:11], v[57:58]
	s_delay_alu instid0(VALU_DEP_3)
	v_add_co_u32 v59, vcc_lo, s0, v59
	s_wait_alu 0xfffd
	v_add_co_ci_u32_e64 v60, null, s1, v60, vcc_lo
	v_add_co_u32 v72, vcc_lo, s2, v26
	s_wait_alu 0xfffd
	v_add_co_ci_u32_e64 v73, null, s3, v27, vcc_lo
	global_store_b64 v[61:62], v[57:58], off
	global_load_b64 v[57:58], v[63:64], off
	v_lshlrev_b64_e32 v[61:62], 3, v[0:1]
	v_add_nc_u32_e32 v0, s9, v0
	s_wait_loadcnt 0x1
	v_mul_f64_e32 v[47:48], v[10:11], v[47:48]
	global_store_b64 v[65:66], v[47:48], off
	global_load_b64 v[47:48], v[59:60], off
	v_lshlrev_b64_e32 v[65:66], 3, v[0:1]
	v_add_nc_u32_e32 v0, s6, v0
	s_wait_loadcnt 0x1
	v_mul_f64_e32 v[57:58], v[10:11], v[57:58]
	s_delay_alu instid0(VALU_DEP_3)
	v_add_co_u32 v65, vcc_lo, s0, v65
	s_wait_alu 0xfffd
	v_add_co_ci_u32_e64 v66, null, s1, v66, vcc_lo
	global_store_b64 v[63:64], v[57:58], off
	global_load_b64 v[57:58], v[72:73], off
	s_wait_loadcnt 0x1
	v_mul_f64_e32 v[47:48], v[6:7], v[47:48]
	global_store_b64 v[59:60], v[47:48], off
	global_load_b64 v[47:48], v[65:66], off
	v_add_co_u32 v59, vcc_lo, s2, v80
	s_wait_loadcnt 0x1
	v_mul_f64_e32 v[57:58], v[10:11], v[57:58]
	s_wait_alu 0xfffd
	v_add_co_ci_u32_e64 v60, null, s3, v81, vcc_lo
	global_store_b64 v[72:73], v[57:58], off
	global_load_b64 v[57:58], v[59:60], off
	s_wait_loadcnt 0x1
	v_mul_f64_e32 v[34:35], v[34:35], v[47:48]
	v_lshlrev_b64_e32 v[47:48], 3, v[0:1]
	v_add_nc_u32_e32 v0, s7, v0
	s_delay_alu instid0(VALU_DEP_2) | instskip(SKIP_1) | instid1(VALU_DEP_3)
	v_add_co_u32 v63, vcc_lo, s0, v47
	s_wait_alu 0xfffd
	v_add_co_ci_u32_e64 v64, null, s1, v48, vcc_lo
	v_add_co_u32 v76, vcc_lo, s2, v82
	s_wait_alu 0xfffd
	v_add_co_ci_u32_e64 v77, null, s3, v83, vcc_lo
	global_store_b64 v[65:66], v[34:35], off
	global_load_b64 v[34:35], v[63:64], off
	v_lshlrev_b64_e32 v[65:66], 3, v[0:1]
	v_add_nc_u32_e32 v0, s6, v0
	s_wait_loadcnt 0x1
	v_mul_f64_e32 v[57:58], v[45:46], v[57:58]
	s_delay_alu instid0(VALU_DEP_2) | instskip(SKIP_1) | instid1(VALU_DEP_2)
	v_lshlrev_b64_e32 v[72:73], 3, v[0:1]
	v_add_nc_u32_e32 v0, s7, v0
	v_add_co_u32 v72, vcc_lo, s0, v72
	s_wait_alu 0xfffd
	s_delay_alu instid0(VALU_DEP_3)
	v_add_co_ci_u32_e64 v73, null, s1, v73, vcc_lo
	v_add_co_u32 v78, vcc_lo, s2, v30
	s_wait_alu 0xfffd
	v_add_co_ci_u32_e64 v79, null, s3, v31, vcc_lo
	global_store_b64 v[59:60], v[57:58], off
	global_load_b64 v[57:58], v[76:77], off
	v_lshlrev_b64_e32 v[59:60], 3, v[0:1]
	v_add_nc_u32_e32 v0, s9, v0
	s_wait_loadcnt 0x1
	v_mul_f64_e32 v[34:35], v[10:11], v[34:35]
	global_store_b64 v[63:64], v[34:35], off
	global_load_b64 v[34:35], v[72:73], off
	v_lshlrev_b64_e32 v[63:64], 3, v[0:1]
	v_add_nc_u32_e32 v0, s7, v0
	s_wait_loadcnt 0x1
	v_mul_f64_e32 v[57:58], v[2:3], v[57:58]
	s_delay_alu instid0(VALU_DEP_3)
	v_add_co_u32 v80, vcc_lo, s0, v63
	s_wait_alu 0xfffd
	v_add_co_ci_u32_e64 v81, null, s1, v64, vcc_lo
	v_add_co_u32 v52, vcc_lo, s4, v52
	s_wait_alu 0xfffd
	v_add_co_ci_u32_e64 v53, null, s5, v53, vcc_lo
	;; [unrolled: 3-line block ×4, first 2 shown]
	global_store_b64 v[76:77], v[57:58], off
	global_load_b64 v[57:58], v[78:79], off
	s_wait_loadcnt 0x1
	v_mul_f64_e32 v[34:35], v[4:5], v[34:35]
	global_store_b64 v[72:73], v[34:35], off
	global_load_b64 v[34:35], v[80:81], off
	s_clause 0x2
	global_load_b64 v[52:53], v[52:53], off
	global_load_b64 v[26:27], v[26:27], off
	global_load_b64 v[72:73], v[30:31], off
	v_add_co_u32 v30, vcc_lo, s4, v32
	s_wait_alu 0xfffd
	v_add_co_ci_u32_e64 v31, null, s5, v33, vcc_lo
	s_wait_loadcnt 0x4
	v_mul_f64_e32 v[32:33], v[2:3], v[57:58]
	v_add_co_u32 v74, vcc_lo, s2, v74
	global_load_b64 v[57:58], v[30:31], off
	v_lshlrev_b64_e32 v[30:31], 3, v[0:1]
	s_wait_alu 0xfffd
	v_add_co_ci_u32_e64 v75, null, s3, v75, vcc_lo
	v_add_nc_u32_e32 v0, s6, v0
	s_delay_alu instid0(VALU_DEP_3)
	v_add_co_u32 v76, vcc_lo, s0, v30
	s_wait_alu 0xfffd
	v_add_co_ci_u32_e64 v77, null, s1, v31, vcc_lo
	v_add_co_u32 v30, vcc_lo, s4, v36
	s_wait_alu 0xfffd
	v_add_co_ci_u32_e64 v31, null, s5, v37, vcc_lo
	v_add_co_u32 v36, vcc_lo, s4, v28
	s_wait_alu 0xfffd
	v_add_co_ci_u32_e64 v37, null, s5, v29, vcc_lo
	global_store_b64 v[78:79], v[32:33], off
	global_load_b64 v[32:33], v[74:75], off
	s_wait_loadcnt 0x5
	v_mul_f64_e32 v[34:35], v[2:3], v[34:35]
	s_wait_loadcnt 0x3
	v_fma_f64 v[26:27], v[6:7], v[26:27], v[52:53]
	v_add_co_u32 v52, vcc_lo, s2, v70
	s_wait_alu 0xfffd
	v_add_co_ci_u32_e64 v53, null, s3, v71, vcc_lo
	global_store_b64 v[80:81], v[34:35], off
	global_load_b64 v[34:35], v[76:77], off
	s_wait_loadcnt 0x3
	v_fma_f64 v[26:27], v[4:5], v[72:73], v[26:27]
	s_clause 0x1
	global_load_b64 v[28:29], v[30:31], off
	global_load_b64 v[30:31], v[36:37], off
	v_lshlrev_b64_e32 v[36:37], 3, v[0:1]
	v_add_nc_u32_e32 v0, s6, v0
	s_wait_loadcnt 0x3
	v_mul_f64_e32 v[32:33], v[2:3], v[32:33]
	s_delay_alu instid0(VALU_DEP_2)
	v_lshlrev_b64_e32 v[70:71], 3, v[0:1]
	v_add_nc_u32_e32 v0, s6, v0
	v_fma_f64 v[26:27], v[10:11], v[57:58], v[26:27]
	v_add_co_u32 v57, vcc_lo, s0, v36
	s_wait_alu 0xfffd
	v_add_co_ci_u32_e64 v58, null, s1, v37, vcc_lo
	v_add_co_u32 v67, vcc_lo, s2, v68
	global_store_b64 v[74:75], v[32:33], off
	global_load_b64 v[32:33], v[52:53], off
	s_wait_alu 0xfffd
	v_add_co_ci_u32_e64 v68, null, s3, v69, vcc_lo
	v_add_co_u32 v69, vcc_lo, s0, v70
	s_wait_alu 0xfffd
	v_add_co_ci_u32_e64 v70, null, s1, v71, vcc_lo
	v_add_co_u32 v16, vcc_lo, s2, v16
	s_wait_alu 0xfffd
	v_add_co_ci_u32_e64 v17, null, s3, v17, vcc_lo
	s_wait_loadcnt 0x3
	v_mul_f64_e32 v[34:35], v[26:27], v[34:35]
	s_wait_loadcnt 0x1
	v_fma_f64 v[28:29], v[2:3], v[30:31], v[28:29]
	global_store_b64 v[76:77], v[34:35], off
	global_load_b64 v[34:35], v[57:58], off
	s_wait_loadcnt 0x1
	v_mul_f64_e32 v[32:33], v[2:3], v[32:33]
	global_store_b64 v[52:53], v[32:33], off
	global_load_b64 v[32:33], v[67:68], off
	v_lshlrev_b64_e32 v[52:53], 3, v[0:1]
	v_add_nc_u32_e32 v0, s6, v0
	s_wait_loadcnt 0x1
	v_mul_f64_e32 v[34:35], v[26:27], v[34:35]
	global_store_b64 v[57:58], v[34:35], off
	global_load_b64 v[34:35], v[69:70], off
	v_add_co_u32 v57, vcc_lo, s0, v52
	s_wait_alu 0xfffd
	v_add_co_ci_u32_e64 v58, null, s1, v53, vcc_lo
	v_add_co_u32 v14, vcc_lo, s2, v14
	s_wait_alu 0xfffd
	v_add_co_ci_u32_e64 v15, null, s3, v15, vcc_lo
	s_wait_loadcnt 0x1
	v_mul_f64_e32 v[32:33], v[2:3], v[32:33]
	global_store_b64 v[67:68], v[32:33], off
	global_load_b64 v[32:33], v[16:17], off
	v_lshlrev_b64_e32 v[67:68], 3, v[0:1]
	v_add_nc_u32_e32 v0, s8, v0
	s_wait_loadcnt 0x1
	v_mul_f64_e32 v[34:35], v[26:27], v[34:35]
	global_store_b64 v[69:70], v[34:35], off
	global_load_b64 v[34:35], v[57:58], off
	v_lshlrev_b64_e32 v[69:70], 3, v[0:1]
	v_add_nc_u32_e32 v0, s7, v0
	s_delay_alu instid0(VALU_DEP_1) | instskip(SKIP_3) | instid1(VALU_DEP_3)
	v_lshlrev_b64_e32 v[71:72], 3, v[0:1]
	v_add_nc_u32_e32 v0, s6, v0
	s_wait_loadcnt 0x1
	v_mul_f64_e32 v[32:33], v[10:11], v[32:33]
	v_add_co_u32 v71, vcc_lo, s0, v71
	s_wait_alu 0xfffd
	v_add_co_ci_u32_e64 v72, null, s1, v72, vcc_lo
	global_store_b64 v[16:17], v[32:33], off
	global_load_b64 v[16:17], v[14:15], off
	s_wait_loadcnt 0x1
	v_mul_f64_e32 v[34:35], v[26:27], v[34:35]
	global_store_b64 v[57:58], v[34:35], off
	global_load_b64 v[32:33], v[71:72], off
	v_mov_b32_e32 v57, v1
	s_delay_alu instid0(VALU_DEP_1) | instskip(SKIP_4) | instid1(VALU_DEP_4)
	v_lshlrev_b64_e32 v[34:35], 3, v[56:57]
	v_lshlrev_b64_e32 v[56:57], 3, v[0:1]
	v_add_nc_u32_e32 v0, s6, v0
	s_wait_loadcnt 0x1
	v_mul_f64_e32 v[16:17], v[6:7], v[16:17]
	v_add_co_u32 v34, vcc_lo, s2, v34
	s_wait_alu 0xfffd
	v_add_co_ci_u32_e64 v35, null, s3, v35, vcc_lo
	v_add_co_u32 v56, vcc_lo, s0, v56
	s_wait_alu 0xfffd
	v_add_co_ci_u32_e64 v57, null, s1, v57, vcc_lo
	;; [unrolled: 3-line block ×3, first 2 shown]
	global_store_b64 v[14:15], v[16:17], off
	global_load_b64 v[14:15], v[34:35], off
	s_wait_loadcnt 0x1
	v_mul_f64_e32 v[32:33], v[4:5], v[32:33]
	global_store_b64 v[71:72], v[32:33], off
	global_load_b64 v[16:17], v[56:57], off
	v_lshlrev_b64_e32 v[32:33], 3, v[0:1]
	v_add_nc_u32_e32 v0, s6, v0
	s_delay_alu instid0(VALU_DEP_2)
	v_add_co_u32 v71, vcc_lo, s0, v32
	s_wait_loadcnt 0x1
	v_mul_f64_e32 v[14:15], v[45:46], v[14:15]
	s_wait_alu 0xfffd
	v_add_co_ci_u32_e64 v72, null, s1, v33, vcc_lo
	global_store_b64 v[34:35], v[14:15], off
	global_load_b64 v[14:15], v[54:55], off
	v_lshlrev_b64_e32 v[34:35], 3, v[0:1]
	v_add_nc_u32_e32 v0, s6, v0
	s_wait_loadcnt 0x1
	v_mul_f64_e32 v[16:17], v[4:5], v[16:17]
	global_store_b64 v[56:57], v[16:17], off
	global_load_b64 v[16:17], v[71:72], off
	s_wait_loadcnt 0x1
	v_mul_f64_e32 v[14:15], v[45:46], v[14:15]
	v_add_co_u32 v45, vcc_lo, s2, v50
	s_wait_alu 0xfffd
	v_add_co_ci_u32_e64 v46, null, s3, v51, vcc_lo
	v_add_co_u32 v34, vcc_lo, s0, v34
	s_wait_alu 0xfffd
	v_add_co_ci_u32_e64 v35, null, s1, v35, vcc_lo
	v_lshlrev_b64_e32 v[49:50], 3, v[0:1]
	v_add_co_u32 v41, vcc_lo, s2, v41
	s_wait_alu 0xfffd
	v_add_co_ci_u32_e64 v42, null, s3, v42, vcc_lo
	v_add_nc_u32_e32 v0, s6, v0
	s_delay_alu instid0(VALU_DEP_4)
	v_add_co_u32 v49, vcc_lo, s0, v49
	s_wait_alu 0xfffd
	v_add_co_ci_u32_e64 v50, null, s1, v50, vcc_lo
	v_add_co_u32 v18, vcc_lo, s4, v18
	s_wait_alu 0xfffd
	v_add_co_ci_u32_e64 v19, null, s5, v19, vcc_lo
	;; [unrolled: 3-line block ×3, first 2 shown]
	global_load_b64 v[18:19], v[18:19], off
	v_add_co_u32 v38, vcc_lo, s2, v39
	global_load_b64 v[20:21], v[20:21], off
	s_wait_alu 0xfffd
	v_add_co_ci_u32_e64 v39, null, s3, v40, vcc_lo
	global_store_b64 v[54:55], v[14:15], off
	global_load_b64 v[14:15], v[45:46], off
	s_wait_loadcnt 0x3
	v_mul_f64_e32 v[16:17], v[4:5], v[16:17]
	global_store_b64 v[71:72], v[16:17], off
	global_load_b64 v[16:17], v[34:35], off
	s_wait_loadcnt 0x1
	v_mul_f64_e32 v[14:15], v[4:5], v[14:15]
	;; [unrolled: 4-line block ×3, first 2 shown]
	global_store_b64 v[34:35], v[16:17], off
	global_load_b64 v[16:17], v[49:50], off
	v_lshlrev_b64_e32 v[34:35], 3, v[0:1]
	v_add_nc_u32_e32 v0, s6, v0
	s_delay_alu instid0(VALU_DEP_2)
	v_add_co_u32 v34, vcc_lo, s0, v34
	s_wait_loadcnt 0x1
	v_mul_f64_e32 v[14:15], v[2:3], v[14:15]
	s_wait_alu 0xfffd
	v_add_co_ci_u32_e64 v35, null, s1, v35, vcc_lo
	global_store_b64 v[41:42], v[14:15], off
	global_load_b64 v[40:41], v[38:39], off
	v_fma_f64 v[14:15], v[2:3], v[18:19], v[22:23]
	v_add_co_u32 v22, vcc_lo, s2, v43
	s_wait_alu 0xfffd
	v_add_co_ci_u32_e64 v23, null, s3, v44, vcc_lo
	s_delay_alu instid0(VALU_DEP_3) | instskip(SKIP_2) | instid1(VALU_DEP_2)
	v_fma_f64 v[14:15], v[6:7], v[20:21], v[14:15]
	v_lshlrev_b64_e32 v[20:21], 3, v[0:1]
	v_add_nc_u32_e32 v0, s6, v0
	v_add_co_u32 v20, vcc_lo, s0, v20
	s_wait_alu 0xfffd
	s_delay_alu instid0(VALU_DEP_3)
	v_add_co_ci_u32_e64 v21, null, s1, v21, vcc_lo
	s_wait_loadcnt 0x1
	v_mul_f64_e32 v[16:17], v[4:5], v[16:17]
	global_store_b64 v[49:50], v[16:17], off
	global_load_b64 v[16:17], v[34:35], off
	s_wait_loadcnt 0x1
	v_mul_f64_e32 v[18:19], v[14:15], v[40:41]
	global_store_b64 v[38:39], v[18:19], off
	global_load_b64 v[18:19], v[22:23], off
	v_add_co_u32 v38, vcc_lo, s2, v61
	s_wait_alu 0xfffd
	v_add_co_ci_u32_e64 v39, null, s3, v62, vcc_lo
	s_wait_loadcnt 0x1
	v_mul_f64_e32 v[16:17], v[4:5], v[16:17]
	global_store_b64 v[34:35], v[16:17], off
	global_load_b64 v[16:17], v[20:21], off
	v_lshlrev_b64_e32 v[34:35], 3, v[0:1]
	v_add_nc_u32_e32 v0, s6, v0
	s_delay_alu instid0(VALU_DEP_2)
	v_add_co_u32 v40, vcc_lo, s0, v34
	s_wait_loadcnt 0x1
	v_mul_f64_e32 v[18:19], v[6:7], v[18:19]
	s_wait_alu 0xfffd
	v_add_co_ci_u32_e64 v41, null, s1, v35, vcc_lo
	global_store_b64 v[22:23], v[18:19], off
	global_load_b64 v[18:19], v[38:39], off
	v_add_co_u32 v22, vcc_lo, s2, v47
	s_wait_alu 0xfffd
	v_add_co_ci_u32_e64 v23, null, s3, v48, vcc_lo
	s_wait_loadcnt 0x1
	v_mul_f64_e32 v[16:17], v[4:5], v[16:17]
	global_store_b64 v[20:21], v[16:17], off
	global_load_b64 v[16:17], v[40:41], off
	v_lshlrev_b64_e32 v[20:21], 3, v[0:1]
	v_add_nc_u32_e32 v0, s6, v0
	s_delay_alu instid0(VALU_DEP_2)
	v_add_co_u32 v42, vcc_lo, s0, v20
	s_wait_loadcnt 0x1
	v_mul_f64_e32 v[18:19], v[6:7], v[18:19]
	s_wait_alu 0xfffd
	v_add_co_ci_u32_e64 v43, null, s1, v21, vcc_lo
	global_store_b64 v[38:39], v[18:19], off
	global_load_b64 v[18:19], v[22:23], off
	v_lshlrev_b64_e32 v[38:39], 3, v[0:1]
	v_add_nc_u32_e32 v0, s6, v0
	s_wait_loadcnt 0x1
	v_mul_f64_e32 v[16:17], v[4:5], v[16:17]
	global_store_b64 v[40:41], v[16:17], off
	global_load_b64 v[16:17], v[42:43], off
	v_add_co_u32 v40, vcc_lo, s2, v65
	s_wait_alu 0xfffd
	v_add_co_ci_u32_e64 v41, null, s3, v66, vcc_lo
	v_add_co_u32 v44, vcc_lo, s0, v38
	s_wait_alu 0xfffd
	v_add_co_ci_u32_e64 v45, null, s1, v39, vcc_lo
	s_wait_loadcnt 0x1
	v_mul_f64_e32 v[18:19], v[4:5], v[18:19]
	global_store_b64 v[22:23], v[18:19], off
	global_load_b64 v[18:19], v[40:41], off
	v_lshlrev_b64_e32 v[22:23], 3, v[0:1]
	v_add_nc_u32_e32 v0, s7, v0
	s_wait_loadcnt 0x1
	v_mul_f64_e32 v[16:17], v[4:5], v[16:17]
	global_store_b64 v[42:43], v[16:17], off
	global_load_b64 v[16:17], v[44:45], off
	v_add_co_u32 v42, vcc_lo, s2, v59
	s_wait_alu 0xfffd
	v_add_co_ci_u32_e64 v43, null, s3, v60, vcc_lo
	v_add_co_u32 v22, vcc_lo, s0, v22
	s_wait_alu 0xfffd
	v_add_co_ci_u32_e64 v23, null, s1, v23, vcc_lo
	s_wait_loadcnt 0x1
	v_mul_f64_e32 v[18:19], v[26:27], v[18:19]
	;; [unrolled: 16-line block ×3, first 2 shown]
	v_add_co_u32 v36, vcc_lo, s2, v36
	s_wait_alu 0xfffd
	v_add_co_ci_u32_e64 v37, null, s3, v37, vcc_lo
	global_store_b64 v[42:43], v[18:19], off
	global_load_b64 v[18:19], v[44:45], off
	s_wait_loadcnt 0x1
	v_mul_f64_e32 v[16:17], v[4:5], v[16:17]
	global_store_b64 v[22:23], v[16:17], off
	global_load_b64 v[16:17], v[40:41], off
	v_lshlrev_b64_e32 v[22:23], 3, v[0:1]
	v_add_nc_u32_e32 v0, s6, v0
	s_delay_alu instid0(VALU_DEP_2)
	v_add_co_u32 v22, vcc_lo, s0, v22
	s_wait_loadcnt 0x1
	v_mul_f64_e32 v[18:19], v[4:5], v[18:19]
	s_wait_alu 0xfffd
	v_add_co_ci_u32_e64 v23, null, s1, v23, vcc_lo
	v_add_co_u32 v42, vcc_lo, s2, v52
	s_wait_alu 0xfffd
	v_add_co_ci_u32_e64 v43, null, s3, v53, vcc_lo
	global_store_b64 v[44:45], v[18:19], off
	global_load_b64 v[18:19], v[36:37], off
	s_wait_loadcnt 0x1
	v_mul_f64_e32 v[16:17], v[4:5], v[16:17]
	global_store_b64 v[40:41], v[16:17], off
	global_load_b64 v[16:17], v[22:23], off
	v_lshlrev_b64_e32 v[40:41], 3, v[0:1]
	v_add_nc_u32_e32 v0, s6, v0
	s_delay_alu instid0(VALU_DEP_2)
	v_add_co_u32 v40, vcc_lo, s0, v40
	s_wait_loadcnt 0x1
	v_mul_f64_e32 v[18:19], v[10:11], v[18:19]
	s_wait_alu 0xfffd
	v_add_co_ci_u32_e64 v41, null, s1, v41, vcc_lo
	v_add_co_u32 v12, vcc_lo, s4, v12
	s_wait_alu 0xfffd
	v_add_co_ci_u32_e64 v13, null, s5, v13, vcc_lo
	global_load_b64 v[12:13], v[12:13], off
	global_store_b64 v[36:37], v[18:19], off
	global_load_b64 v[18:19], v[42:43], off
	v_add_co_u32 v36, vcc_lo, s2, v67
	s_wait_alu 0xfffd
	v_add_co_ci_u32_e64 v37, null, s3, v68, vcc_lo
	s_wait_loadcnt 0x2
	v_mul_f64_e32 v[16:17], v[4:5], v[16:17]
	s_wait_loadcnt 0x1
	v_fma_f64 v[12:13], v[4:5], v[12:13], v[28:29]
	global_store_b64 v[22:23], v[16:17], off
	global_load_b64 v[16:17], v[40:41], off
	v_lshlrev_b64_e32 v[22:23], 3, v[0:1]
	v_add_nc_u32_e32 v0, s6, v0
	s_delay_alu instid0(VALU_DEP_2)
	v_add_co_u32 v22, vcc_lo, s0, v22
	s_wait_loadcnt 0x1
	v_mul_f64_e32 v[18:19], v[10:11], v[18:19]
	s_wait_alu 0xfffd
	v_add_co_ci_u32_e64 v23, null, s1, v23, vcc_lo
	v_lshlrev_b64_e32 v[28:29], 3, v[0:1]
	v_add_co_u32 v30, vcc_lo, s2, v69
	s_wait_alu 0xfffd
	v_add_co_ci_u32_e64 v31, null, s3, v70, vcc_lo
	v_add_nc_u32_e32 v0, s6, v0
	s_delay_alu instid0(VALU_DEP_4)
	v_add_co_u32 v28, vcc_lo, s0, v28
	s_wait_alu 0xfffd
	v_add_co_ci_u32_e64 v29, null, s1, v29, vcc_lo
	v_add_co_u32 v32, vcc_lo, s2, v32
	s_wait_alu 0xfffd
	v_add_co_ci_u32_e64 v33, null, s3, v33, vcc_lo
	global_store_b64 v[42:43], v[18:19], off
	global_load_b64 v[18:19], v[36:37], off
	s_wait_loadcnt 0x1
	v_mul_f64_e32 v[16:17], v[4:5], v[16:17]
	global_store_b64 v[40:41], v[16:17], off
	global_load_b64 v[16:17], v[22:23], off
	s_wait_loadcnt 0x1
	v_mul_f64_e32 v[18:19], v[12:13], v[18:19]
	;; [unrolled: 4-line block ×3, first 2 shown]
	global_store_b64 v[22:23], v[16:17], off
	global_load_b64 v[16:17], v[28:29], off
	v_lshlrev_b64_e32 v[22:23], 3, v[0:1]
	v_add_nc_u32_e32 v0, s6, v0
	s_delay_alu instid0(VALU_DEP_2)
	v_add_co_u32 v36, vcc_lo, s0, v22
	s_wait_loadcnt 0x1
	v_mul_f64_e32 v[18:19], v[10:11], v[18:19]
	s_wait_alu 0xfffd
	v_add_co_ci_u32_e64 v37, null, s1, v23, vcc_lo
	global_store_b64 v[30:31], v[18:19], off
	global_load_b64 v[18:19], v[32:33], off
	v_add_co_u32 v30, vcc_lo, s2, v34
	s_wait_alu 0xfffd
	v_add_co_ci_u32_e64 v31, null, s3, v35, vcc_lo
	s_wait_loadcnt 0x1
	v_mul_f64_e32 v[16:17], v[12:13], v[16:17]
	global_store_b64 v[28:29], v[16:17], off
	global_load_b64 v[16:17], v[36:37], off
	v_lshlrev_b64_e32 v[28:29], 3, v[0:1]
	v_add_nc_u32_e32 v0, s6, v0
	s_delay_alu instid0(VALU_DEP_2)
	v_add_co_u32 v28, vcc_lo, s0, v28
	s_wait_loadcnt 0x1
	v_mul_f64_e32 v[18:19], v[26:27], v[18:19]
	s_wait_alu 0xfffd
	v_add_co_ci_u32_e64 v29, null, s1, v29, vcc_lo
	v_add_co_u32 v20, vcc_lo, s2, v20
	s_wait_alu 0xfffd
	v_add_co_ci_u32_e64 v21, null, s3, v21, vcc_lo
	global_store_b64 v[32:33], v[18:19], off
	global_load_b64 v[18:19], v[30:31], off
	v_lshlrev_b64_e32 v[32:33], 3, v[0:1]
	v_add_nc_u32_e32 v0, s6, v0
	s_delay_alu instid0(VALU_DEP_2) | instskip(SKIP_1) | instid1(VALU_DEP_3)
	v_add_co_u32 v32, vcc_lo, s0, v32
	s_wait_alu 0xfffd
	v_add_co_ci_u32_e64 v33, null, s1, v33, vcc_lo
	s_wait_loadcnt 0x1
	v_mul_f64_e32 v[16:17], v[12:13], v[16:17]
	global_store_b64 v[36:37], v[16:17], off
	global_load_b64 v[16:17], v[28:29], off
	s_wait_loadcnt 0x1
	v_mul_f64_e32 v[18:19], v[12:13], v[18:19]
	global_store_b64 v[30:31], v[18:19], off
	global_load_b64 v[18:19], v[20:21], off
	v_add_co_u32 v30, vcc_lo, s2, v38
	s_wait_alu 0xfffd
	v_add_co_ci_u32_e64 v31, null, s3, v39, vcc_lo
	s_wait_loadcnt 0x1
	v_mul_f64_e32 v[16:17], v[12:13], v[16:17]
	global_store_b64 v[28:29], v[16:17], off
	global_load_b64 v[16:17], v[32:33], off
	v_lshlrev_b64_e32 v[28:29], 3, v[0:1]
	v_add_nc_u32_e32 v0, s6, v0
	s_delay_alu instid0(VALU_DEP_2)
	v_add_co_u32 v28, vcc_lo, s0, v28
	s_wait_loadcnt 0x1
	v_mul_f64_e32 v[18:19], v[2:3], v[18:19]
	s_wait_alu 0xfffd
	v_add_co_ci_u32_e64 v29, null, s1, v29, vcc_lo
	v_add_co_u32 v22, vcc_lo, s2, v22
	s_wait_alu 0xfffd
	v_add_co_ci_u32_e64 v23, null, s3, v23, vcc_lo
	global_store_b64 v[20:21], v[18:19], off
	global_load_b64 v[18:19], v[30:31], off
	v_lshlrev_b64_e32 v[20:21], 3, v[0:1]
	v_add_nc_u32_e32 v0, s6, v0
	s_delay_alu instid0(VALU_DEP_2) | instskip(SKIP_1) | instid1(VALU_DEP_3)
	v_add_co_u32 v20, vcc_lo, s0, v20
	s_wait_alu 0xfffd
	v_add_co_ci_u32_e64 v21, null, s1, v21, vcc_lo
	s_wait_loadcnt 0x1
	v_mul_f64_e32 v[16:17], v[12:13], v[16:17]
	global_store_b64 v[32:33], v[16:17], off
	global_load_b64 v[16:17], v[28:29], off
	s_wait_loadcnt 0x1
	v_mul_f64_e32 v[18:19], v[12:13], v[18:19]
	global_store_b64 v[30:31], v[18:19], off
	global_load_b64 v[18:19], v[22:23], off
	;; [unrolled: 4-line block ×3, first 2 shown]
	v_lshlrev_b64_e32 v[28:29], 3, v[0:1]
	v_add_nc_u32_e32 v0, s6, v0
	s_delay_alu instid0(VALU_DEP_1) | instskip(SKIP_3) | instid1(VALU_DEP_3)
	v_lshlrev_b64_e32 v[30:31], 3, v[0:1]
	v_add_nc_u32_e32 v0, s6, v0
	s_wait_loadcnt 0x1
	v_mul_f64_e32 v[18:19], v[2:3], v[18:19]
	v_add_co_u32 v30, vcc_lo, s2, v30
	s_wait_alu 0xfffd
	v_add_co_ci_u32_e64 v31, null, s3, v31, vcc_lo
	v_add_co_u32 v28, vcc_lo, s0, v28
	s_wait_alu 0xfffd
	v_add_co_ci_u32_e64 v29, null, s1, v29, vcc_lo
	global_store_b64 v[22:23], v[18:19], off
	global_load_b64 v[18:19], v[30:31], off
	s_wait_loadcnt 0x1
	v_mul_f64_e32 v[16:17], v[12:13], v[16:17]
	global_store_b64 v[20:21], v[16:17], off
	global_load_b64 v[16:17], v[28:29], off
	v_lshlrev_b64_e32 v[20:21], 3, v[0:1]
	v_add_nc_u32_e32 v0, s6, v0
	s_delay_alu instid0(VALU_DEP_1)
	v_lshlrev_b64_e32 v[22:23], 3, v[0:1]
	v_add_nc_u32_e32 v0, s6, v0
	s_wait_loadcnt 0x1
	v_mul_f64_e32 v[18:19], v[26:27], v[18:19]
	v_add_co_u32 v20, vcc_lo, s2, v20
	s_wait_alu 0xfffd
	v_add_co_ci_u32_e64 v21, null, s3, v21, vcc_lo
	v_lshlrev_b64_e32 v[32:33], 3, v[0:1]
	v_add_nc_u32_e32 v0, s6, v0
	global_store_b64 v[30:31], v[18:19], off
	global_load_b64 v[18:19], v[20:21], off
	s_wait_loadcnt 0x1
	v_mul_f64_e32 v[12:13], v[12:13], v[16:17]
	v_lshlrev_b64_e32 v[16:17], 3, v[0:1]
	v_add_nc_u32_e32 v0, s6, v0
	s_delay_alu instid0(VALU_DEP_1) | instskip(SKIP_1) | instid1(VALU_DEP_1)
	v_lshlrev_b64_e32 v[34:35], 3, v[0:1]
	v_add_nc_u32_e32 v0, s6, v0
	v_lshlrev_b64_e32 v[36:37], 3, v[0:1]
	v_add_nc_u32_e32 v0, s6, v0
	s_delay_alu instid0(VALU_DEP_1) | instskip(SKIP_1) | instid1(VALU_DEP_1)
	v_lshlrev_b64_e32 v[38:39], 3, v[0:1]
	v_add_nc_u32_e32 v0, s7, v0
	v_lshlrev_b64_e32 v[40:41], 3, v[0:1]
	v_add_nc_u32_e32 v0, s6, v0
	s_delay_alu instid0(VALU_DEP_2) | instskip(SKIP_1) | instid1(VALU_DEP_3)
	v_add_co_u32 v42, vcc_lo, s0, v40
	s_wait_alu 0xfffd
	v_add_co_ci_u32_e64 v43, null, s1, v41, vcc_lo
	v_add_co_u32 v22, vcc_lo, s2, v22
	s_wait_alu 0xfffd
	v_add_co_ci_u32_e64 v23, null, s3, v23, vcc_lo
	global_store_b64 v[28:29], v[12:13], off
	global_load_b64 v[12:13], v[42:43], off
	v_lshlrev_b64_e32 v[28:29], 3, v[0:1]
	v_add_nc_u32_e32 v0, s6, v0
	s_delay_alu instid0(VALU_DEP_2)
	v_add_co_u32 v28, vcc_lo, s0, v28
	s_wait_loadcnt 0x1
	v_mul_f64_e32 v[18:19], v[14:15], v[18:19]
	s_wait_alu 0xfffd
	v_add_co_ci_u32_e64 v29, null, s1, v29, vcc_lo
	v_add_co_u32 v30, vcc_lo, s2, v32
	s_wait_alu 0xfffd
	v_add_co_ci_u32_e64 v31, null, s3, v33, vcc_lo
	global_store_b64 v[20:21], v[18:19], off
	global_load_b64 v[18:19], v[22:23], off
	v_lshlrev_b64_e32 v[20:21], 3, v[0:1]
	v_add_nc_u32_e32 v0, s6, v0
	s_delay_alu instid0(VALU_DEP_2) | instskip(SKIP_1) | instid1(VALU_DEP_3)
	v_add_co_u32 v32, vcc_lo, s0, v20
	s_wait_alu 0xfffd
	v_add_co_ci_u32_e64 v33, null, s1, v21, vcc_lo
	v_add_co_u32 v16, vcc_lo, s2, v16
	s_wait_alu 0xfffd
	v_add_co_ci_u32_e64 v17, null, s3, v17, vcc_lo
	s_wait_loadcnt 0x1
	v_mul_f64_e32 v[12:13], v[2:3], v[12:13]
	global_store_b64 v[42:43], v[12:13], off
	global_load_b64 v[12:13], v[28:29], off
	s_wait_loadcnt 0x1
	v_mul_f64_e32 v[18:19], v[4:5], v[18:19]
	global_store_b64 v[22:23], v[18:19], off
	global_load_b64 v[18:19], v[30:31], off
	v_lshlrev_b64_e32 v[22:23], 3, v[0:1]
	v_add_nc_u32_e32 v0, s6, v0
	s_delay_alu instid0(VALU_DEP_2) | instskip(SKIP_1) | instid1(VALU_DEP_3)
	v_add_co_u32 v22, vcc_lo, s0, v22
	s_wait_alu 0xfffd
	v_add_co_ci_u32_e64 v23, null, s1, v23, vcc_lo
	v_add_co_u32 v34, vcc_lo, s2, v34
	s_wait_alu 0xfffd
	v_add_co_ci_u32_e64 v35, null, s3, v35, vcc_lo
	s_wait_loadcnt 0x1
	v_mul_f64_e32 v[12:13], v[10:11], v[12:13]
	global_store_b64 v[28:29], v[12:13], off
	global_load_b64 v[12:13], v[32:33], off
	v_lshlrev_b64_e32 v[28:29], 3, v[0:1]
	v_add_nc_u32_e32 v0, s6, v0
	s_wait_loadcnt 0x1
	v_mul_f64_e32 v[18:19], v[4:5], v[18:19]
	global_store_b64 v[30:31], v[18:19], off
	global_load_b64 v[18:19], v[16:17], off
	v_lshlrev_b64_e32 v[30:31], 3, v[0:1]
	v_add_nc_u32_e32 v0, s6, v0
	s_wait_loadcnt 0x1
	v_mul_f64_e32 v[12:13], v[6:7], v[12:13]
	global_store_b64 v[32:33], v[12:13], off
	global_load_b64 v[12:13], v[22:23], off
	v_lshlrev_b64_e32 v[32:33], 3, v[0:1]
	v_add_nc_u32_e32 v0, s6, v0
	s_delay_alu instid0(VALU_DEP_2)
	v_add_co_u32 v32, vcc_lo, s0, v32
	s_wait_loadcnt 0x1
	v_mul_f64_e32 v[18:19], v[2:3], v[18:19]
	s_wait_alu 0xfffd
	v_add_co_ci_u32_e64 v33, null, s1, v33, vcc_lo
	global_store_b64 v[16:17], v[18:19], off
	global_load_b64 v[16:17], v[34:35], off
	v_add_co_u32 v18, vcc_lo, s2, v36
	s_wait_alu 0xfffd
	v_add_co_ci_u32_e64 v19, null, s3, v37, vcc_lo
	s_wait_loadcnt 0x1
	v_mul_f64_e32 v[12:13], v[6:7], v[12:13]
	global_store_b64 v[22:23], v[12:13], off
	global_load_b64 v[12:13], v[32:33], off
	s_wait_loadcnt 0x1
	v_mul_f64_e32 v[10:11], v[10:11], v[16:17]
	v_lshlrev_b64_e32 v[16:17], 3, v[0:1]
	v_add_nc_u32_e32 v0, s6, v0
	s_delay_alu instid0(VALU_DEP_2) | instskip(SKIP_1) | instid1(VALU_DEP_3)
	v_add_co_u32 v16, vcc_lo, s0, v16
	s_wait_alu 0xfffd
	v_add_co_ci_u32_e64 v17, null, s1, v17, vcc_lo
	s_delay_alu instid0(VALU_DEP_3)
	v_lshlrev_b64_e32 v[22:23], 3, v[0:1]
	v_add_nc_u32_e32 v0, s6, v0
	global_store_b64 v[34:35], v[10:11], off
	global_load_b64 v[10:11], v[18:19], off
	s_wait_loadcnt 0x1
	v_mul_f64_e32 v[12:13], v[14:15], v[12:13]
	global_store_b64 v[32:33], v[12:13], off
	global_load_b64 v[12:13], v[16:17], off
	v_add_co_u32 v32, vcc_lo, s2, v38
	s_wait_alu 0xfffd
	v_add_co_ci_u32_e64 v33, null, s3, v39, vcc_lo
	v_add_co_u32 v22, vcc_lo, s0, v22
	s_wait_alu 0xfffd
	v_add_co_ci_u32_e64 v23, null, s1, v23, vcc_lo
	s_wait_loadcnt 0x1
	v_mul_f64_e32 v[10:11], v[4:5], v[10:11]
	global_store_b64 v[18:19], v[10:11], off
	global_load_b64 v[10:11], v[32:33], off
	v_add_co_u32 v18, vcc_lo, s2, v40
	s_wait_alu 0xfffd
	v_add_co_ci_u32_e64 v19, null, s3, v41, vcc_lo
	s_wait_loadcnt 0x1
	v_mul_f64_e32 v[12:13], v[14:15], v[12:13]
	global_store_b64 v[16:17], v[12:13], off
	global_load_b64 v[12:13], v[22:23], off
	v_lshlrev_b64_e32 v[16:17], 3, v[0:1]
	v_add_nc_u32_e32 v0, s6, v0
	s_delay_alu instid0(VALU_DEP_2)
	v_add_co_u32 v16, vcc_lo, s0, v16
	s_wait_loadcnt 0x1
	v_mul_f64_e32 v[10:11], v[4:5], v[10:11]
	s_wait_alu 0xfffd
	v_add_co_ci_u32_e64 v17, null, s1, v17, vcc_lo
	v_add_co_u32 v20, vcc_lo, s2, v20
	s_wait_alu 0xfffd
	v_add_co_ci_u32_e64 v21, null, s3, v21, vcc_lo
	global_store_b64 v[32:33], v[10:11], off
	global_load_b64 v[10:11], v[18:19], off
	s_wait_loadcnt 0x1
	v_mul_f64_e32 v[12:13], v[14:15], v[12:13]
	global_store_b64 v[22:23], v[12:13], off
	global_load_b64 v[12:13], v[16:17], off
	v_lshlrev_b64_e32 v[22:23], 3, v[0:1]
	v_add_nc_u32_e32 v0, s6, v0
	s_delay_alu instid0(VALU_DEP_2)
	v_add_co_u32 v22, vcc_lo, s0, v22
	s_wait_loadcnt 0x1
	v_mul_f64_e32 v[10:11], v[14:15], v[10:11]
	s_wait_alu 0xfffd
	v_add_co_ci_u32_e64 v23, null, s1, v23, vcc_lo
	global_store_b64 v[18:19], v[10:11], off
	global_load_b64 v[10:11], v[20:21], off
	v_add_co_u32 v18, vcc_lo, s2, v28
	s_wait_alu 0xfffd
	v_add_co_ci_u32_e64 v19, null, s3, v29, vcc_lo
	s_wait_loadcnt 0x1
	v_mul_f64_e32 v[12:13], v[14:15], v[12:13]
	global_store_b64 v[16:17], v[12:13], off
	global_load_b64 v[12:13], v[22:23], off
	v_lshlrev_b64_e32 v[16:17], 3, v[0:1]
	v_add_nc_u32_e32 v0, s6, v0
	s_delay_alu instid0(VALU_DEP_2)
	v_add_co_u32 v16, vcc_lo, s0, v16
	s_wait_loadcnt 0x1
	v_mul_f64_e32 v[10:11], v[26:27], v[10:11]
	s_wait_alu 0xfffd
	v_add_co_ci_u32_e64 v17, null, s1, v17, vcc_lo
	v_add_co_u32 v8, vcc_lo, s4, v8
	s_wait_alu 0xfffd
	v_add_co_ci_u32_e64 v9, null, s5, v9, vcc_lo
	global_load_b64 v[8:9], v[8:9], off
	global_store_b64 v[20:21], v[10:11], off
	global_load_b64 v[10:11], v[18:19], off
	v_lshlrev_b64_e32 v[20:21], 3, v[0:1]
	v_add_nc_u32_e32 v0, s6, v0
	s_wait_loadcnt 0x2
	v_mul_f64_e32 v[12:13], v[14:15], v[12:13]
	s_wait_loadcnt 0x1
	v_fma_f64 v[8:9], v[14:15], v[8:9], v[24:25]
	global_store_b64 v[22:23], v[12:13], off
	global_load_b64 v[12:13], v[16:17], off
	v_add_co_u32 v22, vcc_lo, s2, v30
	s_wait_alu 0xfffd
	v_add_co_ci_u32_e64 v23, null, s3, v31, vcc_lo
	v_add_co_u32 v20, vcc_lo, s0, v20
	s_wait_alu 0xfffd
	v_add_co_ci_u32_e64 v21, null, s1, v21, vcc_lo
	s_wait_loadcnt 0x1
	v_mul_f64_e32 v[10:11], v[4:5], v[10:11]
	global_store_b64 v[18:19], v[10:11], off
	global_load_b64 v[10:11], v[22:23], off
	s_wait_loadcnt 0x1
	v_mul_f64_e32 v[12:13], v[14:15], v[12:13]
	global_store_b64 v[16:17], v[12:13], off
	global_load_b64 v[12:13], v[20:21], off
	v_lshlrev_b64_e32 v[16:17], 3, v[0:1]
	v_add_nc_u32_e32 v0, s6, v0
	s_delay_alu instid0(VALU_DEP_1) | instskip(SKIP_3) | instid1(VALU_DEP_2)
	v_lshlrev_b64_e32 v[18:19], 3, v[0:1]
	v_add_nc_u32_e32 v0, s7, v0
	s_wait_loadcnt 0x1
	v_mul_f64_e32 v[10:11], v[8:9], v[10:11]
	v_lshlrev_b64_e32 v[24:25], 3, v[0:1]
	v_add_nc_u32_e32 v0, s6, v0
	s_delay_alu instid0(VALU_DEP_2) | instskip(SKIP_1) | instid1(VALU_DEP_3)
	v_add_co_u32 v24, vcc_lo, s2, v24
	s_wait_alu 0xfffd
	v_add_co_ci_u32_e64 v25, null, s3, v25, vcc_lo
	v_add_co_u32 v16, vcc_lo, s0, v16
	s_wait_alu 0xfffd
	v_add_co_ci_u32_e64 v17, null, s1, v17, vcc_lo
	global_store_b64 v[22:23], v[10:11], off
	global_load_b64 v[10:11], v[24:25], off
	s_wait_loadcnt 0x1
	v_mul_f64_e32 v[12:13], v[14:15], v[12:13]
	global_store_b64 v[20:21], v[12:13], off
	global_load_b64 v[12:13], v[16:17], off
	v_lshlrev_b64_e32 v[20:21], 3, v[0:1]
	v_add_nc_u32_e32 v0, s6, v0
	s_delay_alu instid0(VALU_DEP_2)
	v_add_co_u32 v20, vcc_lo, s2, v20
	s_wait_loadcnt 0x1
	v_mul_f64_e32 v[10:11], v[14:15], v[10:11]
	s_wait_alu 0xfffd
	v_add_co_ci_u32_e64 v21, null, s3, v21, vcc_lo
	v_add_co_u32 v18, vcc_lo, s0, v18
	s_wait_alu 0xfffd
	v_add_co_ci_u32_e64 v19, null, s1, v19, vcc_lo
	global_store_b64 v[24:25], v[10:11], off
	global_load_b64 v[10:11], v[20:21], off
	s_wait_loadcnt 0x1
	v_mul_f64_e32 v[12:13], v[14:15], v[12:13]
	global_store_b64 v[16:17], v[12:13], off
	global_load_b64 v[12:13], v[18:19], off
	v_lshlrev_b64_e32 v[16:17], 3, v[0:1]
	v_add_nc_u32_e32 v0, s6, v0
	s_delay_alu instid0(VALU_DEP_1) | instskip(NEXT) | instid1(VALU_DEP_3)
	v_lshlrev_b64_e32 v[22:23], 3, v[0:1]
	v_add_co_u32 v16, vcc_lo, s2, v16
	s_wait_loadcnt 0x1
	v_mul_f64_e32 v[10:11], v[14:15], v[10:11]
	s_wait_alu 0xfffd
	v_add_co_ci_u32_e64 v17, null, s3, v17, vcc_lo
	v_add_co_u32 v24, vcc_lo, s0, v22
	s_wait_alu 0xfffd
	v_add_co_ci_u32_e64 v25, null, s1, v23, vcc_lo
	v_add_nc_u32_e32 v0, s6, v0
	v_add_co_u32 v22, vcc_lo, s2, v22
	s_wait_alu 0xfffd
	v_add_co_ci_u32_e64 v23, null, s3, v23, vcc_lo
	global_store_b64 v[20:21], v[10:11], off
	global_load_b64 v[10:11], v[16:17], off
	s_wait_loadcnt 0x1
	v_mul_f64_e32 v[12:13], v[14:15], v[12:13]
	global_store_b64 v[18:19], v[12:13], off
	global_load_b64 v[12:13], v[24:25], off
	s_wait_loadcnt 0x1
	v_mul_f64_e32 v[10:11], v[14:15], v[10:11]
	;; [unrolled: 4-line block ×3, first 2 shown]
	v_lshlrev_b64_e32 v[12:13], 3, v[0:1]
	v_add_nc_u32_e32 v0, s7, v0
	s_delay_alu instid0(VALU_DEP_1) | instskip(SKIP_1) | instid1(VALU_DEP_1)
	v_lshlrev_b64_e32 v[18:19], 3, v[0:1]
	v_add_nc_u32_e32 v0, s7, v0
	v_lshlrev_b64_e32 v[20:21], 3, v[0:1]
	v_add_nc_u32_e32 v0, s6, v0
	s_delay_alu instid0(VALU_DEP_1) | instskip(SKIP_1) | instid1(VALU_DEP_2)
	v_lshlrev_b64_e32 v[28:29], 3, v[0:1]
	v_add_nc_u32_e32 v0, s6, v0
	v_add_co_u32 v28, vcc_lo, s0, v28
	s_wait_alu 0xfffd
	s_delay_alu instid0(VALU_DEP_3)
	v_add_co_ci_u32_e64 v29, null, s1, v29, vcc_lo
	v_add_co_u32 v12, vcc_lo, s2, v12
	s_wait_alu 0xfffd
	v_add_co_ci_u32_e64 v13, null, s3, v13, vcc_lo
	global_store_b64 v[24:25], v[6:7], off
	global_load_b64 v[6:7], v[28:29], off
	s_wait_loadcnt 0x1
	v_mul_f64_e32 v[10:11], v[14:15], v[10:11]
	global_store_b64 v[22:23], v[10:11], off
	global_load_b64 v[10:11], v[12:13], off
	v_lshlrev_b64_e32 v[22:23], 3, v[0:1]
	s_wait_loadcnt 0x1
	v_mul_f64_e32 v[2:3], v[2:3], v[6:7]
	v_mad_co_u64_u32 v[6:7], null, s6, 9, v[0:1]
	v_mov_b32_e32 v7, v1
	s_delay_alu instid0(VALU_DEP_1) | instskip(SKIP_1) | instid1(VALU_DEP_2)
	v_lshlrev_b64_e32 v[16:17], 3, v[6:7]
	v_add_nc_u32_e32 v0, s6, v6
	v_add_co_u32 v24, vcc_lo, s0, v16
	s_wait_alu 0xfffd
	s_delay_alu instid0(VALU_DEP_3) | instskip(NEXT) | instid1(VALU_DEP_3)
	v_add_co_ci_u32_e64 v25, null, s1, v17, vcc_lo
	v_lshlrev_b64_e32 v[6:7], 3, v[0:1]
	v_add_co_u32 v18, vcc_lo, s2, v18
	s_wait_alu 0xfffd
	v_add_co_ci_u32_e64 v19, null, s3, v19, vcc_lo
	v_add_nc_u32_e32 v0, s6, v0
	s_delay_alu instid0(VALU_DEP_4)
	v_add_co_u32 v6, vcc_lo, s0, v6
	s_wait_alu 0xfffd
	v_add_co_ci_u32_e64 v7, null, s1, v7, vcc_lo
	v_add_co_u32 v20, vcc_lo, s2, v20
	s_wait_alu 0xfffd
	v_add_co_ci_u32_e64 v21, null, s3, v21, vcc_lo
	global_store_b64 v[28:29], v[2:3], off
	global_load_b64 v[2:3], v[24:25], off
	s_wait_loadcnt 0x1
	v_mul_f64_e32 v[10:11], v[14:15], v[10:11]
	global_store_b64 v[12:13], v[10:11], off
	global_load_b64 v[10:11], v[18:19], off
	v_lshlrev_b64_e32 v[12:13], 3, v[0:1]
	v_add_nc_u32_e32 v0, s6, v0
	s_wait_loadcnt 0x1
	v_mul_f64_e32 v[2:3], v[8:9], v[2:3]
	global_store_b64 v[24:25], v[2:3], off
	global_load_b64 v[2:3], v[6:7], off
	v_add_co_u32 v24, vcc_lo, s0, v12
	s_wait_alu 0xfffd
	v_add_co_ci_u32_e64 v25, null, s1, v13, vcc_lo
	s_wait_loadcnt 0x1
	v_mul_f64_e32 v[10:11], v[26:27], v[10:11]
	global_store_b64 v[18:19], v[10:11], off
	global_load_b64 v[10:11], v[20:21], off
	s_wait_loadcnt 0x1
	v_mul_f64_e32 v[2:3], v[8:9], v[2:3]
	global_store_b64 v[6:7], v[2:3], off
	global_load_b64 v[2:3], v[24:25], off
	v_lshlrev_b64_e32 v[6:7], 3, v[0:1]
	v_add_nc_u32_e32 v0, s6, v0
	s_delay_alu instid0(VALU_DEP_1)
	v_lshlrev_b64_e32 v[18:19], 3, v[0:1]
	v_add_nc_u32_e32 v0, s6, v0
	s_wait_loadcnt 0x1
	v_mul_f64_e32 v[4:5], v[4:5], v[10:11]
	v_add_co_u32 v10, vcc_lo, s2, v22
	s_wait_alu 0xfffd
	v_add_co_ci_u32_e64 v11, null, s3, v23, vcc_lo
	v_add_co_u32 v6, vcc_lo, s0, v6
	s_wait_alu 0xfffd
	v_add_co_ci_u32_e64 v7, null, s1, v7, vcc_lo
	;; [unrolled: 3-line block ×4, first 2 shown]
	global_store_b64 v[20:21], v[4:5], off
	global_load_b64 v[4:5], v[10:11], off
	s_wait_loadcnt 0x1
	v_mul_f64_e32 v[2:3], v[8:9], v[2:3]
	global_store_b64 v[24:25], v[2:3], off
	global_load_b64 v[2:3], v[6:7], off
	s_wait_loadcnt 0x1
	v_mul_f64_e32 v[4:5], v[8:9], v[4:5]
	global_store_b64 v[10:11], v[4:5], off
	global_load_b64 v[4:5], v[16:17], off
	v_add_co_u32 v10, vcc_lo, s2, v12
	s_wait_alu 0xfffd
	v_add_co_ci_u32_e64 v11, null, s3, v13, vcc_lo
	s_wait_loadcnt 0x1
	v_mul_f64_e32 v[2:3], v[8:9], v[2:3]
	global_store_b64 v[6:7], v[2:3], off
	global_load_b64 v[2:3], v[18:19], off
	v_lshlrev_b64_e32 v[6:7], 3, v[0:1]
	v_add_nc_u32_e32 v0, s6, v0
	s_delay_alu instid0(VALU_DEP_2) | instskip(SKIP_1) | instid1(VALU_DEP_3)
	v_add_co_u32 v12, vcc_lo, s0, v6
	s_wait_alu 0xfffd
	v_add_co_ci_u32_e64 v13, null, s1, v7, vcc_lo
	s_wait_loadcnt 0x1
	v_mul_f64_e32 v[4:5], v[14:15], v[4:5]
	v_lshlrev_b64_e32 v[0:1], 3, v[0:1]
	v_add_co_u32 v6, vcc_lo, s2, v6
	s_wait_alu 0xfffd
	v_add_co_ci_u32_e64 v7, null, s3, v7, vcc_lo
	s_delay_alu instid0(VALU_DEP_3)
	v_add_co_u32 v0, vcc_lo, s0, v0
	s_wait_alu 0xfffd
	v_add_co_ci_u32_e64 v1, null, s1, v1, vcc_lo
	global_store_b64 v[16:17], v[4:5], off
	global_load_b64 v[4:5], v[10:11], off
	s_wait_loadcnt 0x1
	v_mul_f64_e32 v[2:3], v[8:9], v[2:3]
	global_store_b64 v[18:19], v[2:3], off
	global_load_b64 v[2:3], v[12:13], off
	s_wait_loadcnt 0x1
	v_mul_f64_e32 v[4:5], v[14:15], v[4:5]
	s_wait_loadcnt 0x0
	v_mul_f64_e32 v[2:3], v[8:9], v[2:3]
	global_store_b64 v[10:11], v[4:5], off
	global_store_b64 v[12:13], v[2:3], off
	global_load_b64 v[2:3], v[6:7], off
	global_load_b64 v[4:5], v[0:1], off
	s_wait_loadcnt 0x1
	v_mul_f64_e32 v[2:3], v[14:15], v[2:3]
	s_wait_loadcnt 0x0
	v_mul_f64_e32 v[4:5], v[8:9], v[4:5]
	global_store_b64 v[6:7], v[2:3], off
	global_store_b64 v[0:1], v[4:5], off
	s_endpgm
	.section	.rodata,"a",@progbits
	.p2align	6, 0x0
	.amdhsa_kernel _Z12qssa2_kernelIdEvPT_S1_PKS0_
		.amdhsa_group_segment_fixed_size 0
		.amdhsa_private_segment_fixed_size 0
		.amdhsa_kernarg_size 280
		.amdhsa_user_sgpr_count 2
		.amdhsa_user_sgpr_dispatch_ptr 0
		.amdhsa_user_sgpr_queue_ptr 0
		.amdhsa_user_sgpr_kernarg_segment_ptr 1
		.amdhsa_user_sgpr_dispatch_id 0
		.amdhsa_user_sgpr_private_segment_size 0
		.amdhsa_wavefront_size32 1
		.amdhsa_uses_dynamic_stack 0
		.amdhsa_enable_private_segment 0
		.amdhsa_system_sgpr_workgroup_id_x 1
		.amdhsa_system_sgpr_workgroup_id_y 0
		.amdhsa_system_sgpr_workgroup_id_z 0
		.amdhsa_system_sgpr_workgroup_info 0
		.amdhsa_system_vgpr_workitem_id 0
		.amdhsa_next_free_vgpr 90
		.amdhsa_next_free_sgpr 10
		.amdhsa_reserve_vcc 1
		.amdhsa_float_round_mode_32 0
		.amdhsa_float_round_mode_16_64 0
		.amdhsa_float_denorm_mode_32 3
		.amdhsa_float_denorm_mode_16_64 3
		.amdhsa_fp16_overflow 0
		.amdhsa_workgroup_processor_mode 1
		.amdhsa_memory_ordered 1
		.amdhsa_forward_progress 1
		.amdhsa_inst_pref_size 92
		.amdhsa_round_robin_scheduling 0
		.amdhsa_exception_fp_ieee_invalid_op 0
		.amdhsa_exception_fp_denorm_src 0
		.amdhsa_exception_fp_ieee_div_zero 0
		.amdhsa_exception_fp_ieee_overflow 0
		.amdhsa_exception_fp_ieee_underflow 0
		.amdhsa_exception_fp_ieee_inexact 0
		.amdhsa_exception_int_div_zero 0
	.end_amdhsa_kernel
	.section	.text._Z12qssa2_kernelIdEvPT_S1_PKS0_,"axG",@progbits,_Z12qssa2_kernelIdEvPT_S1_PKS0_,comdat
.Lfunc_end45:
	.size	_Z12qssa2_kernelIdEvPT_S1_PKS0_, .Lfunc_end45-_Z12qssa2_kernelIdEvPT_S1_PKS0_
                                        ; -- End function
	.set _Z12qssa2_kernelIdEvPT_S1_PKS0_.num_vgpr, 90
	.set _Z12qssa2_kernelIdEvPT_S1_PKS0_.num_agpr, 0
	.set _Z12qssa2_kernelIdEvPT_S1_PKS0_.numbered_sgpr, 10
	.set _Z12qssa2_kernelIdEvPT_S1_PKS0_.num_named_barrier, 0
	.set _Z12qssa2_kernelIdEvPT_S1_PKS0_.private_seg_size, 0
	.set _Z12qssa2_kernelIdEvPT_S1_PKS0_.uses_vcc, 1
	.set _Z12qssa2_kernelIdEvPT_S1_PKS0_.uses_flat_scratch, 0
	.set _Z12qssa2_kernelIdEvPT_S1_PKS0_.has_dyn_sized_stack, 0
	.set _Z12qssa2_kernelIdEvPT_S1_PKS0_.has_recursion, 0
	.set _Z12qssa2_kernelIdEvPT_S1_PKS0_.has_indirect_call, 0
	.section	.AMDGPU.csdata,"",@progbits
; Kernel info:
; codeLenInByte = 11676
; TotalNumSgprs: 12
; NumVgprs: 90
; ScratchSize: 0
; MemoryBound: 1
; FloatMode: 240
; IeeeMode: 1
; LDSByteSize: 0 bytes/workgroup (compile time only)
; SGPRBlocks: 0
; VGPRBlocks: 11
; NumSGPRsForWavesPerEU: 12
; NumVGPRsForWavesPerEU: 90
; Occupancy: 16
; WaveLimiterHint : 1
; COMPUTE_PGM_RSRC2:SCRATCH_EN: 0
; COMPUTE_PGM_RSRC2:USER_SGPR: 2
; COMPUTE_PGM_RSRC2:TRAP_HANDLER: 0
; COMPUTE_PGM_RSRC2:TGID_X_EN: 1
; COMPUTE_PGM_RSRC2:TGID_Y_EN: 0
; COMPUTE_PGM_RSRC2:TGID_Z_EN: 0
; COMPUTE_PGM_RSRC2:TIDIG_COMP_CNT: 0
	.section	.text._Z13rdwdot_kernelIdEvPKT_S2_PS0_S0_S2_,"axG",@progbits,_Z13rdwdot_kernelIdEvPKT_S2_PS0_S0_S2_,comdat
	.protected	_Z13rdwdot_kernelIdEvPKT_S2_PS0_S0_S2_ ; -- Begin function _Z13rdwdot_kernelIdEvPKT_S2_PS0_S0_S2_
	.globl	_Z13rdwdot_kernelIdEvPKT_S2_PS0_S0_S2_
	.p2align	8
	.type	_Z13rdwdot_kernelIdEvPKT_S2_PS0_S0_S2_,@function
_Z13rdwdot_kernelIdEvPKT_S2_PS0_S0_S2_: ; @_Z13rdwdot_kernelIdEvPKT_S2_PS0_S0_S2_
; %bb.0:
	s_clause 0x1
	s_load_b32 s2, s[0:1], 0x34
	s_load_b96 s[8:10], s[0:1], 0x20
	s_wait_kmcnt 0x0
	s_and_b32 s11, s2, 0xffff
	s_load_b256 s[0:7], s[0:1], 0x0
	v_mad_co_u64_u32 v[2:3], null, ttmp9, s11, v[0:1]
	s_mul_i32 s10, s10, s11
	s_wait_alu 0xfffe
	s_lshl_b32 s11, s10, 2
	v_mov_b32_e32 v1, 0
	s_mul_i32 s12, s10, 6
	s_mul_i32 s13, s10, 7
	s_wait_alu 0xfffe
	v_add_nc_u32_e32 v0, s11, v2
	s_mul_i32 s14, s10, 5
	v_mov_b32_e32 v3, v1
	s_lshl_b32 s15, s10, 1
	s_mul_i32 s16, s10, 3
	v_lshlrev_b64_e32 v[4:5], 3, v[0:1]
	v_add_nc_u32_e32 v0, s10, v0
	v_lshlrev_b64_e32 v[6:7], 3, v[2:3]
	s_lshl_b32 s17, s10, 3
	s_delay_alu instid0(VALU_DEP_2)
	v_lshlrev_b64_e32 v[8:9], 3, v[0:1]
	s_wait_kmcnt 0x0
	v_add_co_u32 v10, vcc_lo, s0, v4
	v_add_nc_u32_e32 v0, s10, v0
	v_add_co_ci_u32_e64 v11, null, s1, v5, vcc_lo
	v_add_co_u32 v3, vcc_lo, s2, v4
	s_wait_alu 0xfffd
	v_add_co_ci_u32_e64 v4, null, s3, v5, vcc_lo
	v_add_co_u32 v14, vcc_lo, s0, v8
	s_wait_alu 0xfffd
	v_add_co_ci_u32_e64 v15, null, s1, v9, vcc_lo
	v_add_co_u32 v8, vcc_lo, s2, v8
	v_lshlrev_b64_e32 v[12:13], 3, v[0:1]
	v_add_nc_u32_e32 v0, s10, v0
	s_wait_alu 0xfffd
	v_add_co_ci_u32_e64 v9, null, s3, v9, vcc_lo
	global_load_b64 v[10:11], v[10:11], off
	global_load_b64 v[4:5], v[3:4], off
	;; [unrolled: 1-line block ×4, first 2 shown]
	v_add_co_u32 v22, vcc_lo, s0, v6
	v_lshlrev_b64_e32 v[16:17], 3, v[0:1]
	v_add_nc_u32_e32 v0, s11, v0
	s_wait_alu 0xfffd
	v_add_co_ci_u32_e64 v23, null, s1, v7, vcc_lo
	v_add_co_u32 v6, vcc_lo, s2, v6
	s_delay_alu instid0(VALU_DEP_3) | instskip(SKIP_4) | instid1(VALU_DEP_3)
	v_lshlrev_b64_e32 v[18:19], 3, v[0:1]
	v_add_nc_u32_e32 v0, s10, v0
	s_wait_alu 0xfffd
	v_add_co_ci_u32_e64 v7, null, s3, v7, vcc_lo
	v_add_co_u32 v28, vcc_lo, s0, v12
	v_lshlrev_b64_e32 v[20:21], 3, v[0:1]
	v_add_nc_u32_e32 v0, s10, v0
	s_wait_alu 0xfffd
	v_add_co_ci_u32_e64 v29, null, s1, v13, vcc_lo
	v_add_co_u32 v12, vcc_lo, s2, v12
	s_delay_alu instid0(VALU_DEP_3)
	v_lshlrev_b64_e32 v[24:25], 3, v[0:1]
	v_add_nc_u32_e32 v0, s10, v0
	s_wait_alu 0xfffd
	v_add_co_ci_u32_e64 v13, null, s3, v13, vcc_lo
	global_load_b64 v[22:23], v[22:23], off
	v_lshlrev_b64_e32 v[26:27], 3, v[0:1]
	v_add_nc_u32_e32 v0, s10, v2
	s_delay_alu instid0(VALU_DEP_1) | instskip(SKIP_1) | instid1(VALU_DEP_2)
	v_lshlrev_b64_e32 v[2:3], 3, v[0:1]
	v_add_nc_u32_e32 v0, s10, v0
	v_add_co_u32 v30, vcc_lo, s0, v2
	s_wait_alu 0xfffd
	s_delay_alu instid0(VALU_DEP_3)
	v_add_co_ci_u32_e64 v31, null, s1, v3, vcc_lo
	v_add_co_u32 v32, vcc_lo, s2, v2
	s_wait_alu 0xfffd
	v_add_co_ci_u32_e64 v33, null, s3, v3, vcc_lo
	global_load_b64 v[6:7], v[6:7], off
	global_load_b64 v[28:29], v[28:29], off
	;; [unrolled: 1-line block ×5, first 2 shown]
	v_lshlrev_b64_e32 v[36:37], 3, v[0:1]
	v_add_co_u32 v34, vcc_lo, s0, v16
	s_wait_alu 0xfffd
	v_add_co_ci_u32_e64 v35, null, s1, v17, vcc_lo
	v_add_co_u32 v16, vcc_lo, s2, v16
	s_wait_alu 0xfffd
	v_add_co_ci_u32_e64 v17, null, s3, v17, vcc_lo
	;; [unrolled: 3-line block ×4, first 2 shown]
	global_load_b64 v[34:35], v[34:35], off
	global_load_b64 v[16:17], v[16:17], off
	;; [unrolled: 1-line block ×4, first 2 shown]
	v_add_co_u32 v40, vcc_lo, s0, v18
	s_wait_alu 0xfffd
	v_add_co_ci_u32_e64 v41, null, s1, v19, vcc_lo
	v_add_co_u32 v18, vcc_lo, s2, v18
	s_wait_alu 0xfffd
	v_add_co_ci_u32_e64 v19, null, s3, v19, vcc_lo
	v_add_co_u32 v42, vcc_lo, s0, v20
	s_wait_alu 0xfffd
	v_add_co_ci_u32_e64 v43, null, s1, v21, vcc_lo
	v_add_co_u32 v20, vcc_lo, s2, v20
	s_wait_alu 0xfffd
	v_add_co_ci_u32_e64 v21, null, s3, v21, vcc_lo
	global_load_b64 v[40:41], v[40:41], off
	global_load_b64 v[18:19], v[18:19], off
	;; [unrolled: 1-line block ×4, first 2 shown]
	v_add_nc_u32_e32 v0, s12, v0
	v_add_co_u32 v44, vcc_lo, s0, v24
	s_wait_alu 0xfffd
	v_add_co_ci_u32_e64 v45, null, s1, v25, vcc_lo
	s_delay_alu instid0(VALU_DEP_3) | instskip(SKIP_4) | instid1(VALU_DEP_4)
	v_lshlrev_b64_e32 v[46:47], 3, v[0:1]
	v_add_co_u32 v24, vcc_lo, s2, v24
	s_wait_alu 0xfffd
	v_add_co_ci_u32_e64 v25, null, s3, v25, vcc_lo
	v_add_nc_u32_e32 v0, s10, v0
	v_add_co_u32 v48, vcc_lo, s0, v46
	s_wait_alu 0xfffd
	v_add_co_ci_u32_e64 v49, null, s1, v47, vcc_lo
	v_add_co_u32 v46, vcc_lo, s2, v46
	s_wait_alu 0xfffd
	v_add_co_ci_u32_e64 v47, null, s3, v47, vcc_lo
	global_load_b64 v[44:45], v[44:45], off
	global_load_b64 v[24:25], v[24:25], off
	;; [unrolled: 1-line block ×4, first 2 shown]
	v_lshlrev_b64_e32 v[52:53], 3, v[0:1]
	v_add_co_u32 v50, vcc_lo, s0, v26
	s_wait_alu 0xfffd
	v_add_co_ci_u32_e64 v51, null, s1, v27, vcc_lo
	v_add_co_u32 v26, vcc_lo, s2, v26
	s_wait_alu 0xfffd
	v_add_co_ci_u32_e64 v27, null, s3, v27, vcc_lo
	;; [unrolled: 3-line block ×4, first 2 shown]
	global_load_b64 v[50:51], v[50:51], off
	global_load_b64 v[26:27], v[26:27], off
	;; [unrolled: 1-line block ×4, first 2 shown]
	v_add_nc_u32_e32 v0, s13, v0
	s_delay_alu instid0(VALU_DEP_1) | instskip(SKIP_1) | instid1(VALU_DEP_2)
	v_lshlrev_b64_e32 v[56:57], 3, v[0:1]
	v_add_nc_u32_e32 v0, s10, v0
	v_add_co_u32 v58, vcc_lo, s0, v56
	s_wait_alu 0xfffd
	s_delay_alu instid0(VALU_DEP_3)
	v_add_co_ci_u32_e64 v59, null, s1, v57, vcc_lo
	v_add_co_u32 v56, vcc_lo, s2, v56
	s_wait_alu 0xfffd
	v_add_co_ci_u32_e64 v57, null, s3, v57, vcc_lo
	global_load_b64 v[58:59], v[58:59], off
	global_load_b64 v[56:57], v[56:57], off
	s_wait_loadcnt 0x1a
	v_add_f64_e64 v[4:5], v[10:11], -v[4:5]
	v_lshlrev_b64_e32 v[10:11], 3, v[0:1]
	s_wait_loadcnt 0x18
	v_add_f64_e64 v[8:9], v[14:15], -v[8:9]
	v_add_nc_u32_e32 v0, s10, v0
	s_delay_alu instid0(VALU_DEP_3)
	v_add_co_u32 v14, vcc_lo, s0, v10
	s_wait_alu 0xfffd
	v_add_co_ci_u32_e64 v15, null, s1, v11, vcc_lo
	v_add_co_u32 v10, vcc_lo, s2, v10
	s_wait_alu 0xfffd
	v_add_co_ci_u32_e64 v11, null, s3, v11, vcc_lo
	global_load_b64 v[14:15], v[14:15], off
	global_load_b64 v[10:11], v[10:11], off
	v_add_f64_e32 v[4:5], v[4:5], v[8:9]
	v_lshlrev_b64_e32 v[8:9], 3, v[0:1]
	v_add_nc_u32_e32 v0, s14, v0
	s_wait_loadcnt 0x18
	v_add_f64_e64 v[6:7], v[22:23], -v[6:7]
	s_wait_loadcnt 0x16
	v_add_f64_e64 v[12:13], v[28:29], -v[12:13]
	v_add_co_u32 v28, vcc_lo, s0, v8
	s_wait_loadcnt 0x14
	v_add_f64_e64 v[22:23], v[30:31], -v[32:33]
	s_wait_alu 0xfffd
	v_add_co_ci_u32_e64 v29, null, s1, v9, vcc_lo
	v_add_co_u32 v8, vcc_lo, s2, v8
	s_wait_alu 0xfffd
	v_add_co_ci_u32_e64 v9, null, s3, v9, vcc_lo
	global_load_b64 v[28:29], v[28:29], off
	global_load_b64 v[8:9], v[8:9], off
	s_wait_loadcnt 0x14
	v_add_f64_e64 v[16:17], v[34:35], -v[16:17]
	s_wait_loadcnt 0x12
	v_add_f64_e64 v[30:31], v[38:39], -v[36:37]
	;; [unrolled: 2-line block ×4, first 2 shown]
	v_add_f64_e32 v[4:5], v[4:5], v[12:13]
	v_lshlrev_b64_e32 v[12:13], 3, v[0:1]
	v_add_nc_u32_e32 v0, s10, v0
	v_add_f64_e64 v[6:7], v[22:23], -v[6:7]
	s_delay_alu instid0(VALU_DEP_3) | instskip(SKIP_1) | instid1(VALU_DEP_4)
	v_add_co_u32 v22, vcc_lo, s0, v12
	s_wait_alu 0xfffd
	v_add_co_ci_u32_e64 v23, null, s1, v13, vcc_lo
	v_add_co_u32 v12, vcc_lo, s2, v12
	s_wait_alu 0xfffd
	v_add_co_ci_u32_e64 v13, null, s3, v13, vcc_lo
	global_load_b64 v[22:23], v[22:23], off
	global_load_b64 v[12:13], v[12:13], off
	s_wait_loadcnt 0xe
	v_add_f64_e64 v[24:25], v[44:45], -v[24:25]
	s_wait_loadcnt 0xc
	v_add_f64_e64 v[36:37], v[48:49], -v[46:47]
	;; [unrolled: 2-line block ×3, first 2 shown]
	v_add_f64_e32 v[18:19], v[18:19], v[20:21]
	v_add_f64_e32 v[4:5], v[4:5], v[16:17]
	v_lshlrev_b64_e32 v[16:17], 3, v[0:1]
	v_add_nc_u32_e32 v0, s14, v0
	v_add_f64_e32 v[6:7], v[6:7], v[30:31]
	s_wait_loadcnt 0x8
	v_add_f64_e64 v[38:39], v[54:55], -v[52:53]
	s_delay_alu instid0(VALU_DEP_4)
	v_add_co_u32 v30, vcc_lo, s0, v16
	s_wait_alu 0xfffd
	v_add_co_ci_u32_e64 v31, null, s1, v17, vcc_lo
	v_add_co_u32 v16, vcc_lo, s2, v16
	s_wait_alu 0xfffd
	v_add_co_ci_u32_e64 v17, null, s3, v17, vcc_lo
	global_load_b64 v[30:31], v[30:31], off
	global_load_b64 v[16:17], v[16:17], off
	v_lshlrev_b64_e32 v[32:33], 3, v[0:1]
	v_add_nc_u32_e32 v0, s11, v0
	s_wait_loadcnt 0x8
	v_add_f64_e64 v[40:41], v[58:59], -v[56:57]
	s_delay_alu instid0(VALU_DEP_3)
	v_add_co_u32 v34, vcc_lo, s0, v32
	s_wait_alu 0xfffd
	v_add_co_ci_u32_e64 v35, null, s1, v33, vcc_lo
	v_add_co_u32 v32, vcc_lo, s2, v32
	s_wait_alu 0xfffd
	v_add_co_ci_u32_e64 v33, null, s3, v33, vcc_lo
	global_load_b64 v[34:35], v[34:35], off
	global_load_b64 v[32:33], v[32:33], off
	v_add_f64_e32 v[18:19], v[18:19], v[24:25]
	v_add_f64_e64 v[6:7], v[6:7], -v[4:5]
	s_delay_alu instid0(VALU_DEP_2) | instskip(NEXT) | instid1(VALU_DEP_2)
	v_add_f64_e32 v[18:19], v[18:19], v[26:27]
	v_add_f64_e64 v[4:5], v[6:7], -v[4:5]
	v_lshlrev_b64_e32 v[6:7], 3, v[0:1]
	v_add_nc_u32_e32 v0, s10, v0
	s_delay_alu instid0(VALU_DEP_2) | instskip(SKIP_1) | instid1(VALU_DEP_3)
	v_add_co_u32 v20, vcc_lo, s0, v6
	s_wait_alu 0xfffd
	v_add_co_ci_u32_e64 v21, null, s1, v7, vcc_lo
	v_add_co_u32 v6, vcc_lo, s2, v6
	s_wait_alu 0xfffd
	v_add_co_ci_u32_e64 v7, null, s3, v7, vcc_lo
	global_load_b64 v[20:21], v[20:21], off
	global_load_b64 v[6:7], v[6:7], off
	v_lshlrev_b64_e32 v[24:25], 3, v[0:1]
	v_add_nc_u32_e32 v0, s10, v0
	s_delay_alu instid0(VALU_DEP_1)
	v_lshlrev_b64_e32 v[26:27], 3, v[0:1]
	v_add_nc_u32_e32 v0, s10, v0
	v_add_f64_e64 v[4:5], v[4:5], -v[36:37]
	v_add_co_u32 v36, vcc_lo, s0, v24
	s_wait_alu 0xfffd
	v_add_co_ci_u32_e64 v37, null, s1, v25, vcc_lo
	v_add_co_u32 v24, vcc_lo, s2, v24
	s_wait_alu 0xfffd
	v_add_co_ci_u32_e64 v25, null, s3, v25, vcc_lo
	global_load_b64 v[36:37], v[36:37], off
	global_load_b64 v[24:25], v[24:25], off
	v_add_f64_e64 v[4:5], v[4:5], -v[38:39]
	v_add_co_u32 v38, vcc_lo, s0, v26
	s_wait_alu 0xfffd
	v_add_co_ci_u32_e64 v39, null, s1, v27, vcc_lo
	v_add_co_u32 v26, vcc_lo, s2, v26
	s_wait_alu 0xfffd
	v_add_co_ci_u32_e64 v27, null, s3, v27, vcc_lo
	global_load_b64 v[38:39], v[38:39], off
	global_load_b64 v[26:27], v[26:27], off
	v_add_f64_e64 v[4:5], v[4:5], -v[18:19]
	v_lshlrev_b64_e32 v[18:19], 3, v[0:1]
	v_add_nc_u32_e32 v0, s11, v0
	s_delay_alu instid0(VALU_DEP_2) | instskip(SKIP_1) | instid1(VALU_DEP_3)
	v_add_co_u32 v42, vcc_lo, s0, v18
	s_wait_alu 0xfffd
	v_add_co_ci_u32_e64 v43, null, s1, v19, vcc_lo
	v_add_co_u32 v18, vcc_lo, s2, v18
	s_wait_alu 0xfffd
	v_add_co_ci_u32_e64 v19, null, s3, v19, vcc_lo
	global_load_b64 v[42:43], v[42:43], off
	global_load_b64 v[18:19], v[18:19], off
	s_wait_loadcnt 0x10
	v_add_f64_e64 v[10:11], v[14:15], -v[10:11]
	v_lshlrev_b64_e32 v[14:15], 3, v[0:1]
	v_add_nc_u32_e32 v0, s10, v0
	v_add_f64_e64 v[4:5], v[4:5], -v[40:41]
	s_delay_alu instid0(VALU_DEP_3) | instskip(SKIP_1) | instid1(VALU_DEP_4)
	v_add_co_u32 v40, vcc_lo, s0, v14
	s_wait_alu 0xfffd
	v_add_co_ci_u32_e64 v41, null, s1, v15, vcc_lo
	v_add_co_u32 v14, vcc_lo, s2, v14
	s_wait_alu 0xfffd
	v_add_co_ci_u32_e64 v15, null, s3, v15, vcc_lo
	global_load_b64 v[40:41], v[40:41], off
	global_load_b64 v[14:15], v[14:15], off
	s_wait_loadcnt 0x10
	v_add_f64_e64 v[8:9], v[28:29], -v[8:9]
	v_add_f64_e64 v[4:5], v[4:5], -v[10:11]
	v_lshlrev_b64_e32 v[10:11], 3, v[0:1]
	v_add_nc_u32_e32 v0, s15, v0
	s_delay_alu instid0(VALU_DEP_2) | instskip(SKIP_1) | instid1(VALU_DEP_3)
	v_add_co_u32 v28, vcc_lo, s0, v10
	s_wait_alu 0xfffd
	v_add_co_ci_u32_e64 v29, null, s1, v11, vcc_lo
	v_add_co_u32 v10, vcc_lo, s2, v10
	s_wait_alu 0xfffd
	v_add_co_ci_u32_e64 v11, null, s3, v11, vcc_lo
	global_load_b64 v[28:29], v[28:29], off
	global_load_b64 v[10:11], v[10:11], off
	s_wait_loadcnt 0x10
	v_add_f64_e64 v[12:13], v[22:23], -v[12:13]
	v_add_f64_e64 v[4:5], v[4:5], -v[8:9]
	v_lshlrev_b64_e32 v[8:9], 3, v[0:1]
	v_add_nc_u32_e32 v0, s15, v0
	s_delay_alu instid0(VALU_DEP_2) | instskip(SKIP_1) | instid1(VALU_DEP_3)
	;; [unrolled: 14-line block ×4, first 2 shown]
	v_add_co_u32 v34, vcc_lo, s0, v16
	s_wait_alu 0xfffd
	v_add_co_ci_u32_e64 v35, null, s1, v17, vcc_lo
	v_add_co_u32 v16, vcc_lo, s2, v16
	s_wait_alu 0xfffd
	v_add_co_ci_u32_e64 v17, null, s3, v17, vcc_lo
	global_load_b64 v[34:35], v[34:35], off
	global_load_b64 v[16:17], v[16:17], off
	s_wait_loadcnt 0x10
	v_add_f64_e64 v[6:7], v[20:21], -v[6:7]
	v_lshlrev_b64_e32 v[20:21], 3, v[0:1]
	v_add_nc_u32_e32 v0, s10, v0
	v_add_f64_e32 v[4:5], v[4:5], v[32:33]
	s_delay_alu instid0(VALU_DEP_3) | instskip(SKIP_1) | instid1(VALU_DEP_4)
	v_add_co_u32 v32, vcc_lo, s0, v20
	s_wait_alu 0xfffd
	v_add_co_ci_u32_e64 v33, null, s1, v21, vcc_lo
	v_add_co_u32 v20, vcc_lo, s2, v20
	s_wait_alu 0xfffd
	v_add_co_ci_u32_e64 v21, null, s3, v21, vcc_lo
	global_load_b64 v[32:33], v[32:33], off
	global_load_b64 v[20:21], v[20:21], off
	s_wait_loadcnt 0x10
	v_add_f64_e64 v[24:25], v[36:37], -v[24:25]
	v_add_f64_e32 v[4:5], v[4:5], v[6:7]
	v_lshlrev_b64_e32 v[6:7], 3, v[0:1]
	v_add_nc_u32_e32 v0, s15, v0
	s_delay_alu instid0(VALU_DEP_2) | instskip(SKIP_1) | instid1(VALU_DEP_3)
	v_add_co_u32 v36, vcc_lo, s0, v6
	s_wait_alu 0xfffd
	v_add_co_ci_u32_e64 v37, null, s1, v7, vcc_lo
	v_add_co_u32 v6, vcc_lo, s2, v6
	s_wait_alu 0xfffd
	v_add_co_ci_u32_e64 v7, null, s3, v7, vcc_lo
	global_load_b64 v[36:37], v[36:37], off
	global_load_b64 v[6:7], v[6:7], off
	s_wait_loadcnt 0x10
	v_add_f64_e64 v[26:27], v[38:39], -v[26:27]
	v_add_f64_e32 v[4:5], v[4:5], v[24:25]
	v_lshlrev_b64_e32 v[24:25], 3, v[0:1]
	v_add_nc_u32_e32 v0, s10, v0
	s_delay_alu instid0(VALU_DEP_2) | instskip(SKIP_1) | instid1(VALU_DEP_3)
	v_add_co_u32 v38, vcc_lo, s0, v24
	s_wait_alu 0xfffd
	v_add_co_ci_u32_e64 v39, null, s1, v25, vcc_lo
	v_add_co_u32 v24, vcc_lo, s2, v24
	s_wait_alu 0xfffd
	v_add_co_ci_u32_e64 v25, null, s3, v25, vcc_lo
	global_load_b64 v[38:39], v[38:39], off
	global_load_b64 v[24:25], v[24:25], off
	s_wait_loadcnt 0x10
	v_add_f64_e64 v[18:19], v[42:43], -v[18:19]
	v_add_f64_e32 v[4:5], v[4:5], v[26:27]
	s_wait_loadcnt 0xe
	v_add_f64_e64 v[14:15], v[40:41], -v[14:15]
	s_delay_alu instid0(VALU_DEP_2) | instskip(SKIP_2) | instid1(VALU_DEP_2)
	v_add_f64_e32 v[4:5], v[4:5], v[18:19]
	v_lshlrev_b64_e32 v[18:19], 3, v[0:1]
	v_add_nc_u32_e32 v0, s11, v0
	v_add_co_u32 v26, vcc_lo, s0, v18
	s_wait_alu 0xfffd
	s_delay_alu instid0(VALU_DEP_3)
	v_add_co_ci_u32_e64 v27, null, s1, v19, vcc_lo
	v_add_co_u32 v18, vcc_lo, s2, v18
	s_wait_alu 0xfffd
	v_add_co_ci_u32_e64 v19, null, s3, v19, vcc_lo
	global_load_b64 v[26:27], v[26:27], off
	global_load_b64 v[18:19], v[18:19], off
	s_wait_loadcnt 0xe
	v_add_f64_e64 v[10:11], v[28:29], -v[10:11]
	v_add_f64_e64 v[4:5], v[4:5], -v[14:15]
	v_lshlrev_b64_e32 v[14:15], 3, v[0:1]
	v_add_nc_u32_e32 v0, s16, v0
	s_delay_alu instid0(VALU_DEP_2) | instskip(SKIP_1) | instid1(VALU_DEP_3)
	v_add_co_u32 v28, vcc_lo, s0, v14
	s_wait_alu 0xfffd
	v_add_co_ci_u32_e64 v29, null, s1, v15, vcc_lo
	v_add_co_u32 v14, vcc_lo, s2, v14
	s_wait_alu 0xfffd
	v_add_co_ci_u32_e64 v15, null, s3, v15, vcc_lo
	global_load_b64 v[28:29], v[28:29], off
	global_load_b64 v[14:15], v[14:15], off
	s_wait_loadcnt 0xe
	v_add_f64_e64 v[8:9], v[22:23], -v[8:9]
	v_add_f64_e64 v[4:5], v[4:5], -v[10:11]
	v_lshlrev_b64_e32 v[10:11], 3, v[0:1]
	v_add_nc_u32_e32 v0, s15, v0
	s_delay_alu instid0(VALU_DEP_2) | instskip(SKIP_1) | instid1(VALU_DEP_3)
	v_add_co_u32 v22, vcc_lo, s0, v10
	s_wait_alu 0xfffd
	v_add_co_ci_u32_e64 v23, null, s1, v11, vcc_lo
	v_add_co_u32 v10, vcc_lo, s2, v10
	s_wait_alu 0xfffd
	v_add_co_ci_u32_e64 v11, null, s3, v11, vcc_lo
	global_load_b64 v[22:23], v[22:23], off
	global_load_b64 v[10:11], v[10:11], off
	s_wait_loadcnt 0xe
	v_add_f64_e64 v[12:13], v[30:31], -v[12:13]
	v_add_f64_e32 v[4:5], v[4:5], v[8:9]
	v_lshlrev_b64_e32 v[8:9], 3, v[0:1]
	v_add_nc_u32_e32 v0, s10, v0
	s_delay_alu instid0(VALU_DEP_2) | instskip(SKIP_1) | instid1(VALU_DEP_3)
	v_add_co_u32 v30, vcc_lo, s0, v8
	s_wait_alu 0xfffd
	v_add_co_ci_u32_e64 v31, null, s1, v9, vcc_lo
	v_add_co_u32 v8, vcc_lo, s2, v8
	s_wait_alu 0xfffd
	v_add_co_ci_u32_e64 v9, null, s3, v9, vcc_lo
	global_load_b64 v[30:31], v[30:31], off
	global_load_b64 v[8:9], v[8:9], off
	s_wait_loadcnt 0xe
	v_add_f64_e64 v[16:17], v[34:35], -v[16:17]
	v_add_f64_e32 v[4:5], v[4:5], v[12:13]
	v_lshlrev_b64_e32 v[12:13], 3, v[0:1]
	v_add_nc_u32_e32 v0, s10, v0
	s_delay_alu instid0(VALU_DEP_2) | instskip(SKIP_1) | instid1(VALU_DEP_3)
	v_add_co_u32 v34, vcc_lo, s0, v12
	s_wait_alu 0xfffd
	v_add_co_ci_u32_e64 v35, null, s1, v13, vcc_lo
	v_add_co_u32 v12, vcc_lo, s2, v12
	s_wait_alu 0xfffd
	v_add_co_ci_u32_e64 v13, null, s3, v13, vcc_lo
	global_load_b64 v[34:35], v[34:35], off
	global_load_b64 v[12:13], v[12:13], off
	s_wait_loadcnt 0xe
	v_add_f64_e64 v[20:21], v[32:33], -v[20:21]
	v_add_f64_e64 v[4:5], v[4:5], -v[16:17]
	v_lshlrev_b64_e32 v[16:17], 3, v[0:1]
	v_add_nc_u32_e32 v0, s10, v0
	s_delay_alu instid0(VALU_DEP_2) | instskip(SKIP_1) | instid1(VALU_DEP_3)
	v_add_co_u32 v32, vcc_lo, s0, v16
	s_wait_alu 0xfffd
	v_add_co_ci_u32_e64 v33, null, s1, v17, vcc_lo
	v_add_co_u32 v16, vcc_lo, s2, v16
	s_wait_alu 0xfffd
	v_add_co_ci_u32_e64 v17, null, s3, v17, vcc_lo
	global_load_b64 v[32:33], v[32:33], off
	global_load_b64 v[16:17], v[16:17], off
	s_wait_loadcnt 0xe
	v_add_f64_e64 v[6:7], v[36:37], -v[6:7]
	v_add_f64_e32 v[4:5], v[4:5], v[20:21]
	v_lshlrev_b64_e32 v[20:21], 3, v[0:1]
	v_add_nc_u32_e32 v0, s12, v0
	s_delay_alu instid0(VALU_DEP_2) | instskip(SKIP_1) | instid1(VALU_DEP_3)
	v_add_co_u32 v36, vcc_lo, s0, v20
	s_wait_alu 0xfffd
	v_add_co_ci_u32_e64 v37, null, s1, v21, vcc_lo
	v_add_co_u32 v20, vcc_lo, s2, v20
	s_wait_alu 0xfffd
	v_add_co_ci_u32_e64 v21, null, s3, v21, vcc_lo
	global_load_b64 v[36:37], v[36:37], off
	global_load_b64 v[20:21], v[20:21], off
	s_wait_loadcnt 0xe
	v_add_f64_e64 v[24:25], v[38:39], -v[24:25]
	v_add_f64_e32 v[4:5], v[4:5], v[6:7]
	v_lshlrev_b64_e32 v[6:7], 3, v[0:1]
	v_add_nc_u32_e32 v0, s10, v0
	s_delay_alu instid0(VALU_DEP_2) | instskip(SKIP_1) | instid1(VALU_DEP_3)
	v_add_co_u32 v38, vcc_lo, s0, v6
	s_wait_alu 0xfffd
	v_add_co_ci_u32_e64 v39, null, s1, v7, vcc_lo
	v_add_co_u32 v6, vcc_lo, s2, v6
	s_wait_alu 0xfffd
	v_add_co_ci_u32_e64 v7, null, s3, v7, vcc_lo
	global_load_b64 v[38:39], v[38:39], off
	global_load_b64 v[6:7], v[6:7], off
	v_lshlrev_b64_e32 v[40:41], 3, v[0:1]
	v_add_nc_u32_e32 v0, s14, v0
	s_delay_alu instid0(VALU_DEP_2) | instskip(SKIP_1) | instid1(VALU_DEP_3)
	v_add_co_u32 v42, vcc_lo, s0, v40
	s_wait_alu 0xfffd
	v_add_co_ci_u32_e64 v43, null, s1, v41, vcc_lo
	v_add_co_u32 v40, vcc_lo, s2, v40
	s_wait_alu 0xfffd
	v_add_co_ci_u32_e64 v41, null, s3, v41, vcc_lo
	global_load_b64 v[42:43], v[42:43], off
	global_load_b64 v[40:41], v[40:41], off
	v_add_f64_e32 v[4:5], v[4:5], v[24:25]
	s_wait_loadcnt 0x10
	v_add_f64_e64 v[18:19], v[26:27], -v[18:19]
	s_delay_alu instid0(VALU_DEP_2) | instskip(SKIP_2) | instid1(VALU_DEP_2)
	v_add_f64_e32 v[4:5], v[24:25], v[4:5]
	v_lshlrev_b64_e32 v[24:25], 3, v[0:1]
	v_add_nc_u32_e32 v0, s10, v0
	v_add_co_u32 v26, vcc_lo, s0, v24
	s_wait_alu 0xfffd
	s_delay_alu instid0(VALU_DEP_3)
	v_add_co_ci_u32_e64 v27, null, s1, v25, vcc_lo
	v_add_co_u32 v24, vcc_lo, s2, v24
	s_wait_alu 0xfffd
	v_add_co_ci_u32_e64 v25, null, s3, v25, vcc_lo
	global_load_b64 v[26:27], v[26:27], off
	global_load_b64 v[24:25], v[24:25], off
	s_wait_loadcnt 0x10
	v_add_f64_e64 v[14:15], v[28:29], -v[14:15]
	v_add_f64_e32 v[4:5], v[4:5], v[18:19]
	v_lshlrev_b64_e32 v[18:19], 3, v[0:1]
	v_add_nc_u32_e32 v0, s10, v0
	s_delay_alu instid0(VALU_DEP_2) | instskip(SKIP_1) | instid1(VALU_DEP_3)
	v_add_co_u32 v28, vcc_lo, s0, v18
	s_wait_alu 0xfffd
	v_add_co_ci_u32_e64 v29, null, s1, v19, vcc_lo
	v_add_co_u32 v18, vcc_lo, s2, v18
	s_wait_alu 0xfffd
	v_add_co_ci_u32_e64 v19, null, s3, v19, vcc_lo
	global_load_b64 v[28:29], v[28:29], off
	global_load_b64 v[18:19], v[18:19], off
	s_wait_loadcnt 0x10
	v_add_f64_e64 v[10:11], v[22:23], -v[10:11]
	v_add_f64_e32 v[4:5], v[4:5], v[14:15]
	v_lshlrev_b64_e32 v[14:15], 3, v[0:1]
	v_add_nc_u32_e32 v0, s17, v0
	s_delay_alu instid0(VALU_DEP_2) | instskip(SKIP_1) | instid1(VALU_DEP_3)
	v_add_co_u32 v22, vcc_lo, s0, v14
	s_wait_alu 0xfffd
	v_add_co_ci_u32_e64 v23, null, s1, v15, vcc_lo
	v_add_co_u32 v14, vcc_lo, s2, v14
	s_wait_alu 0xfffd
	v_add_co_ci_u32_e64 v15, null, s3, v15, vcc_lo
	global_load_b64 v[22:23], v[22:23], off
	global_load_b64 v[14:15], v[14:15], off
	s_wait_loadcnt 0x10
	v_add_f64_e64 v[8:9], v[30:31], -v[8:9]
	v_add_f64_e64 v[4:5], v[4:5], -v[10:11]
	v_lshlrev_b64_e32 v[10:11], 3, v[0:1]
	v_add_nc_u32_e32 v0, s11, v0
	s_delay_alu instid0(VALU_DEP_2) | instskip(SKIP_1) | instid1(VALU_DEP_3)
	v_add_co_u32 v30, vcc_lo, s0, v10
	s_wait_alu 0xfffd
	v_add_co_ci_u32_e64 v31, null, s1, v11, vcc_lo
	v_add_co_u32 v10, vcc_lo, s2, v10
	s_wait_alu 0xfffd
	v_add_co_ci_u32_e64 v11, null, s3, v11, vcc_lo
	global_load_b64 v[30:31], v[30:31], off
	global_load_b64 v[10:11], v[10:11], off
	s_wait_loadcnt 0x10
	v_add_f64_e64 v[12:13], v[34:35], -v[12:13]
	v_add_f64_e32 v[4:5], v[4:5], v[8:9]
	v_lshlrev_b64_e32 v[8:9], 3, v[0:1]
	v_add_nc_u32_e32 v0, s10, v0
	s_delay_alu instid0(VALU_DEP_2) | instskip(SKIP_1) | instid1(VALU_DEP_3)
	v_add_co_u32 v34, vcc_lo, s0, v8
	s_wait_alu 0xfffd
	v_add_co_ci_u32_e64 v35, null, s1, v9, vcc_lo
	v_add_co_u32 v8, vcc_lo, s2, v8
	s_wait_alu 0xfffd
	v_add_co_ci_u32_e64 v9, null, s3, v9, vcc_lo
	global_load_b64 v[34:35], v[34:35], off
	global_load_b64 v[8:9], v[8:9], off
	s_wait_loadcnt 0x10
	v_add_f64_e64 v[16:17], v[32:33], -v[16:17]
	v_add_f64_e32 v[4:5], v[4:5], v[12:13]
	v_lshlrev_b64_e32 v[12:13], 3, v[0:1]
	v_add_nc_u32_e32 v0, s15, v0
	s_delay_alu instid0(VALU_DEP_2) | instskip(SKIP_1) | instid1(VALU_DEP_3)
	v_add_co_u32 v32, vcc_lo, s0, v12
	s_wait_alu 0xfffd
	v_add_co_ci_u32_e64 v33, null, s1, v13, vcc_lo
	v_add_co_u32 v12, vcc_lo, s2, v12
	s_wait_alu 0xfffd
	v_add_co_ci_u32_e64 v13, null, s3, v13, vcc_lo
	global_load_b64 v[32:33], v[32:33], off
	global_load_b64 v[12:13], v[12:13], off
	s_wait_loadcnt 0x10
	v_add_f64_e64 v[20:21], v[36:37], -v[20:21]
	v_add_f64_e32 v[4:5], v[4:5], v[16:17]
	v_lshlrev_b64_e32 v[16:17], 3, v[0:1]
	v_add_nc_u32_e32 v0, s15, v0
	s_delay_alu instid0(VALU_DEP_2) | instskip(SKIP_1) | instid1(VALU_DEP_3)
	v_add_co_u32 v36, vcc_lo, s0, v16
	s_wait_alu 0xfffd
	v_add_co_ci_u32_e64 v37, null, s1, v17, vcc_lo
	v_add_co_u32 v16, vcc_lo, s2, v16
	s_wait_alu 0xfffd
	v_add_co_ci_u32_e64 v17, null, s3, v17, vcc_lo
	global_load_b64 v[36:37], v[36:37], off
	global_load_b64 v[16:17], v[16:17], off
	s_wait_loadcnt 0x10
	v_add_f64_e64 v[6:7], v[38:39], -v[6:7]
	v_add_f64_e32 v[4:5], v[4:5], v[20:21]
	v_lshlrev_b64_e32 v[20:21], 3, v[0:1]
	v_add_nc_u32_e32 v0, s10, v0
	s_delay_alu instid0(VALU_DEP_2) | instskip(SKIP_1) | instid1(VALU_DEP_3)
	v_add_co_u32 v38, vcc_lo, s0, v20
	s_wait_alu 0xfffd
	v_add_co_ci_u32_e64 v39, null, s1, v21, vcc_lo
	v_add_co_u32 v20, vcc_lo, s2, v20
	s_wait_alu 0xfffd
	v_add_co_ci_u32_e64 v21, null, s3, v21, vcc_lo
	global_load_b64 v[38:39], v[38:39], off
	global_load_b64 v[20:21], v[20:21], off
	s_wait_loadcnt 0x10
	v_add_f64_e64 v[40:41], v[42:43], -v[40:41]
	v_add_f64_e64 v[4:5], v[4:5], -v[6:7]
	v_lshlrev_b64_e32 v[6:7], 3, v[0:1]
	v_add_nc_u32_e32 v0, s10, v0
	s_delay_alu instid0(VALU_DEP_2) | instskip(SKIP_1) | instid1(VALU_DEP_3)
	v_add_co_u32 v42, vcc_lo, s0, v6
	s_wait_alu 0xfffd
	v_add_co_ci_u32_e64 v43, null, s1, v7, vcc_lo
	v_add_co_u32 v6, vcc_lo, s2, v6
	s_wait_alu 0xfffd
	v_add_co_ci_u32_e64 v7, null, s3, v7, vcc_lo
	global_load_b64 v[42:43], v[42:43], off
	global_load_b64 v[6:7], v[6:7], off
	s_wait_loadcnt 0x10
	v_add_f64_e64 v[24:25], v[26:27], -v[24:25]
	v_lshlrev_b64_e32 v[26:27], 3, v[0:1]
	v_add_nc_u32_e32 v0, s11, v0
	v_add_f64_e64 v[4:5], v[4:5], -v[40:41]
	s_delay_alu instid0(VALU_DEP_3) | instskip(SKIP_1) | instid1(VALU_DEP_4)
	v_add_co_u32 v40, vcc_lo, s0, v26
	s_wait_alu 0xfffd
	v_add_co_ci_u32_e64 v41, null, s1, v27, vcc_lo
	v_add_co_u32 v26, vcc_lo, s2, v26
	s_wait_alu 0xfffd
	v_add_co_ci_u32_e64 v27, null, s3, v27, vcc_lo
	global_load_b64 v[40:41], v[40:41], off
	global_load_b64 v[26:27], v[26:27], off
	s_wait_loadcnt 0x10
	v_add_f64_e64 v[18:19], v[28:29], -v[18:19]
	v_add_f64_e32 v[4:5], v[4:5], v[24:25]
	v_lshlrev_b64_e32 v[24:25], 3, v[0:1]
	v_add_nc_u32_e32 v0, s16, v0
	s_delay_alu instid0(VALU_DEP_2) | instskip(SKIP_1) | instid1(VALU_DEP_3)
	v_add_co_u32 v28, vcc_lo, s0, v24
	s_wait_alu 0xfffd
	v_add_co_ci_u32_e64 v29, null, s1, v25, vcc_lo
	v_add_co_u32 v24, vcc_lo, s2, v24
	s_wait_alu 0xfffd
	v_add_co_ci_u32_e64 v25, null, s3, v25, vcc_lo
	global_load_b64 v[28:29], v[28:29], off
	global_load_b64 v[24:25], v[24:25], off
	s_wait_loadcnt 0x10
	v_add_f64_e64 v[14:15], v[22:23], -v[14:15]
	v_add_f64_e64 v[4:5], v[4:5], -v[18:19]
	v_lshlrev_b64_e32 v[18:19], 3, v[0:1]
	v_add_nc_u32_e32 v0, s16, v0
	s_delay_alu instid0(VALU_DEP_2) | instskip(SKIP_1) | instid1(VALU_DEP_3)
	v_add_co_u32 v22, vcc_lo, s0, v18
	s_wait_alu 0xfffd
	v_add_co_ci_u32_e64 v23, null, s1, v19, vcc_lo
	v_add_co_u32 v18, vcc_lo, s2, v18
	s_wait_alu 0xfffd
	v_add_co_ci_u32_e64 v19, null, s3, v19, vcc_lo
	global_load_b64 v[22:23], v[22:23], off
	global_load_b64 v[18:19], v[18:19], off
	s_wait_loadcnt 0x10
	v_add_f64_e64 v[10:11], v[30:31], -v[10:11]
	v_add_f64_e32 v[4:5], v[4:5], v[14:15]
	v_lshlrev_b64_e32 v[14:15], 3, v[0:1]
	v_add_nc_u32_e32 v0, s10, v0
	s_delay_alu instid0(VALU_DEP_2) | instskip(SKIP_1) | instid1(VALU_DEP_3)
	v_add_co_u32 v30, vcc_lo, s0, v14
	s_wait_alu 0xfffd
	v_add_co_ci_u32_e64 v31, null, s1, v15, vcc_lo
	v_add_co_u32 v14, vcc_lo, s2, v14
	s_wait_alu 0xfffd
	v_add_co_ci_u32_e64 v15, null, s3, v15, vcc_lo
	global_load_b64 v[30:31], v[30:31], off
	global_load_b64 v[14:15], v[14:15], off
	s_wait_loadcnt 0x10
	v_add_f64_e64 v[8:9], v[34:35], -v[8:9]
	v_add_f64_e32 v[4:5], v[4:5], v[10:11]
	;; [unrolled: 14-line block ×5, first 2 shown]
	v_lshlrev_b64_e32 v[16:17], 3, v[0:1]
	v_add_nc_u32_e32 v0, s12, v0
	s_delay_alu instid0(VALU_DEP_2) | instskip(SKIP_1) | instid1(VALU_DEP_3)
	v_add_co_u32 v38, vcc_lo, s0, v16
	s_wait_alu 0xfffd
	v_add_co_ci_u32_e64 v39, null, s1, v17, vcc_lo
	v_add_co_u32 v16, vcc_lo, s2, v16
	s_wait_alu 0xfffd
	v_add_co_ci_u32_e64 v17, null, s3, v17, vcc_lo
	global_load_b64 v[38:39], v[38:39], off
	global_load_b64 v[16:17], v[16:17], off
	s_wait_loadcnt 0x10
	v_add_f64_e64 v[6:7], v[42:43], -v[6:7]
	v_add_f64_e64 v[4:5], v[4:5], -v[20:21]
	v_lshlrev_b64_e32 v[20:21], 3, v[0:1]
	v_add_nc_u32_e32 v0, s15, v0
	s_delay_alu instid0(VALU_DEP_2) | instskip(SKIP_1) | instid1(VALU_DEP_3)
	v_add_co_u32 v42, vcc_lo, s0, v20
	s_wait_alu 0xfffd
	v_add_co_ci_u32_e64 v43, null, s1, v21, vcc_lo
	v_add_co_u32 v20, vcc_lo, s2, v20
	s_wait_alu 0xfffd
	v_add_co_ci_u32_e64 v21, null, s3, v21, vcc_lo
	global_load_b64 v[42:43], v[42:43], off
	global_load_b64 v[20:21], v[20:21], off
	s_wait_loadcnt 0x10
	v_add_f64_e64 v[26:27], v[40:41], -v[26:27]
	v_add_f64_e64 v[4:5], v[4:5], -v[6:7]
	;; [unrolled: 14-line block ×3, first 2 shown]
	v_lshlrev_b64_e32 v[26:27], 3, v[0:1]
	v_add_nc_u32_e32 v0, s10, v0
	s_delay_alu instid0(VALU_DEP_2) | instskip(SKIP_1) | instid1(VALU_DEP_3)
	v_add_co_u32 v28, vcc_lo, s0, v26
	s_wait_alu 0xfffd
	v_add_co_ci_u32_e64 v29, null, s1, v27, vcc_lo
	v_add_co_u32 v26, vcc_lo, s2, v26
	s_wait_alu 0xfffd
	v_add_co_ci_u32_e64 v27, null, s3, v27, vcc_lo
	global_load_b64 v[28:29], v[28:29], off
	global_load_b64 v[26:27], v[26:27], off
	s_wait_loadcnt 0x10
	v_add_f64_e64 v[18:19], v[22:23], -v[18:19]
	v_lshlrev_b64_e32 v[22:23], 3, v[0:1]
	v_add_nc_u32_e32 v0, s11, v0
	v_add_f64_e64 v[4:5], v[4:5], -v[24:25]
	s_delay_alu instid0(VALU_DEP_3) | instskip(SKIP_1) | instid1(VALU_DEP_4)
	v_add_co_u32 v24, vcc_lo, s0, v22
	s_wait_alu 0xfffd
	v_add_co_ci_u32_e64 v25, null, s1, v23, vcc_lo
	v_add_co_u32 v22, vcc_lo, s2, v22
	s_wait_alu 0xfffd
	v_add_co_ci_u32_e64 v23, null, s3, v23, vcc_lo
	global_load_b64 v[24:25], v[24:25], off
	global_load_b64 v[22:23], v[22:23], off
	s_wait_loadcnt 0x10
	v_add_f64_e64 v[14:15], v[30:31], -v[14:15]
	v_add_f64_e32 v[4:5], v[4:5], v[18:19]
	v_lshlrev_b64_e32 v[18:19], 3, v[0:1]
	v_add_nc_u32_e32 v0, s10, v0
	s_delay_alu instid0(VALU_DEP_2) | instskip(SKIP_1) | instid1(VALU_DEP_3)
	v_add_co_u32 v30, vcc_lo, s0, v18
	s_wait_alu 0xfffd
	v_add_co_ci_u32_e64 v31, null, s1, v19, vcc_lo
	v_add_co_u32 v18, vcc_lo, s2, v18
	s_wait_alu 0xfffd
	v_add_co_ci_u32_e64 v19, null, s3, v19, vcc_lo
	global_load_b64 v[30:31], v[30:31], off
	global_load_b64 v[18:19], v[18:19], off
	s_wait_loadcnt 0x10
	v_add_f64_e64 v[10:11], v[34:35], -v[10:11]
	v_add_f64_e64 v[4:5], v[4:5], -v[14:15]
	v_lshlrev_b64_e32 v[14:15], 3, v[0:1]
	v_add_nc_u32_e32 v0, s10, v0
	s_delay_alu instid0(VALU_DEP_2) | instskip(SKIP_1) | instid1(VALU_DEP_3)
	v_add_co_u32 v34, vcc_lo, s0, v14
	s_wait_alu 0xfffd
	v_add_co_ci_u32_e64 v35, null, s1, v15, vcc_lo
	v_add_co_u32 v14, vcc_lo, s2, v14
	s_wait_alu 0xfffd
	v_add_co_ci_u32_e64 v15, null, s3, v15, vcc_lo
	global_load_b64 v[34:35], v[34:35], off
	global_load_b64 v[14:15], v[14:15], off
	s_wait_loadcnt 0x10
	v_add_f64_e64 v[8:9], v[32:33], -v[8:9]
	v_add_f64_e32 v[4:5], v[4:5], v[10:11]
	v_lshlrev_b64_e32 v[10:11], 3, v[0:1]
	v_add_nc_u32_e32 v0, s10, v0
	s_delay_alu instid0(VALU_DEP_2) | instskip(SKIP_1) | instid1(VALU_DEP_3)
	v_add_co_u32 v32, vcc_lo, s0, v10
	s_wait_alu 0xfffd
	v_add_co_ci_u32_e64 v33, null, s1, v11, vcc_lo
	v_add_co_u32 v10, vcc_lo, s2, v10
	s_wait_alu 0xfffd
	v_add_co_ci_u32_e64 v11, null, s3, v11, vcc_lo
	global_load_b64 v[32:33], v[32:33], off
	global_load_b64 v[10:11], v[10:11], off
	v_mad_co_u64_u32 v[44:45], null, s10, 11, v[0:1]
	v_mov_b32_e32 v45, v1
	s_wait_loadcnt 0x10
	v_add_f64_e64 v[12:13], v[36:37], -v[12:13]
	v_add_f64_e32 v[4:5], v[4:5], v[8:9]
	v_lshlrev_b64_e32 v[8:9], 3, v[0:1]
	v_add_nc_u32_e32 v0, s15, v44
	s_delay_alu instid0(VALU_DEP_2) | instskip(SKIP_1) | instid1(VALU_DEP_3)
	v_add_co_u32 v36, vcc_lo, s0, v8
	s_wait_alu 0xfffd
	v_add_co_ci_u32_e64 v37, null, s1, v9, vcc_lo
	v_add_co_u32 v8, vcc_lo, s2, v8
	s_wait_alu 0xfffd
	v_add_co_ci_u32_e64 v9, null, s3, v9, vcc_lo
	global_load_b64 v[36:37], v[36:37], off
	global_load_b64 v[8:9], v[8:9], off
	s_wait_loadcnt 0x10
	v_add_f64_e64 v[16:17], v[38:39], -v[16:17]
	v_add_f64_e32 v[4:5], v[4:5], v[12:13]
	v_lshlrev_b64_e32 v[12:13], 3, v[44:45]
	s_delay_alu instid0(VALU_DEP_1) | instskip(SKIP_1) | instid1(VALU_DEP_2)
	v_add_co_u32 v38, vcc_lo, s0, v12
	s_wait_alu 0xfffd
	v_add_co_ci_u32_e64 v39, null, s1, v13, vcc_lo
	v_add_co_u32 v12, vcc_lo, s2, v12
	s_wait_alu 0xfffd
	v_add_co_ci_u32_e64 v13, null, s3, v13, vcc_lo
	global_load_b64 v[38:39], v[38:39], off
	global_load_b64 v[12:13], v[12:13], off
	s_wait_loadcnt 0x10
	v_add_f64_e64 v[20:21], v[42:43], -v[20:21]
	v_add_f64_e32 v[4:5], v[4:5], v[16:17]
	v_lshlrev_b64_e32 v[16:17], 3, v[0:1]
	v_add_nc_u32_e32 v0, s10, v0
	s_delay_alu instid0(VALU_DEP_2) | instskip(SKIP_1) | instid1(VALU_DEP_3)
	v_add_co_u32 v42, vcc_lo, s0, v16
	s_wait_alu 0xfffd
	v_add_co_ci_u32_e64 v43, null, s1, v17, vcc_lo
	v_add_co_u32 v16, vcc_lo, s2, v16
	s_wait_alu 0xfffd
	v_add_co_ci_u32_e64 v17, null, s3, v17, vcc_lo
	global_load_b64 v[42:43], v[42:43], off
	global_load_b64 v[16:17], v[16:17], off
	s_wait_loadcnt 0x10
	v_add_f64_e64 v[6:7], v[40:41], -v[6:7]
	v_add_f64_e32 v[4:5], v[4:5], v[20:21]
	v_lshlrev_b64_e32 v[20:21], 3, v[0:1]
	v_add_nc_u32_e32 v0, s10, v0
	s_delay_alu instid0(VALU_DEP_2) | instskip(SKIP_1) | instid1(VALU_DEP_3)
	v_add_co_u32 v40, vcc_lo, s0, v20
	s_wait_alu 0xfffd
	v_add_co_ci_u32_e64 v41, null, s1, v21, vcc_lo
	v_add_co_u32 v20, vcc_lo, s2, v20
	s_wait_alu 0xfffd
	v_add_co_ci_u32_e64 v21, null, s3, v21, vcc_lo
	global_load_b64 v[40:41], v[40:41], off
	global_load_b64 v[20:21], v[20:21], off
	s_wait_loadcnt 0x10
	v_add_f64_e64 v[26:27], v[28:29], -v[26:27]
	v_add_f64_e64 v[4:5], v[4:5], -v[6:7]
	v_lshlrev_b64_e32 v[6:7], 3, v[0:1]
	v_add_nc_u32_e32 v0, s12, v0
	s_delay_alu instid0(VALU_DEP_2) | instskip(SKIP_1) | instid1(VALU_DEP_3)
	v_add_co_u32 v28, vcc_lo, s0, v6
	s_wait_alu 0xfffd
	v_add_co_ci_u32_e64 v29, null, s1, v7, vcc_lo
	v_add_co_u32 v6, vcc_lo, s2, v6
	s_wait_alu 0xfffd
	v_add_co_ci_u32_e64 v7, null, s3, v7, vcc_lo
	global_load_b64 v[28:29], v[28:29], off
	global_load_b64 v[6:7], v[6:7], off
	s_wait_loadcnt 0x10
	v_add_f64_e64 v[22:23], v[24:25], -v[22:23]
	v_lshlrev_b64_e32 v[24:25], 3, v[0:1]
	v_add_nc_u32_e32 v0, s10, v0
	v_add_f64_e64 v[4:5], v[4:5], -v[26:27]
	s_delay_alu instid0(VALU_DEP_3) | instskip(SKIP_1) | instid1(VALU_DEP_4)
	v_add_co_u32 v26, vcc_lo, s0, v24
	s_wait_alu 0xfffd
	v_add_co_ci_u32_e64 v27, null, s1, v25, vcc_lo
	v_add_co_u32 v24, vcc_lo, s2, v24
	s_wait_alu 0xfffd
	v_add_co_ci_u32_e64 v25, null, s3, v25, vcc_lo
	global_load_b64 v[26:27], v[26:27], off
	global_load_b64 v[24:25], v[24:25], off
	s_wait_loadcnt 0x10
	v_add_f64_e64 v[18:19], v[30:31], -v[18:19]
	v_add_f64_e64 v[4:5], v[4:5], -v[22:23]
	v_lshlrev_b64_e32 v[22:23], 3, v[0:1]
	v_add_nc_u32_e32 v0, s17, v0
	s_delay_alu instid0(VALU_DEP_2) | instskip(SKIP_1) | instid1(VALU_DEP_3)
	v_add_co_u32 v30, vcc_lo, s0, v22
	s_wait_alu 0xfffd
	v_add_co_ci_u32_e64 v31, null, s1, v23, vcc_lo
	v_add_co_u32 v22, vcc_lo, s2, v22
	s_wait_alu 0xfffd
	v_add_co_ci_u32_e64 v23, null, s3, v23, vcc_lo
	global_load_b64 v[30:31], v[30:31], off
	global_load_b64 v[22:23], v[22:23], off
	s_wait_loadcnt 0x10
	v_add_f64_e64 v[14:15], v[34:35], -v[14:15]
	v_add_f64_e64 v[4:5], v[4:5], -v[18:19]
	v_lshlrev_b64_e32 v[18:19], 3, v[0:1]
	v_add_nc_u32_e32 v0, s15, v0
	s_delay_alu instid0(VALU_DEP_2) | instskip(SKIP_1) | instid1(VALU_DEP_3)
	v_add_co_u32 v34, vcc_lo, s0, v18
	s_wait_alu 0xfffd
	v_add_co_ci_u32_e64 v35, null, s1, v19, vcc_lo
	v_add_co_u32 v18, vcc_lo, s2, v18
	s_wait_alu 0xfffd
	v_add_co_ci_u32_e64 v19, null, s3, v19, vcc_lo
	global_load_b64 v[34:35], v[34:35], off
	global_load_b64 v[18:19], v[18:19], off
	s_wait_loadcnt 0x10
	v_add_f64_e64 v[10:11], v[32:33], -v[10:11]
	v_add_f64_e64 v[4:5], v[4:5], -v[14:15]
	v_lshlrev_b64_e32 v[14:15], 3, v[0:1]
	v_add_nc_u32_e32 v0, s16, v0
	s_delay_alu instid0(VALU_DEP_2) | instskip(SKIP_1) | instid1(VALU_DEP_3)
	v_add_co_u32 v32, vcc_lo, s0, v14
	s_wait_alu 0xfffd
	v_add_co_ci_u32_e64 v33, null, s1, v15, vcc_lo
	v_add_co_u32 v14, vcc_lo, s2, v14
	s_wait_alu 0xfffd
	v_add_co_ci_u32_e64 v15, null, s3, v15, vcc_lo
	global_load_b64 v[32:33], v[32:33], off
	global_load_b64 v[14:15], v[14:15], off
	s_wait_loadcnt 0x10
	v_add_f64_e64 v[8:9], v[36:37], -v[8:9]
	v_add_f64_e64 v[4:5], v[4:5], -v[10:11]
	v_lshlrev_b64_e32 v[10:11], 3, v[0:1]
	v_add_nc_u32_e32 v0, s10, v0
	s_delay_alu instid0(VALU_DEP_2) | instskip(SKIP_1) | instid1(VALU_DEP_3)
	v_add_co_u32 v36, vcc_lo, s0, v10
	s_wait_alu 0xfffd
	v_add_co_ci_u32_e64 v37, null, s1, v11, vcc_lo
	v_add_co_u32 v10, vcc_lo, s2, v10
	s_wait_alu 0xfffd
	v_add_co_ci_u32_e64 v11, null, s3, v11, vcc_lo
	global_load_b64 v[36:37], v[36:37], off
	global_load_b64 v[10:11], v[10:11], off
	s_wait_loadcnt 0x10
	v_add_f64_e64 v[12:13], v[38:39], -v[12:13]
	v_add_f64_e32 v[4:5], v[4:5], v[8:9]
	v_lshlrev_b64_e32 v[8:9], 3, v[0:1]
	v_add_nc_u32_e32 v0, s15, v0
	s_delay_alu instid0(VALU_DEP_2) | instskip(SKIP_1) | instid1(VALU_DEP_3)
	v_add_co_u32 v38, vcc_lo, s0, v8
	s_wait_alu 0xfffd
	v_add_co_ci_u32_e64 v39, null, s1, v9, vcc_lo
	v_add_co_u32 v8, vcc_lo, s2, v8
	s_wait_alu 0xfffd
	v_add_co_ci_u32_e64 v9, null, s3, v9, vcc_lo
	global_load_b64 v[38:39], v[38:39], off
	global_load_b64 v[8:9], v[8:9], off
	s_wait_loadcnt 0x10
	v_add_f64_e64 v[16:17], v[42:43], -v[16:17]
	v_add_f64_e32 v[4:5], v[4:5], v[12:13]
	v_lshlrev_b64_e32 v[12:13], 3, v[0:1]
	v_add_nc_u32_e32 v0, s13, v0
	s_delay_alu instid0(VALU_DEP_2) | instskip(SKIP_1) | instid1(VALU_DEP_3)
	v_add_co_u32 v42, vcc_lo, s0, v12
	s_wait_alu 0xfffd
	v_add_co_ci_u32_e64 v43, null, s1, v13, vcc_lo
	v_add_co_u32 v12, vcc_lo, s2, v12
	s_wait_alu 0xfffd
	v_add_co_ci_u32_e64 v13, null, s3, v13, vcc_lo
	global_load_b64 v[42:43], v[42:43], off
	global_load_b64 v[12:13], v[12:13], off
	s_wait_loadcnt 0x10
	v_add_f64_e64 v[20:21], v[40:41], -v[20:21]
	v_add_f64_e64 v[4:5], v[4:5], -v[16:17]
	v_lshlrev_b64_e32 v[16:17], 3, v[0:1]
	v_add_nc_u32_e32 v0, s14, v0
	s_delay_alu instid0(VALU_DEP_2) | instskip(SKIP_1) | instid1(VALU_DEP_3)
	v_add_co_u32 v40, vcc_lo, s0, v16
	s_wait_alu 0xfffd
	v_add_co_ci_u32_e64 v41, null, s1, v17, vcc_lo
	v_add_co_u32 v16, vcc_lo, s2, v16
	s_wait_alu 0xfffd
	v_add_co_ci_u32_e64 v17, null, s3, v17, vcc_lo
	global_load_b64 v[40:41], v[40:41], off
	global_load_b64 v[16:17], v[16:17], off
	s_wait_loadcnt 0x10
	v_add_f64_e64 v[6:7], v[28:29], -v[6:7]
	v_add_f64_e64 v[4:5], v[4:5], -v[20:21]
	;; [unrolled: 14-line block ×5, first 2 shown]
	v_lshlrev_b64_e32 v[22:23], 3, v[0:1]
	v_add_nc_u32_e32 v0, s10, v0
	s_delay_alu instid0(VALU_DEP_2) | instskip(SKIP_1) | instid1(VALU_DEP_3)
	v_add_co_u32 v34, vcc_lo, s0, v22
	s_wait_alu 0xfffd
	v_add_co_ci_u32_e64 v35, null, s1, v23, vcc_lo
	v_add_co_u32 v22, vcc_lo, s2, v22
	s_wait_alu 0xfffd
	v_add_co_ci_u32_e64 v23, null, s3, v23, vcc_lo
	global_load_b64 v[34:35], v[34:35], off
	global_load_b64 v[22:23], v[22:23], off
	s_wait_loadcnt 0x10
	v_add_f64_e64 v[14:15], v[32:33], -v[14:15]
	v_add_f64_e32 v[4:5], v[4:5], v[18:19]
	v_lshlrev_b64_e32 v[18:19], 3, v[0:1]
	v_add_nc_u32_e32 v0, s10, v0
	s_delay_alu instid0(VALU_DEP_2) | instskip(SKIP_1) | instid1(VALU_DEP_3)
	v_add_co_u32 v32, vcc_lo, s0, v18
	s_wait_alu 0xfffd
	v_add_co_ci_u32_e64 v33, null, s1, v19, vcc_lo
	v_add_co_u32 v18, vcc_lo, s2, v18
	s_wait_alu 0xfffd
	v_add_co_ci_u32_e64 v19, null, s3, v19, vcc_lo
	global_load_b64 v[32:33], v[32:33], off
	global_load_b64 v[18:19], v[18:19], off
	s_wait_loadcnt 0x10
	v_add_f64_e64 v[10:11], v[36:37], -v[10:11]
	v_add_f64_e32 v[4:5], v[4:5], v[14:15]
	v_lshlrev_b64_e32 v[14:15], 3, v[0:1]
	v_add_nc_u32_e32 v0, s12, v0
	s_delay_alu instid0(VALU_DEP_2) | instskip(SKIP_1) | instid1(VALU_DEP_3)
	v_add_co_u32 v36, vcc_lo, s0, v14
	s_wait_alu 0xfffd
	v_add_co_ci_u32_e64 v37, null, s1, v15, vcc_lo
	v_add_co_u32 v14, vcc_lo, s2, v14
	s_wait_alu 0xfffd
	v_add_co_ci_u32_e64 v15, null, s3, v15, vcc_lo
	global_load_b64 v[36:37], v[36:37], off
	global_load_b64 v[14:15], v[14:15], off
	s_wait_loadcnt 0x10
	v_add_f64_e64 v[8:9], v[38:39], -v[8:9]
	v_add_f64_e64 v[4:5], v[4:5], -v[10:11]
	v_lshlrev_b64_e32 v[10:11], 3, v[0:1]
	v_add_nc_u32_e32 v0, s10, v0
	s_delay_alu instid0(VALU_DEP_2) | instskip(SKIP_1) | instid1(VALU_DEP_3)
	v_add_co_u32 v38, vcc_lo, s0, v10
	s_wait_alu 0xfffd
	v_add_co_ci_u32_e64 v39, null, s1, v11, vcc_lo
	v_add_co_u32 v10, vcc_lo, s2, v10
	s_wait_alu 0xfffd
	v_add_co_ci_u32_e64 v11, null, s3, v11, vcc_lo
	global_load_b64 v[38:39], v[38:39], off
	global_load_b64 v[10:11], v[10:11], off
	v_lshlrev_b64_e32 v[0:1], 3, v[0:1]
	s_wait_loadcnt 0x10
	v_add_f64_e64 v[12:13], v[42:43], -v[12:13]
	v_add_f64_e64 v[4:5], v[4:5], -v[8:9]
	s_delay_alu instid0(VALU_DEP_3)
	v_add_co_u32 v8, vcc_lo, s0, v0
	s_wait_alu 0xfffd
	v_add_co_ci_u32_e64 v9, null, s1, v1, vcc_lo
	v_add_co_u32 v0, vcc_lo, s2, v0
	s_wait_alu 0xfffd
	v_add_co_ci_u32_e64 v1, null, s3, v1, vcc_lo
	global_load_b64 v[8:9], v[8:9], off
	global_load_b64 v[0:1], v[0:1], off
	s_load_b64 s[0:1], s[8:9], 0x8
	v_add_co_u32 v2, vcc_lo, s4, v2
	s_wait_alu 0xfffd
	v_add_co_ci_u32_e64 v3, null, s5, v3, vcc_lo
	s_wait_loadcnt 0x10
	v_add_f64_e64 v[16:17], v[40:41], -v[16:17]
	v_add_f64_e32 v[4:5], v[4:5], v[12:13]
	s_wait_loadcnt 0xe
	v_add_f64_e64 v[12:13], v[28:29], -v[20:21]
	s_delay_alu instid0(VALU_DEP_2) | instskip(SKIP_2) | instid1(VALU_DEP_2)
	v_add_f64_e64 v[4:5], v[4:5], -v[16:17]
	s_wait_loadcnt 0xc
	v_add_f64_e64 v[6:7], v[26:27], -v[6:7]
	v_add_f64_e64 v[4:5], v[4:5], -v[12:13]
	s_wait_loadcnt 0xa
	v_add_f64_e64 v[12:13], v[30:31], -v[24:25]
	s_delay_alu instid0(VALU_DEP_2) | instskip(SKIP_2) | instid1(VALU_DEP_2)
	v_add_f64_e64 v[4:5], v[4:5], -v[6:7]
	s_wait_loadcnt 0x8
	v_add_f64_e64 v[6:7], v[34:35], -v[22:23]
	v_add_f64_e64 v[4:5], v[4:5], -v[12:13]
	s_wait_loadcnt 0x6
	v_add_f64_e64 v[12:13], v[32:33], -v[18:19]
	s_delay_alu instid0(VALU_DEP_2) | instskip(SKIP_2) | instid1(VALU_DEP_2)
	v_add_f64_e64 v[4:5], v[4:5], -v[6:7]
	s_wait_loadcnt 0x4
	v_add_f64_e64 v[6:7], v[36:37], -v[14:15]
	v_add_f64_e64 v[4:5], v[4:5], -v[12:13]
	s_wait_loadcnt 0x2
	v_add_f64_e64 v[10:11], v[38:39], -v[10:11]
	s_delay_alu instid0(VALU_DEP_2) | instskip(SKIP_2) | instid1(VALU_DEP_2)
	v_add_f64_e32 v[4:5], v[4:5], v[6:7]
	s_wait_loadcnt 0x0
	v_add_f64_e64 v[0:1], v[8:9], -v[0:1]
	v_add_f64_e64 v[4:5], v[4:5], -v[10:11]
	s_delay_alu instid0(VALU_DEP_1) | instskip(NEXT) | instid1(VALU_DEP_1)
	v_add_f64_e64 v[0:1], v[4:5], -v[0:1]
	v_mul_f64_e32 v[0:1], s[6:7], v[0:1]
	s_wait_kmcnt 0x0
	s_delay_alu instid0(VALU_DEP_1)
	v_mul_f64_e32 v[0:1], s[0:1], v[0:1]
	global_store_b64 v[2:3], v[0:1], off
	s_endpgm
	.section	.rodata,"a",@progbits
	.p2align	6, 0x0
	.amdhsa_kernel _Z13rdwdot_kernelIdEvPKT_S2_PS0_S0_S2_
		.amdhsa_group_segment_fixed_size 0
		.amdhsa_private_segment_fixed_size 0
		.amdhsa_kernarg_size 296
		.amdhsa_user_sgpr_count 2
		.amdhsa_user_sgpr_dispatch_ptr 0
		.amdhsa_user_sgpr_queue_ptr 0
		.amdhsa_user_sgpr_kernarg_segment_ptr 1
		.amdhsa_user_sgpr_dispatch_id 0
		.amdhsa_user_sgpr_private_segment_size 0
		.amdhsa_wavefront_size32 1
		.amdhsa_uses_dynamic_stack 0
		.amdhsa_enable_private_segment 0
		.amdhsa_system_sgpr_workgroup_id_x 1
		.amdhsa_system_sgpr_workgroup_id_y 0
		.amdhsa_system_sgpr_workgroup_id_z 0
		.amdhsa_system_sgpr_workgroup_info 0
		.amdhsa_system_vgpr_workitem_id 0
		.amdhsa_next_free_vgpr 60
		.amdhsa_next_free_sgpr 18
		.amdhsa_reserve_vcc 1
		.amdhsa_float_round_mode_32 0
		.amdhsa_float_round_mode_16_64 0
		.amdhsa_float_denorm_mode_32 3
		.amdhsa_float_denorm_mode_16_64 3
		.amdhsa_fp16_overflow 0
		.amdhsa_workgroup_processor_mode 1
		.amdhsa_memory_ordered 1
		.amdhsa_forward_progress 1
		.amdhsa_inst_pref_size 64
		.amdhsa_round_robin_scheduling 0
		.amdhsa_exception_fp_ieee_invalid_op 0
		.amdhsa_exception_fp_denorm_src 0
		.amdhsa_exception_fp_ieee_div_zero 0
		.amdhsa_exception_fp_ieee_overflow 0
		.amdhsa_exception_fp_ieee_underflow 0
		.amdhsa_exception_fp_ieee_inexact 0
		.amdhsa_exception_int_div_zero 0
	.end_amdhsa_kernel
	.section	.text._Z13rdwdot_kernelIdEvPKT_S2_PS0_S0_S2_,"axG",@progbits,_Z13rdwdot_kernelIdEvPKT_S2_PS0_S0_S2_,comdat
.Lfunc_end46:
	.size	_Z13rdwdot_kernelIdEvPKT_S2_PS0_S0_S2_, .Lfunc_end46-_Z13rdwdot_kernelIdEvPKT_S2_PS0_S0_S2_
                                        ; -- End function
	.set _Z13rdwdot_kernelIdEvPKT_S2_PS0_S0_S2_.num_vgpr, 60
	.set _Z13rdwdot_kernelIdEvPKT_S2_PS0_S0_S2_.num_agpr, 0
	.set _Z13rdwdot_kernelIdEvPKT_S2_PS0_S0_S2_.numbered_sgpr, 18
	.set _Z13rdwdot_kernelIdEvPKT_S2_PS0_S0_S2_.num_named_barrier, 0
	.set _Z13rdwdot_kernelIdEvPKT_S2_PS0_S0_S2_.private_seg_size, 0
	.set _Z13rdwdot_kernelIdEvPKT_S2_PS0_S0_S2_.uses_vcc, 1
	.set _Z13rdwdot_kernelIdEvPKT_S2_PS0_S0_S2_.uses_flat_scratch, 0
	.set _Z13rdwdot_kernelIdEvPKT_S2_PS0_S0_S2_.has_dyn_sized_stack, 0
	.set _Z13rdwdot_kernelIdEvPKT_S2_PS0_S0_S2_.has_recursion, 0
	.set _Z13rdwdot_kernelIdEvPKT_S2_PS0_S0_S2_.has_indirect_call, 0
	.section	.AMDGPU.csdata,"",@progbits
; Kernel info:
; codeLenInByte = 8160
; TotalNumSgprs: 20
; NumVgprs: 60
; ScratchSize: 0
; MemoryBound: 0
; FloatMode: 240
; IeeeMode: 1
; LDSByteSize: 0 bytes/workgroup (compile time only)
; SGPRBlocks: 0
; VGPRBlocks: 7
; NumSGPRsForWavesPerEU: 20
; NumVGPRsForWavesPerEU: 60
; Occupancy: 16
; WaveLimiterHint : 0
; COMPUTE_PGM_RSRC2:SCRATCH_EN: 0
; COMPUTE_PGM_RSRC2:USER_SGPR: 2
; COMPUTE_PGM_RSRC2:TRAP_HANDLER: 0
; COMPUTE_PGM_RSRC2:TGID_X_EN: 1
; COMPUTE_PGM_RSRC2:TGID_Y_EN: 0
; COMPUTE_PGM_RSRC2:TGID_Z_EN: 0
; COMPUTE_PGM_RSRC2:TIDIG_COMP_CNT: 0
	.section	.text._Z14rdwdot2_kernelIdEvPKT_S2_PS0_S0_S2_,"axG",@progbits,_Z14rdwdot2_kernelIdEvPKT_S2_PS0_S0_S2_,comdat
	.protected	_Z14rdwdot2_kernelIdEvPKT_S2_PS0_S0_S2_ ; -- Begin function _Z14rdwdot2_kernelIdEvPKT_S2_PS0_S0_S2_
	.globl	_Z14rdwdot2_kernelIdEvPKT_S2_PS0_S0_S2_
	.p2align	8
	.type	_Z14rdwdot2_kernelIdEvPKT_S2_PS0_S0_S2_,@function
_Z14rdwdot2_kernelIdEvPKT_S2_PS0_S0_S2_: ; @_Z14rdwdot2_kernelIdEvPKT_S2_PS0_S0_S2_
; %bb.0:
	s_clause 0x1
	s_load_b32 s2, s[0:1], 0x34
	s_load_b96 s[8:10], s[0:1], 0x20
	s_wait_kmcnt 0x0
	s_and_b32 s2, s2, 0xffff
	s_delay_alu instid0(SALU_CYCLE_1)
	s_mul_i32 s10, s10, s2
	s_mul_i32 s2, ttmp9, s2
	s_mul_i32 s3, s10, 0x78
	s_lshl_b32 s11, s10, 1
	v_mov_b32_e32 v1, 0
	v_add3_u32 v0, s3, s2, v0
	s_mul_i32 s2, s10, 3
	s_delay_alu instid0(VALU_DEP_1) | instskip(SKIP_1) | instid1(VALU_DEP_1)
	v_mad_co_u64_u32 v[2:3], null, s10, 25, v[0:1]
	v_mov_b32_e32 v3, v1
	v_mad_co_u64_u32 v[4:5], null, s10, 19, v[2:3]
	v_lshlrev_b64_e32 v[5:6], 3, v[0:1]
	s_delay_alu instid0(VALU_DEP_2) | instskip(NEXT) | instid1(VALU_DEP_1)
	v_add_nc_u32_e32 v0, s11, v4
	v_mad_co_u64_u32 v[7:8], null, s10, 18, v[0:1]
	v_lshlrev_b64_e32 v[9:10], 3, v[0:1]
	v_mov_b32_e32 v8, v1
	s_delay_alu instid0(VALU_DEP_3) | instskip(NEXT) | instid1(VALU_DEP_2)
	v_add_nc_u32_e32 v0, s10, v7
	v_lshlrev_b64_e32 v[7:8], 3, v[7:8]
	v_lshlrev_b64_e32 v[2:3], 3, v[2:3]
	s_delay_alu instid0(VALU_DEP_3) | instskip(SKIP_1) | instid1(VALU_DEP_1)
	v_lshlrev_b64_e32 v[11:12], 3, v[0:1]
	v_add_nc_u32_e32 v0, s10, v0
	v_lshlrev_b64_e32 v[13:14], 3, v[0:1]
	v_add_nc_u32_e32 v0, s10, v0
	s_delay_alu instid0(VALU_DEP_1) | instskip(SKIP_1) | instid1(VALU_DEP_1)
	v_lshlrev_b64_e32 v[15:16], 3, v[0:1]
	v_add_nc_u32_e32 v0, s10, v0
	v_lshlrev_b64_e32 v[17:18], 3, v[0:1]
	s_wait_alu 0xfffe
	v_add_nc_u32_e32 v0, s2, v0
	s_delay_alu instid0(VALU_DEP_1) | instskip(SKIP_2) | instid1(VALU_DEP_1)
	v_lshlrev_b64_e32 v[19:20], 3, v[0:1]
	v_add_nc_u32_e32 v0, s2, v0
	s_load_b256 s[0:7], s[0:1], 0x0
	v_lshlrev_b64_e32 v[21:22], 3, v[0:1]
	v_add_nc_u32_e32 v0, s10, v0
	s_delay_alu instid0(VALU_DEP_1) | instskip(SKIP_1) | instid1(VALU_DEP_1)
	v_lshlrev_b64_e32 v[23:24], 3, v[0:1]
	v_add_nc_u32_e32 v0, s10, v0
	v_lshlrev_b64_e32 v[25:26], 3, v[0:1]
	v_add_nc_u32_e32 v0, s10, v0
	s_wait_kmcnt 0x0
	v_add_co_u32 v33, vcc_lo, s0, v7
	s_delay_alu instid0(VALU_DEP_2) | instskip(SKIP_3) | instid1(VALU_DEP_3)
	v_lshlrev_b64_e32 v[27:28], 3, v[0:1]
	v_lshl_add_u32 v0, s10, 3, v0
	v_add_co_ci_u32_e64 v34, null, s1, v8, vcc_lo
	v_add_co_u32 v7, vcc_lo, s2, v7
	v_mad_co_u64_u32 v[29:30], null, 0xffffff46, s10, v[0:1]
	v_mov_b32_e32 v30, v1
	s_wait_alu 0xfffd
	v_add_co_ci_u32_e64 v8, null, s3, v8, vcc_lo
	v_lshlrev_b64_e32 v[57:58], 3, v[0:1]
	s_delay_alu instid0(VALU_DEP_3) | instskip(SKIP_1) | instid1(VALU_DEP_1)
	v_mad_co_u64_u32 v[31:32], null, 0x7d, s10, v[29:30]
	v_mov_b32_e32 v32, v1
	v_lshlrev_b64_e32 v[35:36], 3, v[31:32]
	s_delay_alu instid0(VALU_DEP_1) | instskip(SKIP_1) | instid1(VALU_DEP_2)
	v_add_co_u32 v37, vcc_lo, s0, v35
	s_wait_alu 0xfffd
	v_add_co_ci_u32_e64 v38, null, s1, v36, vcc_lo
	v_add_co_u32 v35, vcc_lo, s2, v35
	s_wait_alu 0xfffd
	v_add_co_ci_u32_e64 v36, null, s3, v36, vcc_lo
	global_load_b64 v[32:33], v[33:34], off
	global_load_b64 v[7:8], v[7:8], off
	;; [unrolled: 1-line block ×4, first 2 shown]
	v_add_co_u32 v39, vcc_lo, s0, v13
	s_wait_alu 0xfffd
	v_add_co_ci_u32_e64 v40, null, s1, v14, vcc_lo
	v_add_co_u32 v13, vcc_lo, s2, v13
	s_wait_alu 0xfffd
	v_add_co_ci_u32_e64 v14, null, s3, v14, vcc_lo
	global_load_b64 v[39:40], v[39:40], off
	global_load_b64 v[13:14], v[13:14], off
	v_add_co_u32 v41, vcc_lo, s0, v5
	s_wait_alu 0xfffd
	v_add_co_ci_u32_e64 v42, null, s1, v6, vcc_lo
	v_add_co_u32 v5, vcc_lo, s2, v5
	s_wait_alu 0xfffd
	v_add_co_ci_u32_e64 v6, null, s3, v6, vcc_lo
	;; [unrolled: 3-line block ×5, first 2 shown]
	v_add_co_u32 v17, vcc_lo, s2, v17
	global_load_b64 v[41:42], v[41:42], off
	s_wait_alu 0xfffd
	v_add_co_ci_u32_e64 v18, null, s3, v18, vcc_lo
	global_load_b64 v[47:48], v[5:6], off
	global_load_b64 v[43:44], v[43:44], off
	global_load_b64 v[2:3], v[2:3], off
	global_load_b64 v[45:46], v[45:46], off
	global_load_b64 v[17:18], v[17:18], off
	v_mov_b32_e32 v5, v1
	s_delay_alu instid0(VALU_DEP_1) | instskip(NEXT) | instid1(VALU_DEP_1)
	v_lshlrev_b64_e32 v[4:5], 3, v[4:5]
	v_add_co_u32 v51, vcc_lo, s0, v4
	s_wait_alu 0xfffd
	s_delay_alu instid0(VALU_DEP_2)
	v_add_co_ci_u32_e64 v52, null, s1, v5, vcc_lo
	v_add_co_u32 v4, vcc_lo, s2, v4
	s_wait_alu 0xfffd
	v_add_co_ci_u32_e64 v5, null, s3, v5, vcc_lo
	s_wait_loadcnt 0xb
	v_mad_co_u64_u32 v[49:50], null, s10, 45, v[31:32]
	v_mov_b32_e32 v50, v1
	s_wait_loadcnt 0xa
	v_add_f64_e64 v[6:7], v[32:33], -v[7:8]
	s_wait_loadcnt 0x8
	v_add_f64_e64 v[31:32], v[37:38], -v[34:35]
	s_delay_alu instid0(VALU_DEP_4) | instskip(SKIP_1) | instid1(VALU_DEP_2)
	v_lshlrev_b64_e32 v[53:54], 3, v[49:50]
	v_add_nc_u32_e32 v0, s10, v49
	v_add_co_u32 v55, vcc_lo, s0, v53
	s_wait_alu 0xfffd
	s_delay_alu instid0(VALU_DEP_3)
	v_add_co_ci_u32_e64 v56, null, s1, v54, vcc_lo
	v_add_co_u32 v53, vcc_lo, s2, v53
	s_wait_alu 0xfffd
	v_add_co_ci_u32_e64 v54, null, s3, v54, vcc_lo
	global_load_b64 v[50:51], v[51:52], off
	global_load_b64 v[4:5], v[4:5], off
	;; [unrolled: 1-line block ×4, first 2 shown]
	v_lshlrev_b64_e32 v[61:62], 3, v[0:1]
	v_add_co_u32 v59, vcc_lo, s0, v9
	s_wait_alu 0xfffd
	v_add_co_ci_u32_e64 v60, null, s1, v10, vcc_lo
	v_add_co_u32 v9, vcc_lo, s2, v9
	s_wait_alu 0xfffd
	v_add_co_ci_u32_e64 v10, null, s3, v10, vcc_lo
	;; [unrolled: 3-line block ×4, first 2 shown]
	global_load_b64 v[59:60], v[59:60], off
	global_load_b64 v[9:10], v[9:10], off
	global_load_b64 v[63:64], v[63:64], off
	global_load_b64 v[61:62], v[61:62], off
	v_add_co_u32 v65, vcc_lo, s0, v19
	s_wait_alu 0xfffd
	v_add_co_ci_u32_e64 v66, null, s1, v20, vcc_lo
	v_add_co_u32 v19, vcc_lo, s2, v19
	s_wait_alu 0xfffd
	v_add_co_ci_u32_e64 v20, null, s3, v20, vcc_lo
	global_load_b64 v[65:66], v[65:66], off
	global_load_b64 v[19:20], v[19:20], off
	v_add_nc_u32_e32 v0, s11, v0
	v_add_co_u32 v67, vcc_lo, s0, v11
	s_wait_alu 0xfffd
	v_add_co_ci_u32_e64 v68, null, s1, v12, vcc_lo
	s_delay_alu instid0(VALU_DEP_3) | instskip(SKIP_4) | instid1(VALU_DEP_4)
	v_lshlrev_b64_e32 v[69:70], 3, v[0:1]
	v_add_co_u32 v11, vcc_lo, s2, v11
	s_wait_alu 0xfffd
	v_add_co_ci_u32_e64 v12, null, s3, v12, vcc_lo
	v_add_nc_u32_e32 v0, s10, v0
	v_add_co_u32 v71, vcc_lo, s0, v69
	s_wait_alu 0xfffd
	v_add_co_ci_u32_e64 v72, null, s1, v70, vcc_lo
	v_add_co_u32 v69, vcc_lo, s2, v69
	s_wait_alu 0xfffd
	v_add_co_ci_u32_e64 v70, null, s3, v70, vcc_lo
	global_load_b64 v[67:68], v[67:68], off
	global_load_b64 v[11:12], v[11:12], off
	;; [unrolled: 1-line block ×4, first 2 shown]
	v_lshlrev_b64_e32 v[73:74], 3, v[0:1]
	s_wait_loadcnt 0x14
	v_add_f64_e64 v[13:14], v[39:40], -v[13:14]
	v_add_f64_e32 v[31:32], v[6:7], v[31:32]
	s_wait_loadcnt 0x12
	v_add_f64_e64 v[37:38], v[41:42], -v[47:48]
	s_wait_loadcnt 0x10
	v_add_f64_e64 v[2:3], v[43:44], -v[2:3]
	;; [unrolled: 2-line block ×3, first 2 shown]
	v_add_co_u32 v75, vcc_lo, s0, v73
	s_wait_alu 0xfffd
	v_add_co_ci_u32_e64 v76, null, s1, v74, vcc_lo
	v_add_co_u32 v73, vcc_lo, s2, v73
	s_wait_alu 0xfffd
	v_add_co_ci_u32_e64 v74, null, s3, v74, vcc_lo
	global_load_b64 v[75:76], v[75:76], off
	global_load_b64 v[73:74], v[73:74], off
	v_add_co_u32 v77, vcc_lo, s0, v15
	s_wait_alu 0xfffd
	v_add_co_ci_u32_e64 v78, null, s1, v16, vcc_lo
	v_add_co_u32 v15, vcc_lo, s2, v15
	s_wait_alu 0xfffd
	v_add_co_ci_u32_e64 v16, null, s3, v16, vcc_lo
	;; [unrolled: 3-line block ×4, first 2 shown]
	global_load_b64 v[77:78], v[77:78], off
	global_load_b64 v[15:16], v[15:16], off
	;; [unrolled: 1-line block ×4, first 2 shown]
	v_add_co_u32 v33, vcc_lo, s0, v23
	s_wait_alu 0xfffd
	v_add_co_ci_u32_e64 v34, null, s1, v24, vcc_lo
	v_add_co_u32 v23, vcc_lo, s2, v23
	s_wait_alu 0xfffd
	v_add_co_ci_u32_e64 v24, null, s3, v24, vcc_lo
	global_load_b64 v[33:34], v[33:34], off
	global_load_b64 v[23:24], v[23:24], off
	v_add_co_u32 v35, vcc_lo, s0, v25
	s_wait_alu 0xfffd
	v_add_co_ci_u32_e64 v36, null, s1, v26, vcc_lo
	v_add_co_u32 v25, vcc_lo, s2, v25
	s_wait_alu 0xfffd
	v_add_co_ci_u32_e64 v26, null, s3, v26, vcc_lo
	global_load_b64 v[35:36], v[35:36], off
	global_load_b64 v[25:26], v[25:26], off
	v_add_f64_e32 v[31:32], v[13:14], v[31:32]
	v_add_co_u32 v39, vcc_lo, s0, v27
	s_wait_alu 0xfffd
	v_add_co_ci_u32_e64 v40, null, s1, v28, vcc_lo
	v_add_co_u32 v27, vcc_lo, s2, v27
	s_wait_alu 0xfffd
	v_add_co_ci_u32_e64 v28, null, s3, v28, vcc_lo
	global_load_b64 v[39:40], v[39:40], off
	global_load_b64 v[27:28], v[27:28], off
	v_add_f64_e32 v[2:3], v[37:38], v[2:3]
	v_mad_co_u64_u32 v[41:42], null, s10, 6, v[0:1]
	v_mov_b32_e32 v42, v1
	s_delay_alu instid0(VALU_DEP_1) | instskip(SKIP_1) | instid1(VALU_DEP_2)
	v_lshlrev_b64_e32 v[42:43], 3, v[41:42]
	v_add_nc_u32_e32 v0, s11, v41
	v_add_co_u32 v44, vcc_lo, s0, v42
	s_wait_alu 0xfffd
	s_delay_alu instid0(VALU_DEP_3)
	v_add_co_ci_u32_e64 v45, null, s1, v43, vcc_lo
	v_add_co_u32 v42, vcc_lo, s2, v42
	s_wait_alu 0xfffd
	v_add_co_ci_u32_e64 v43, null, s3, v43, vcc_lo
	global_load_b64 v[44:45], v[44:45], off
	global_load_b64 v[42:43], v[42:43], off
	v_add_f64_e32 v[31:32], v[17:18], v[31:32]
	s_wait_loadcnt 0x1a
	v_add_f64_e64 v[4:5], v[50:51], -v[4:5]
	s_wait_loadcnt 0x18
	v_add_f64_e64 v[37:38], v[55:56], -v[52:53]
	;; [unrolled: 2-line block ×4, first 2 shown]
	s_delay_alu instid0(VALU_DEP_4) | instskip(SKIP_4) | instid1(VALU_DEP_2)
	v_add_f64_e32 v[2:3], v[2:3], v[4:5]
	v_add_f64_e64 v[4:5], v[63:64], -v[61:62]
	v_add_f64_e64 v[31:32], v[31:32], -v[37:38]
	v_lshlrev_b64_e32 v[37:38], 3, v[0:1]
	v_add_nc_u32_e32 v0, s10, v0
	v_add_co_u32 v46, vcc_lo, s0, v37
	s_wait_alu 0xfffd
	s_delay_alu instid0(VALU_DEP_3)
	v_add_co_ci_u32_e64 v47, null, s1, v38, vcc_lo
	v_add_co_u32 v37, vcc_lo, s2, v37
	s_wait_alu 0xfffd
	v_add_co_ci_u32_e64 v38, null, s3, v38, vcc_lo
	global_load_b64 v[46:47], v[46:47], off
	global_load_b64 v[37:38], v[37:38], off
	s_wait_loadcnt 0x12
	v_add_f64_e64 v[10:11], v[67:68], -v[11:12]
	s_wait_loadcnt 0x10
	v_add_f64_e64 v[48:49], v[71:72], -v[69:70]
	v_add_f64_e32 v[2:3], v[2:3], v[8:9]
	v_lshlrev_b64_e32 v[8:9], 3, v[0:1]
	v_add_f64_e64 v[4:5], v[31:32], -v[4:5]
	v_add_nc_u32_e32 v0, s11, v0
	s_delay_alu instid0(VALU_DEP_3) | instskip(SKIP_1) | instid1(VALU_DEP_4)
	v_add_co_u32 v31, vcc_lo, s0, v8
	s_wait_alu 0xfffd
	v_add_co_ci_u32_e64 v32, null, s1, v9, vcc_lo
	v_add_co_u32 v8, vcc_lo, s2, v8
	s_wait_alu 0xfffd
	v_add_co_ci_u32_e64 v9, null, s3, v9, vcc_lo
	global_load_b64 v[31:32], v[31:32], off
	global_load_b64 v[8:9], v[8:9], off
	v_lshlrev_b64_e32 v[50:51], 3, v[0:1]
	v_add_f64_e64 v[2:3], v[2:3], -v[6:7]
	v_add_co_u32 v6, vcc_lo, s0, v57
	v_add_f64_e64 v[4:5], v[4:5], -v[19:20]
	s_wait_alu 0xfffd
	v_add_co_ci_u32_e64 v7, null, s1, v58, vcc_lo
	v_add_co_u32 v52, vcc_lo, s2, v57
	s_wait_alu 0xfffd
	v_add_co_ci_u32_e64 v53, null, s3, v58, vcc_lo
	v_add_co_u32 v54, vcc_lo, s0, v50
	;; [unrolled: 3-line block ×3, first 2 shown]
	s_wait_alu 0xfffd
	v_add_co_ci_u32_e64 v51, null, s3, v51, vcc_lo
	global_load_b64 v[6:7], v[6:7], off
	global_load_b64 v[52:53], v[52:53], off
	;; [unrolled: 1-line block ×4, first 2 shown]
	s_wait_loadcnt 0x14
	v_add_f64_e64 v[56:57], v[75:76], -v[73:74]
	s_load_b128 s[0:3], s[8:9], 0x98
	v_add_f64_e64 v[2:3], v[2:3], -v[10:11]
	s_wait_loadcnt 0x12
	v_add_f64_e64 v[10:11], v[77:78], -v[15:16]
	s_wait_loadcnt 0x10
	v_add_f64_e64 v[15:16], v[79:80], -v[21:22]
	v_add_f64_e64 v[4:5], v[4:5], -v[48:49]
	s_delay_alu instid0(VALU_DEP_4) | instskip(SKIP_2) | instid1(VALU_DEP_3)
	v_add_f64_e64 v[2:3], v[2:3], -v[13:14]
	s_wait_loadcnt 0xe
	v_add_f64_e64 v[12:13], v[33:34], -v[23:24]
	v_add_f64_e64 v[4:5], v[4:5], -v[56:57]
	s_delay_alu instid0(VALU_DEP_3) | instskip(SKIP_2) | instid1(VALU_DEP_3)
	v_add_f64_e64 v[2:3], v[2:3], -v[10:11]
	s_wait_loadcnt 0xc
	v_add_f64_e64 v[10:11], v[35:36], -v[25:26]
	v_add_f64_e64 v[4:5], v[4:5], -v[15:16]
	s_delay_alu instid0(VALU_DEP_3) | instskip(SKIP_2) | instid1(VALU_DEP_3)
	;; [unrolled: 5-line block ×3, first 2 shown]
	v_add_f64_e32 v[2:3], v[2:3], v[19:20]
	s_wait_loadcnt 0x8
	v_add_f64_e64 v[19:20], v[44:45], -v[42:43]
	v_add_f64_e64 v[4:5], v[4:5], -v[10:11]
	s_delay_alu instid0(VALU_DEP_3) | instskip(NEXT) | instid1(VALU_DEP_2)
	v_add_f64_e32 v[2:3], v[2:3], v[15:16]
	v_add_f64_e64 v[4:5], v[4:5], -v[17:18]
	s_wait_loadcnt 0x6
	v_add_f64_e64 v[14:15], v[46:47], -v[37:38]
	s_delay_alu instid0(VALU_DEP_3) | instskip(NEXT) | instid1(VALU_DEP_3)
	v_add_f64_e32 v[2:3], v[2:3], v[12:13]
	v_add_f64_e32 v[4:5], v[19:20], v[4:5]
	s_wait_loadcnt 0x4
	v_add_f64_e64 v[8:9], v[31:32], -v[8:9]
	s_delay_alu instid0(VALU_DEP_3) | instskip(NEXT) | instid1(VALU_DEP_3)
	v_add_f64_e32 v[2:3], v[2:3], v[10:11]
	v_add_f64_e32 v[4:5], v[14:15], v[4:5]
	s_wait_loadcnt 0x2
	v_add_f64_e64 v[6:7], v[6:7], -v[52:53]
	s_wait_loadcnt 0x0
	v_add_f64_e64 v[10:11], v[54:55], -v[50:51]
	s_delay_alu instid0(VALU_DEP_4) | instskip(NEXT) | instid1(VALU_DEP_4)
	v_add_f64_e32 v[2:3], v[2:3], v[17:18]
	v_add_f64_e32 v[4:5], v[8:9], v[4:5]
	v_lshlrev_b64_e32 v[8:9], 3, v[29:30]
	s_delay_alu instid0(VALU_DEP_3) | instskip(SKIP_1) | instid1(VALU_DEP_4)
	v_add_f64_e32 v[2:3], v[2:3], v[6:7]
	v_mad_co_u64_u32 v[6:7], null, 0xffffff48, s10, v[0:1]
	v_add_f64_e32 v[4:5], v[4:5], v[10:11]
	s_delay_alu instid0(VALU_DEP_2) | instskip(NEXT) | instid1(VALU_DEP_1)
	v_dual_mov_b32 v7, v1 :: v_dual_add_nc_u32 v0, s10, v6
	v_lshlrev_b64_e32 v[10:11], 3, v[6:7]
	v_add_co_u32 v6, vcc_lo, s4, v8
	s_wait_alu 0xfffd
	v_add_co_ci_u32_e64 v7, null, s5, v9, vcc_lo
	v_lshlrev_b64_e32 v[8:9], 3, v[0:1]
	s_delay_alu instid0(VALU_DEP_4) | instskip(SKIP_3) | instid1(VALU_DEP_4)
	v_add_co_u32 v10, vcc_lo, s4, v10
	s_wait_alu 0xfffd
	v_add_co_ci_u32_e64 v11, null, s5, v11, vcc_lo
	v_mov_b32_e32 v0, v1
	v_add_co_u32 v8, vcc_lo, s4, v8
	s_wait_alu 0xfffd
	v_add_co_ci_u32_e64 v9, null, s5, v9, vcc_lo
	v_mul_f64_e32 v[2:3], s[6:7], v[2:3]
	v_mul_f64_e32 v[4:5], s[6:7], v[4:5]
	s_wait_kmcnt 0x0
	s_delay_alu instid0(VALU_DEP_2) | instskip(NEXT) | instid1(VALU_DEP_2)
	v_mul_f64_e32 v[2:3], s[0:1], v[2:3]
	v_mul_f64_e32 v[4:5], s[2:3], v[4:5]
	s_clause 0x2
	global_store_b64 v[6:7], v[2:3], off
	global_store_b64 v[10:11], v[4:5], off
	;; [unrolled: 1-line block ×3, first 2 shown]
	s_endpgm
	.section	.rodata,"a",@progbits
	.p2align	6, 0x0
	.amdhsa_kernel _Z14rdwdot2_kernelIdEvPKT_S2_PS0_S0_S2_
		.amdhsa_group_segment_fixed_size 0
		.amdhsa_private_segment_fixed_size 0
		.amdhsa_kernarg_size 296
		.amdhsa_user_sgpr_count 2
		.amdhsa_user_sgpr_dispatch_ptr 0
		.amdhsa_user_sgpr_queue_ptr 0
		.amdhsa_user_sgpr_kernarg_segment_ptr 1
		.amdhsa_user_sgpr_dispatch_id 0
		.amdhsa_user_sgpr_private_segment_size 0
		.amdhsa_wavefront_size32 1
		.amdhsa_uses_dynamic_stack 0
		.amdhsa_enable_private_segment 0
		.amdhsa_system_sgpr_workgroup_id_x 1
		.amdhsa_system_sgpr_workgroup_id_y 0
		.amdhsa_system_sgpr_workgroup_id_z 0
		.amdhsa_system_sgpr_workgroup_info 0
		.amdhsa_system_vgpr_workitem_id 0
		.amdhsa_next_free_vgpr 81
		.amdhsa_next_free_sgpr 12
		.amdhsa_reserve_vcc 1
		.amdhsa_float_round_mode_32 0
		.amdhsa_float_round_mode_16_64 0
		.amdhsa_float_denorm_mode_32 3
		.amdhsa_float_denorm_mode_16_64 3
		.amdhsa_fp16_overflow 0
		.amdhsa_workgroup_processor_mode 1
		.amdhsa_memory_ordered 1
		.amdhsa_forward_progress 1
		.amdhsa_inst_pref_size 21
		.amdhsa_round_robin_scheduling 0
		.amdhsa_exception_fp_ieee_invalid_op 0
		.amdhsa_exception_fp_denorm_src 0
		.amdhsa_exception_fp_ieee_div_zero 0
		.amdhsa_exception_fp_ieee_overflow 0
		.amdhsa_exception_fp_ieee_underflow 0
		.amdhsa_exception_fp_ieee_inexact 0
		.amdhsa_exception_int_div_zero 0
	.end_amdhsa_kernel
	.section	.text._Z14rdwdot2_kernelIdEvPKT_S2_PS0_S0_S2_,"axG",@progbits,_Z14rdwdot2_kernelIdEvPKT_S2_PS0_S0_S2_,comdat
.Lfunc_end47:
	.size	_Z14rdwdot2_kernelIdEvPKT_S2_PS0_S0_S2_, .Lfunc_end47-_Z14rdwdot2_kernelIdEvPKT_S2_PS0_S0_S2_
                                        ; -- End function
	.set _Z14rdwdot2_kernelIdEvPKT_S2_PS0_S0_S2_.num_vgpr, 81
	.set _Z14rdwdot2_kernelIdEvPKT_S2_PS0_S0_S2_.num_agpr, 0
	.set _Z14rdwdot2_kernelIdEvPKT_S2_PS0_S0_S2_.numbered_sgpr, 12
	.set _Z14rdwdot2_kernelIdEvPKT_S2_PS0_S0_S2_.num_named_barrier, 0
	.set _Z14rdwdot2_kernelIdEvPKT_S2_PS0_S0_S2_.private_seg_size, 0
	.set _Z14rdwdot2_kernelIdEvPKT_S2_PS0_S0_S2_.uses_vcc, 1
	.set _Z14rdwdot2_kernelIdEvPKT_S2_PS0_S0_S2_.uses_flat_scratch, 0
	.set _Z14rdwdot2_kernelIdEvPKT_S2_PS0_S0_S2_.has_dyn_sized_stack, 0
	.set _Z14rdwdot2_kernelIdEvPKT_S2_PS0_S0_S2_.has_recursion, 0
	.set _Z14rdwdot2_kernelIdEvPKT_S2_PS0_S0_S2_.has_indirect_call, 0
	.section	.AMDGPU.csdata,"",@progbits
; Kernel info:
; codeLenInByte = 2640
; TotalNumSgprs: 14
; NumVgprs: 81
; ScratchSize: 0
; MemoryBound: 0
; FloatMode: 240
; IeeeMode: 1
; LDSByteSize: 0 bytes/workgroup (compile time only)
; SGPRBlocks: 0
; VGPRBlocks: 10
; NumSGPRsForWavesPerEU: 14
; NumVGPRsForWavesPerEU: 81
; Occupancy: 16
; WaveLimiterHint : 0
; COMPUTE_PGM_RSRC2:SCRATCH_EN: 0
; COMPUTE_PGM_RSRC2:USER_SGPR: 2
; COMPUTE_PGM_RSRC2:TRAP_HANDLER: 0
; COMPUTE_PGM_RSRC2:TGID_X_EN: 1
; COMPUTE_PGM_RSRC2:TGID_Y_EN: 0
; COMPUTE_PGM_RSRC2:TGID_Z_EN: 0
; COMPUTE_PGM_RSRC2:TIDIG_COMP_CNT: 0
	.section	.text._Z14rdwdot3_kernelIdEvPKT_S2_PS0_S0_S2_,"axG",@progbits,_Z14rdwdot3_kernelIdEvPKT_S2_PS0_S0_S2_,comdat
	.protected	_Z14rdwdot3_kernelIdEvPKT_S2_PS0_S0_S2_ ; -- Begin function _Z14rdwdot3_kernelIdEvPKT_S2_PS0_S0_S2_
	.globl	_Z14rdwdot3_kernelIdEvPKT_S2_PS0_S0_S2_
	.p2align	8
	.type	_Z14rdwdot3_kernelIdEvPKT_S2_PS0_S0_S2_,@function
_Z14rdwdot3_kernelIdEvPKT_S2_PS0_S0_S2_: ; @_Z14rdwdot3_kernelIdEvPKT_S2_PS0_S0_S2_
; %bb.0:
	s_clause 0x2
	s_load_b256 s[4:11], s[0:1], 0x0
	s_load_b96 s[20:22], s[0:1], 0x20
	s_load_b32 s0, s[0:1], 0x34
	s_wait_kmcnt 0x0
	s_and_b32 s0, s0, 0xffff
	s_delay_alu instid0(SALU_CYCLE_1)
	s_mul_i32 s22, s22, s0
	s_mul_i32 s0, ttmp9, s0
	s_mul_i32 s1, s22, 0x71
	s_mul_i32 s26, s22, 6
	v_add3_u32 v0, s1, s0, v0
	s_lshl_b32 s0, s22, 3
	v_mov_b32_e32 v1, 0
	s_lshl_b32 s27, s22, 2
	s_mul_i32 s25, s22, 12
	s_lshl_b32 s23, s22, 1
	s_mul_i32 s29, s22, 3
	v_lshlrev_b64_e32 v[2:3], 3, v[0:1]
	s_wait_alu 0xfffe
	v_add_nc_u32_e32 v0, s0, v0
	s_mul_i32 s28, s22, 39
	s_mul_i32 s24, s22, 5
	s_delay_alu instid0(VALU_DEP_2) | instskip(NEXT) | instid1(VALU_DEP_1)
	v_add_co_u32 v4, vcc_lo, s4, v2
	v_add_co_ci_u32_e64 v5, null, s5, v3, vcc_lo
	v_add_co_u32 v2, vcc_lo, s6, v2
	s_wait_alu 0xfffd
	v_add_co_ci_u32_e64 v3, null, s7, v3, vcc_lo
	global_load_b64 v[4:5], v[4:5], off
	global_load_b64 v[2:3], v[2:3], off
	s_wait_loadcnt 0x0
	v_add_f64_e64 v[2:3], v[4:5], -v[2:3]
	v_lshlrev_b64_e32 v[4:5], 3, v[0:1]
	s_delay_alu instid0(VALU_DEP_1) | instskip(SKIP_1) | instid1(VALU_DEP_2)
	v_add_co_u32 v6, vcc_lo, s4, v4
	s_wait_alu 0xfffd
	v_add_co_ci_u32_e64 v7, null, s5, v5, vcc_lo
	v_add_co_u32 v4, vcc_lo, s6, v4
	s_wait_alu 0xfffd
	v_add_co_ci_u32_e64 v5, null, s7, v5, vcc_lo
	global_load_b64 v[6:7], v[6:7], off
	global_load_b64 v[4:5], v[4:5], off
	s_wait_loadcnt 0x0
	v_add_f64_e64 v[4:5], v[6:7], -v[4:5]
	s_delay_alu instid0(VALU_DEP_1) | instskip(SKIP_1) | instid1(VALU_DEP_1)
	v_add_f64_e64 v[6:7], v[2:3], -v[4:5]
	v_mad_co_u64_u32 v[2:3], null, 0xffffffa5, s22, v[0:1]
	v_dual_mov_b32 v3, v1 :: v_dual_add_nc_u32 v0, s26, v2
	s_delay_alu instid0(VALU_DEP_1) | instskip(NEXT) | instid1(VALU_DEP_1)
	v_lshlrev_b64_e32 v[3:4], 3, v[2:3]
	v_add_co_u32 v8, vcc_lo, s4, v3
	s_wait_alu 0xfffd
	s_delay_alu instid0(VALU_DEP_2)
	v_add_co_ci_u32_e64 v9, null, s5, v4, vcc_lo
	v_add_co_u32 v3, vcc_lo, s6, v3
	s_wait_alu 0xfffd
	v_add_co_ci_u32_e64 v4, null, s7, v4, vcc_lo
	global_load_b64 v[8:9], v[8:9], off
	global_load_b64 v[3:4], v[3:4], off
	s_wait_loadcnt 0x0
	v_add_f64_e64 v[3:4], v[8:9], -v[3:4]
	v_lshlrev_b64_e32 v[8:9], 3, v[0:1]
	v_add_nc_u32_e32 v0, s27, v0
	s_delay_alu instid0(VALU_DEP_2) | instskip(SKIP_1) | instid1(VALU_DEP_3)
	v_add_co_u32 v10, vcc_lo, s4, v8
	s_wait_alu 0xfffd
	v_add_co_ci_u32_e64 v11, null, s5, v9, vcc_lo
	v_add_co_u32 v8, vcc_lo, s6, v8
	s_wait_alu 0xfffd
	v_add_co_ci_u32_e64 v9, null, s7, v9, vcc_lo
	global_load_b64 v[10:11], v[10:11], off
	global_load_b64 v[8:9], v[8:9], off
	s_wait_loadcnt 0x0
	v_add_f64_e64 v[8:9], v[10:11], -v[8:9]
	s_delay_alu instid0(VALU_DEP_1) | instskip(SKIP_2) | instid1(VALU_DEP_2)
	v_add_f64_e32 v[2:3], v[3:4], v[8:9]
	v_lshlrev_b64_e32 v[4:5], 3, v[0:1]
	v_add_nc_u32_e32 v0, s25, v0
	v_add_co_u32 v8, vcc_lo, s4, v4
	s_wait_alu 0xfffd
	s_delay_alu instid0(VALU_DEP_3)
	v_add_co_ci_u32_e64 v9, null, s5, v5, vcc_lo
	v_add_co_u32 v4, vcc_lo, s6, v4
	s_wait_alu 0xfffd
	v_add_co_ci_u32_e64 v5, null, s7, v5, vcc_lo
	global_load_b64 v[8:9], v[8:9], off
	global_load_b64 v[4:5], v[4:5], off
	s_wait_loadcnt 0x0
	v_add_f64_e64 v[4:5], v[8:9], -v[4:5]
	s_delay_alu instid0(VALU_DEP_1) | instskip(SKIP_2) | instid1(VALU_DEP_2)
	v_add_f64_e32 v[2:3], v[2:3], v[4:5]
	v_lshlrev_b64_e32 v[4:5], 3, v[0:1]
	v_add_nc_u32_e32 v0, s23, v0
	v_add_co_u32 v8, vcc_lo, s4, v4
	s_wait_alu 0xfffd
	s_delay_alu instid0(VALU_DEP_3)
	v_add_co_ci_u32_e64 v9, null, s5, v5, vcc_lo
	v_add_co_u32 v4, vcc_lo, s6, v4
	s_wait_alu 0xfffd
	v_add_co_ci_u32_e64 v5, null, s7, v5, vcc_lo
	global_load_b64 v[8:9], v[8:9], off
	global_load_b64 v[4:5], v[4:5], off
	s_wait_loadcnt 0x0
	v_add_f64_e64 v[4:5], v[8:9], -v[4:5]
	s_delay_alu instid0(VALU_DEP_1) | instskip(SKIP_3) | instid1(VALU_DEP_2)
	v_add_f64_e32 v[2:3], v[2:3], v[4:5]
	v_lshlrev_b64_e32 v[4:5], 3, v[0:1]
	v_add_nc_u32_e32 v0, s0, v0
	s_mul_i32 s0, s22, 7
	v_add_co_u32 v8, vcc_lo, s4, v4
	s_wait_alu 0xfffd
	s_delay_alu instid0(VALU_DEP_3)
	v_add_co_ci_u32_e64 v9, null, s5, v5, vcc_lo
	v_add_co_u32 v4, vcc_lo, s6, v4
	s_wait_alu 0xfffd
	v_add_co_ci_u32_e64 v5, null, s7, v5, vcc_lo
	global_load_b64 v[8:9], v[8:9], off
	global_load_b64 v[4:5], v[4:5], off
	s_wait_loadcnt 0x0
	v_add_f64_e64 v[4:5], v[8:9], -v[4:5]
	s_delay_alu instid0(VALU_DEP_1) | instskip(SKIP_3) | instid1(VALU_DEP_2)
	v_add_f64_e32 v[2:3], v[2:3], v[4:5]
	v_lshlrev_b64_e32 v[4:5], 3, v[0:1]
	s_wait_alu 0xfffe
	v_add_nc_u32_e32 v0, s0, v0
	v_add_co_u32 v8, vcc_lo, s4, v4
	s_wait_alu 0xfffd
	s_delay_alu instid0(VALU_DEP_3)
	v_add_co_ci_u32_e64 v9, null, s5, v5, vcc_lo
	v_add_co_u32 v4, vcc_lo, s6, v4
	s_wait_alu 0xfffd
	v_add_co_ci_u32_e64 v5, null, s7, v5, vcc_lo
	global_load_b64 v[8:9], v[8:9], off
	global_load_b64 v[4:5], v[4:5], off
	s_wait_loadcnt 0x0
	v_add_f64_e64 v[4:5], v[8:9], -v[4:5]
	s_delay_alu instid0(VALU_DEP_1) | instskip(SKIP_2) | instid1(VALU_DEP_2)
	v_add_f64_e32 v[2:3], v[2:3], v[4:5]
	v_lshlrev_b64_e32 v[4:5], 3, v[0:1]
	v_add_nc_u32_e32 v0, s22, v0
	v_add_co_u32 v8, vcc_lo, s4, v4
	s_wait_alu 0xfffd
	s_delay_alu instid0(VALU_DEP_3)
	v_add_co_ci_u32_e64 v9, null, s5, v5, vcc_lo
	v_add_co_u32 v4, vcc_lo, s6, v4
	s_wait_alu 0xfffd
	v_add_co_ci_u32_e64 v5, null, s7, v5, vcc_lo
	global_load_b64 v[8:9], v[8:9], off
	global_load_b64 v[4:5], v[4:5], off
	s_wait_loadcnt 0x0
	v_add_f64_e64 v[4:5], v[8:9], -v[4:5]
	s_delay_alu instid0(VALU_DEP_1) | instskip(SKIP_2) | instid1(VALU_DEP_2)
	v_add_f64_e32 v[2:3], v[2:3], v[4:5]
	v_lshlrev_b64_e32 v[4:5], 3, v[0:1]
	v_add_nc_u32_e32 v0, s22, v0
	v_add_co_u32 v8, vcc_lo, s4, v4
	s_wait_alu 0xfffd
	s_delay_alu instid0(VALU_DEP_3)
	v_add_co_ci_u32_e64 v9, null, s5, v5, vcc_lo
	v_add_co_u32 v4, vcc_lo, s6, v4
	s_wait_alu 0xfffd
	v_add_co_ci_u32_e64 v5, null, s7, v5, vcc_lo
	global_load_b64 v[8:9], v[8:9], off
	global_load_b64 v[4:5], v[4:5], off
	s_wait_loadcnt 0x0
	v_add_f64_e64 v[4:5], v[8:9], -v[4:5]
	s_delay_alu instid0(VALU_DEP_1) | instskip(SKIP_2) | instid1(VALU_DEP_2)
	v_add_f64_e64 v[2:3], v[2:3], -v[4:5]
	v_lshlrev_b64_e32 v[4:5], 3, v[0:1]
	v_add_nc_u32_e32 v0, s22, v0
	v_add_co_u32 v8, vcc_lo, s4, v4
	s_wait_alu 0xfffd
	s_delay_alu instid0(VALU_DEP_3)
	v_add_co_ci_u32_e64 v9, null, s5, v5, vcc_lo
	v_add_co_u32 v4, vcc_lo, s6, v4
	s_wait_alu 0xfffd
	v_add_co_ci_u32_e64 v5, null, s7, v5, vcc_lo
	global_load_b64 v[8:9], v[8:9], off
	global_load_b64 v[4:5], v[4:5], off
	s_wait_loadcnt 0x0
	v_add_f64_e64 v[4:5], v[8:9], -v[4:5]
	s_delay_alu instid0(VALU_DEP_1) | instskip(SKIP_2) | instid1(VALU_DEP_2)
	v_add_f64_e64 v[2:3], v[2:3], -v[4:5]
	;; [unrolled: 15-line block ×7, first 2 shown]
	v_lshlrev_b64_e32 v[10:11], 3, v[0:1]
	v_add_nc_u32_e32 v0, s27, v0
	v_add_co_u32 v12, vcc_lo, s4, v10
	s_wait_alu 0xfffd
	s_delay_alu instid0(VALU_DEP_3)
	v_add_co_ci_u32_e64 v13, null, s5, v11, vcc_lo
	v_add_co_u32 v10, vcc_lo, s6, v10
	s_wait_alu 0xfffd
	v_add_co_ci_u32_e64 v11, null, s7, v11, vcc_lo
	global_load_b64 v[12:13], v[12:13], off
	global_load_b64 v[10:11], v[10:11], off
	s_wait_loadcnt 0x0
	v_add_f64_e64 v[10:11], v[12:13], -v[10:11]
	s_delay_alu instid0(VALU_DEP_1) | instskip(SKIP_2) | instid1(VALU_DEP_2)
	v_add_f64_e32 v[8:9], v[8:9], v[10:11]
	v_lshlrev_b64_e32 v[10:11], 3, v[0:1]
	v_add_nc_u32_e32 v0, s0, v0
	v_add_co_u32 v12, vcc_lo, s4, v10
	s_wait_alu 0xfffd
	s_delay_alu instid0(VALU_DEP_3)
	v_add_co_ci_u32_e64 v13, null, s5, v11, vcc_lo
	v_add_co_u32 v10, vcc_lo, s6, v10
	s_wait_alu 0xfffd
	v_add_co_ci_u32_e64 v11, null, s7, v11, vcc_lo
	global_load_b64 v[12:13], v[12:13], off
	global_load_b64 v[10:11], v[10:11], off
	s_wait_loadcnt 0x0
	v_add_f64_e64 v[10:11], v[12:13], -v[10:11]
	s_delay_alu instid0(VALU_DEP_1) | instskip(SKIP_2) | instid1(VALU_DEP_2)
	v_add_f64_e32 v[8:9], v[8:9], v[10:11]
	v_lshlrev_b64_e32 v[10:11], 3, v[0:1]
	v_add_nc_u32_e32 v0, s26, v0
	v_add_co_u32 v12, vcc_lo, s4, v10
	s_wait_alu 0xfffd
	s_delay_alu instid0(VALU_DEP_3)
	v_add_co_ci_u32_e64 v13, null, s5, v11, vcc_lo
	v_add_co_u32 v10, vcc_lo, s6, v10
	s_wait_alu 0xfffd
	v_add_co_ci_u32_e64 v11, null, s7, v11, vcc_lo
	global_load_b64 v[12:13], v[12:13], off
	global_load_b64 v[10:11], v[10:11], off
	s_wait_loadcnt 0x0
	v_add_f64_e64 v[10:11], v[12:13], -v[10:11]
	s_delay_alu instid0(VALU_DEP_1) | instskip(SKIP_2) | instid1(VALU_DEP_2)
	v_add_f64_e64 v[8:9], v[8:9], -v[10:11]
	v_lshlrev_b64_e32 v[10:11], 3, v[0:1]
	v_add_nc_u32_e32 v0, s29, v0
	v_add_co_u32 v12, vcc_lo, s4, v10
	s_wait_alu 0xfffd
	s_delay_alu instid0(VALU_DEP_3)
	v_add_co_ci_u32_e64 v13, null, s5, v11, vcc_lo
	v_add_co_u32 v10, vcc_lo, s6, v10
	s_wait_alu 0xfffd
	v_add_co_ci_u32_e64 v11, null, s7, v11, vcc_lo
	global_load_b64 v[12:13], v[12:13], off
	global_load_b64 v[10:11], v[10:11], off
	s_wait_loadcnt 0x0
	v_add_f64_e64 v[10:11], v[12:13], -v[10:11]
	s_delay_alu instid0(VALU_DEP_1) | instskip(SKIP_2) | instid1(VALU_DEP_2)
	v_add_f64_e32 v[8:9], v[8:9], v[10:11]
	v_lshlrev_b64_e32 v[10:11], 3, v[0:1]
	v_add_nc_u32_e32 v0, s22, v0
	v_add_co_u32 v12, vcc_lo, s4, v10
	s_wait_alu 0xfffd
	s_delay_alu instid0(VALU_DEP_3)
	v_add_co_ci_u32_e64 v13, null, s5, v11, vcc_lo
	v_add_co_u32 v10, vcc_lo, s6, v10
	s_wait_alu 0xfffd
	v_add_co_ci_u32_e64 v11, null, s7, v11, vcc_lo
	global_load_b64 v[12:13], v[12:13], off
	global_load_b64 v[10:11], v[10:11], off
	s_wait_loadcnt 0x0
	v_add_f64_e64 v[10:11], v[12:13], -v[10:11]
	s_delay_alu instid0(VALU_DEP_1) | instskip(SKIP_2) | instid1(VALU_DEP_2)
	v_add_f64_e32 v[8:9], v[8:9], v[10:11]
	;; [unrolled: 15-line block ×3, first 2 shown]
	v_lshlrev_b64_e32 v[10:11], 3, v[0:1]
	v_add_nc_u32_e32 v0, s28, v0
	v_add_co_u32 v12, vcc_lo, s4, v10
	s_wait_alu 0xfffd
	s_delay_alu instid0(VALU_DEP_3)
	v_add_co_ci_u32_e64 v13, null, s5, v11, vcc_lo
	v_add_co_u32 v10, vcc_lo, s6, v10
	s_wait_alu 0xfffd
	v_add_co_ci_u32_e64 v11, null, s7, v11, vcc_lo
	global_load_b64 v[12:13], v[12:13], off
	global_load_b64 v[10:11], v[10:11], off
	s_wait_loadcnt 0x0
	v_add_f64_e64 v[10:11], v[12:13], -v[10:11]
	s_delay_alu instid0(VALU_DEP_1) | instskip(SKIP_1) | instid1(VALU_DEP_1)
	v_add_f64_e32 v[8:9], v[8:9], v[10:11]
	v_lshlrev_b64_e32 v[10:11], 3, v[0:1]
	v_add_co_u32 v12, vcc_lo, s4, v10
	s_wait_alu 0xfffd
	s_delay_alu instid0(VALU_DEP_2)
	v_add_co_ci_u32_e64 v13, null, s5, v11, vcc_lo
	v_add_co_u32 v10, vcc_lo, s6, v10
	s_wait_alu 0xfffd
	v_add_co_ci_u32_e64 v11, null, s7, v11, vcc_lo
	global_load_b64 v[12:13], v[12:13], off
	global_load_b64 v[10:11], v[10:11], off
	s_wait_loadcnt 0x0
	v_add_f64_e64 v[10:11], v[12:13], -v[10:11]
	s_delay_alu instid0(VALU_DEP_1) | instskip(SKIP_2) | instid1(VALU_DEP_1)
	v_add_f64_e32 v[8:9], v[8:9], v[10:11]
	v_mad_co_u64_u32 v[10:11], null, s22, 14, v[0:1]
	v_mov_b32_e32 v11, v1
	v_lshlrev_b64_e32 v[11:12], 3, v[10:11]
	v_add_nc_u32_e32 v0, s26, v10
	s_delay_alu instid0(VALU_DEP_2) | instskip(SKIP_1) | instid1(VALU_DEP_3)
	v_add_co_u32 v13, vcc_lo, s4, v11
	s_wait_alu 0xfffd
	v_add_co_ci_u32_e64 v14, null, s5, v12, vcc_lo
	v_add_co_u32 v11, vcc_lo, s6, v11
	s_wait_alu 0xfffd
	v_add_co_ci_u32_e64 v12, null, s7, v12, vcc_lo
	global_load_b64 v[13:14], v[13:14], off
	global_load_b64 v[11:12], v[11:12], off
	s_wait_loadcnt 0x0
	v_add_f64_e64 v[11:12], v[13:14], -v[11:12]
	s_delay_alu instid0(VALU_DEP_1) | instskip(SKIP_2) | instid1(VALU_DEP_2)
	v_add_f64_e32 v[11:12], v[8:9], v[11:12]
	v_lshlrev_b64_e32 v[8:9], 3, v[0:1]
	v_add_nc_u32_e32 v0, s25, v0
	v_add_co_u32 v13, vcc_lo, s4, v8
	s_wait_alu 0xfffd
	s_delay_alu instid0(VALU_DEP_3)
	v_add_co_ci_u32_e64 v14, null, s5, v9, vcc_lo
	v_add_co_u32 v8, vcc_lo, s6, v8
	s_wait_alu 0xfffd
	v_add_co_ci_u32_e64 v9, null, s7, v9, vcc_lo
	global_load_b64 v[13:14], v[13:14], off
	global_load_b64 v[8:9], v[8:9], off
	s_wait_loadcnt 0x0
	v_add_f64_e64 v[8:9], v[13:14], -v[8:9]
	s_delay_alu instid0(VALU_DEP_1) | instskip(SKIP_2) | instid1(VALU_DEP_2)
	v_add_f64_e32 v[10:11], v[11:12], v[8:9]
	v_lshlrev_b64_e32 v[12:13], 3, v[0:1]
	v_add_nc_u32_e32 v0, s24, v0
	v_add_co_u32 v14, vcc_lo, s4, v12
	s_wait_alu 0xfffd
	s_delay_alu instid0(VALU_DEP_3)
	v_add_co_ci_u32_e64 v15, null, s5, v13, vcc_lo
	v_add_co_u32 v12, vcc_lo, s6, v12
	s_wait_alu 0xfffd
	v_add_co_ci_u32_e64 v13, null, s7, v13, vcc_lo
	global_load_b64 v[14:15], v[14:15], off
	global_load_b64 v[12:13], v[12:13], off
	s_wait_loadcnt 0x0
	v_add_f64_e64 v[12:13], v[14:15], -v[12:13]
	s_delay_alu instid0(VALU_DEP_1) | instskip(SKIP_1) | instid1(VALU_DEP_1)
	v_add_f64_e32 v[10:11], v[10:11], v[12:13]
	v_lshlrev_b64_e32 v[12:13], 3, v[0:1]
	v_add_co_u32 v14, vcc_lo, s4, v12
	s_wait_alu 0xfffd
	s_delay_alu instid0(VALU_DEP_2)
	v_add_co_ci_u32_e64 v15, null, s5, v13, vcc_lo
	v_add_co_u32 v12, vcc_lo, s6, v12
	s_wait_alu 0xfffd
	v_add_co_ci_u32_e64 v13, null, s7, v13, vcc_lo
	global_load_b64 v[14:15], v[14:15], off
	global_load_b64 v[12:13], v[12:13], off
	s_wait_loadcnt 0x0
	v_add_f64_e64 v[12:13], v[14:15], -v[12:13]
	s_delay_alu instid0(VALU_DEP_1) | instskip(SKIP_2) | instid1(VALU_DEP_1)
	v_add_f64_e32 v[10:11], v[10:11], v[12:13]
	v_mad_co_u64_u32 v[12:13], null, s22, 11, v[0:1]
	v_mov_b32_e32 v13, v1
	v_lshlrev_b64_e32 v[13:14], 3, v[12:13]
	s_delay_alu instid0(VALU_DEP_1) | instskip(SKIP_1) | instid1(VALU_DEP_2)
	v_add_co_u32 v15, vcc_lo, s4, v13
	s_wait_alu 0xfffd
	v_add_co_ci_u32_e64 v16, null, s5, v14, vcc_lo
	v_add_co_u32 v13, vcc_lo, s6, v13
	s_wait_alu 0xfffd
	v_add_co_ci_u32_e64 v14, null, s7, v14, vcc_lo
	global_load_b64 v[15:16], v[15:16], off
	global_load_b64 v[13:14], v[13:14], off
	s_wait_loadcnt 0x0
	v_add_f64_e64 v[13:14], v[15:16], -v[13:14]
	s_delay_alu instid0(VALU_DEP_1) | instskip(SKIP_2) | instid1(VALU_DEP_1)
	v_add_f64_e32 v[10:11], v[10:11], v[13:14]
	v_mad_co_u64_u32 v[12:13], null, s22, 13, v[12:13]
	v_mov_b32_e32 v13, v1
	v_lshlrev_b64_e32 v[13:14], 3, v[12:13]
	v_add_nc_u32_e32 v0, s29, v12
	s_delay_alu instid0(VALU_DEP_2) | instskip(SKIP_1) | instid1(VALU_DEP_3)
	v_add_co_u32 v15, vcc_lo, s4, v13
	s_wait_alu 0xfffd
	v_add_co_ci_u32_e64 v16, null, s5, v14, vcc_lo
	v_add_co_u32 v13, vcc_lo, s6, v13
	s_wait_alu 0xfffd
	v_add_co_ci_u32_e64 v14, null, s7, v14, vcc_lo
	global_load_b64 v[15:16], v[15:16], off
	global_load_b64 v[13:14], v[13:14], off
	s_wait_loadcnt 0x0
	v_add_f64_e64 v[13:14], v[15:16], -v[13:14]
	s_delay_alu instid0(VALU_DEP_1) | instskip(SKIP_1) | instid1(VALU_DEP_1)
	v_add_f64_e32 v[10:11], v[10:11], v[13:14]
	v_lshlrev_b64_e32 v[12:13], 3, v[0:1]
	v_add_co_u32 v14, vcc_lo, s4, v12
	s_wait_alu 0xfffd
	s_delay_alu instid0(VALU_DEP_2)
	v_add_co_ci_u32_e64 v15, null, s5, v13, vcc_lo
	v_add_co_u32 v12, vcc_lo, s6, v12
	s_wait_alu 0xfffd
	v_add_co_ci_u32_e64 v13, null, s7, v13, vcc_lo
	global_load_b64 v[14:15], v[14:15], off
	global_load_b64 v[12:13], v[12:13], off
	s_clause 0x2
	s_load_b256 s[12:19], s[20:21], 0x60
	s_load_b128 s[0:3], s[20:21], 0x80
	s_load_b64 s[20:21], s[20:21], 0x90
	s_wait_loadcnt 0x0
	v_add_f64_e64 v[12:13], v[14:15], -v[12:13]
	s_delay_alu instid0(VALU_DEP_1) | instskip(SKIP_2) | instid1(VALU_DEP_1)
	v_add_f64_e32 v[10:11], v[10:11], v[12:13]
	v_mad_co_u64_u32 v[12:13], null, 0xffffff41, s22, v[0:1]
	v_mov_b32_e32 v13, v1
	v_lshlrev_b64_e32 v[14:15], 3, v[12:13]
	s_delay_alu instid0(VALU_DEP_1) | instskip(SKIP_1) | instid1(VALU_DEP_2)
	v_add_co_u32 v14, vcc_lo, s8, v14
	s_wait_alu 0xfffd
	v_add_co_ci_u32_e64 v15, null, s9, v15, vcc_lo
	v_mul_f64_e32 v[10:11], s[10:11], v[10:11]
	s_wait_kmcnt 0x0
	s_delay_alu instid0(VALU_DEP_1)
	v_mul_f64_e32 v[10:11], s[12:13], v[10:11]
	s_mul_i32 s13, s22, 0x4d
	s_mul_i32 s12, s22, 10
	global_store_b64 v[14:15], v[10:11], off
	v_mad_co_u64_u32 v[10:11], null, s22, 44, v[12:13]
	v_mov_b32_e32 v11, v1
	s_delay_alu instid0(VALU_DEP_1) | instskip(SKIP_1) | instid1(VALU_DEP_2)
	v_lshlrev_b64_e32 v[11:12], 3, v[10:11]
	v_add_nc_u32_e32 v0, s22, v10
	v_add_co_u32 v13, vcc_lo, s4, v11
	s_wait_alu 0xfffd
	s_delay_alu instid0(VALU_DEP_3)
	v_add_co_ci_u32_e64 v14, null, s5, v12, vcc_lo
	v_add_co_u32 v11, vcc_lo, s6, v11
	s_wait_alu 0xfffd
	v_add_co_ci_u32_e64 v12, null, s7, v12, vcc_lo
	global_load_b64 v[13:14], v[13:14], off
	global_load_b64 v[11:12], v[11:12], off
	s_wait_loadcnt 0x0
	v_add_f64_e64 v[11:12], v[13:14], -v[11:12]
	v_lshlrev_b64_e32 v[13:14], 3, v[0:1]
	s_delay_alu instid0(VALU_DEP_1) | instskip(SKIP_1) | instid1(VALU_DEP_2)
	v_add_co_u32 v15, vcc_lo, s4, v13
	s_wait_alu 0xfffd
	v_add_co_ci_u32_e64 v16, null, s5, v14, vcc_lo
	v_add_co_u32 v13, vcc_lo, s6, v13
	s_wait_alu 0xfffd
	v_add_co_ci_u32_e64 v14, null, s7, v14, vcc_lo
	global_load_b64 v[15:16], v[15:16], off
	global_load_b64 v[13:14], v[13:14], off
	s_wait_loadcnt 0x0
	v_add_f64_e64 v[13:14], v[15:16], -v[13:14]
	s_delay_alu instid0(VALU_DEP_1) | instskip(SKIP_2) | instid1(VALU_DEP_1)
	v_add_f64_e32 v[10:11], v[11:12], v[13:14]
	v_mad_co_u64_u32 v[12:13], null, s22, 53, v[0:1]
	v_mov_b32_e32 v13, v1
	v_lshlrev_b64_e32 v[16:17], 3, v[12:13]
	v_add_nc_u32_e32 v0, s23, v12
	s_delay_alu instid0(VALU_DEP_2) | instskip(SKIP_1) | instid1(VALU_DEP_3)
	v_add_co_u32 v14, vcc_lo, s4, v16
	s_wait_alu 0xfffd
	v_add_co_ci_u32_e64 v15, null, s5, v17, vcc_lo
	v_add_co_u32 v16, vcc_lo, s6, v16
	s_wait_alu 0xfffd
	v_add_co_ci_u32_e64 v17, null, s7, v17, vcc_lo
	global_load_b64 v[18:19], v[14:15], off
	v_lshlrev_b64_e32 v[12:13], 3, v[0:1]
	v_add_nc_u32_e32 v0, s23, v0
	global_load_b64 v[20:21], v[16:17], off
	s_wait_loadcnt 0x0
	v_add_f64_e64 v[18:19], v[18:19], -v[20:21]
	s_delay_alu instid0(VALU_DEP_1)
	v_add_f64_e32 v[10:11], v[10:11], v[18:19]
	v_add_co_u32 v18, vcc_lo, s4, v12
	s_wait_alu 0xfffd
	v_add_co_ci_u32_e64 v19, null, s5, v13, vcc_lo
	v_add_co_u32 v20, vcc_lo, s6, v12
	s_wait_alu 0xfffd
	v_add_co_ci_u32_e64 v21, null, s7, v13, vcc_lo
	global_load_b64 v[22:23], v[18:19], off
	global_load_b64 v[12:13], v[20:21], off
	s_wait_loadcnt 0x0
	v_add_f64_e64 v[12:13], v[22:23], -v[12:13]
	s_delay_alu instid0(VALU_DEP_1) | instskip(NEXT) | instid1(VALU_DEP_1)
	v_add_f64_e32 v[10:11], v[10:11], v[12:13]
	v_add_f64_e64 v[6:7], v[10:11], -v[6:7]
	v_lshlrev_b64_e32 v[10:11], 3, v[0:1]
	v_add_nc_u32_e32 v0, s22, v0
	s_delay_alu instid0(VALU_DEP_2) | instskip(SKIP_1) | instid1(VALU_DEP_3)
	v_add_co_u32 v12, vcc_lo, s4, v10
	s_wait_alu 0xfffd
	v_add_co_ci_u32_e64 v13, null, s5, v11, vcc_lo
	v_add_co_u32 v10, vcc_lo, s6, v10
	s_wait_alu 0xfffd
	v_add_co_ci_u32_e64 v11, null, s7, v11, vcc_lo
	global_load_b64 v[12:13], v[12:13], off
	global_load_b64 v[10:11], v[10:11], off
	s_wait_loadcnt 0x0
	v_add_f64_e64 v[10:11], v[12:13], -v[10:11]
	s_delay_alu instid0(VALU_DEP_1) | instskip(SKIP_2) | instid1(VALU_DEP_2)
	v_add_f64_e32 v[6:7], v[6:7], v[10:11]
	v_lshlrev_b64_e32 v[10:11], 3, v[0:1]
	v_add_nc_u32_e32 v0, s22, v0
	v_add_co_u32 v22, vcc_lo, s4, v10
	s_wait_alu 0xfffd
	s_delay_alu instid0(VALU_DEP_3)
	v_add_co_ci_u32_e64 v23, null, s5, v11, vcc_lo
	v_add_co_u32 v24, vcc_lo, s6, v10
	s_wait_alu 0xfffd
	v_add_co_ci_u32_e64 v25, null, s7, v11, vcc_lo
	global_load_b64 v[12:13], v[22:23], off
	global_load_b64 v[10:11], v[24:25], off
	s_wait_loadcnt 0x0
	v_add_f64_e64 v[10:11], v[12:13], -v[10:11]
	s_delay_alu instid0(VALU_DEP_1) | instskip(SKIP_2) | instid1(VALU_DEP_2)
	v_add_f64_e64 v[6:7], v[6:7], -v[10:11]
	v_lshlrev_b64_e32 v[10:11], 3, v[0:1]
	v_add_nc_u32_e32 v0, s22, v0
	v_add_co_u32 v12, vcc_lo, s4, v10
	s_wait_alu 0xfffd
	s_delay_alu instid0(VALU_DEP_3)
	v_add_co_ci_u32_e64 v13, null, s5, v11, vcc_lo
	v_add_co_u32 v10, vcc_lo, s6, v10
	s_wait_alu 0xfffd
	v_add_co_ci_u32_e64 v11, null, s7, v11, vcc_lo
	global_load_b64 v[12:13], v[12:13], off
	global_load_b64 v[10:11], v[10:11], off
	s_wait_loadcnt 0x0
	v_add_f64_e64 v[10:11], v[12:13], -v[10:11]
	v_lshlrev_b64_e32 v[12:13], 3, v[0:1]
	v_add_nc_u32_e32 v0, s22, v0
	s_delay_alu instid0(VALU_DEP_3) | instskip(NEXT) | instid1(VALU_DEP_3)
	v_add_f64_e64 v[6:7], v[6:7], -v[10:11]
	v_add_co_u32 v10, vcc_lo, s4, v12
	s_wait_alu 0xfffd
	s_delay_alu instid0(VALU_DEP_4)
	v_add_co_ci_u32_e64 v11, null, s5, v13, vcc_lo
	v_add_co_u32 v12, vcc_lo, s6, v12
	s_wait_alu 0xfffd
	v_add_co_ci_u32_e64 v13, null, s7, v13, vcc_lo
	global_load_b64 v[26:27], v[10:11], off
	global_load_b64 v[28:29], v[12:13], off
	s_wait_loadcnt 0x0
	v_add_f64_e64 v[26:27], v[26:27], -v[28:29]
	s_delay_alu instid0(VALU_DEP_1) | instskip(SKIP_2) | instid1(VALU_DEP_2)
	v_add_f64_e64 v[6:7], v[6:7], -v[26:27]
	v_lshlrev_b64_e32 v[26:27], 3, v[0:1]
	v_add_nc_u32_e32 v0, s22, v0
	v_add_co_u32 v28, vcc_lo, s4, v26
	s_wait_alu 0xfffd
	s_delay_alu instid0(VALU_DEP_3)
	v_add_co_ci_u32_e64 v29, null, s5, v27, vcc_lo
	v_add_co_u32 v26, vcc_lo, s6, v26
	s_wait_alu 0xfffd
	v_add_co_ci_u32_e64 v27, null, s7, v27, vcc_lo
	global_load_b64 v[28:29], v[28:29], off
	global_load_b64 v[26:27], v[26:27], off
	s_wait_loadcnt 0x0
	v_add_f64_e64 v[26:27], v[28:29], -v[26:27]
	s_delay_alu instid0(VALU_DEP_1) | instskip(SKIP_2) | instid1(VALU_DEP_2)
	v_add_f64_e64 v[6:7], v[6:7], -v[26:27]
	v_lshlrev_b64_e32 v[26:27], 3, v[0:1]
	v_add_nc_u32_e32 v0, s22, v0
	v_add_co_u32 v28, vcc_lo, s4, v26
	s_wait_alu 0xfffd
	s_delay_alu instid0(VALU_DEP_3)
	v_add_co_ci_u32_e64 v29, null, s5, v27, vcc_lo
	v_add_co_u32 v26, vcc_lo, s6, v26
	s_wait_alu 0xfffd
	v_add_co_ci_u32_e64 v27, null, s7, v27, vcc_lo
	global_load_b64 v[28:29], v[28:29], off
	global_load_b64 v[26:27], v[26:27], off
	s_wait_loadcnt 0x0
	v_add_f64_e64 v[26:27], v[28:29], -v[26:27]
	s_delay_alu instid0(VALU_DEP_1) | instskip(SKIP_2) | instid1(VALU_DEP_2)
	v_add_f64_e64 v[6:7], v[6:7], -v[26:27]
	v_lshlrev_b64_e32 v[26:27], 3, v[0:1]
	v_add_nc_u32_e32 v0, s25, v0
	v_add_co_u32 v28, vcc_lo, s4, v26
	s_wait_alu 0xfffd
	s_delay_alu instid0(VALU_DEP_3)
	v_add_co_ci_u32_e64 v29, null, s5, v27, vcc_lo
	v_add_co_u32 v26, vcc_lo, s6, v26
	s_wait_alu 0xfffd
	v_add_co_ci_u32_e64 v27, null, s7, v27, vcc_lo
	global_load_b64 v[28:29], v[28:29], off
	global_load_b64 v[26:27], v[26:27], off
	s_wait_loadcnt 0x0
	v_add_f64_e64 v[26:27], v[28:29], -v[26:27]
	s_delay_alu instid0(VALU_DEP_1) | instskip(SKIP_2) | instid1(VALU_DEP_2)
	v_add_f64_e64 v[6:7], v[6:7], -v[26:27]
	v_lshlrev_b64_e32 v[26:27], 3, v[0:1]
	v_add_nc_u32_e32 v0, s27, v0
	v_add_co_u32 v28, vcc_lo, s4, v26
	s_wait_alu 0xfffd
	s_delay_alu instid0(VALU_DEP_3)
	v_add_co_ci_u32_e64 v29, null, s5, v27, vcc_lo
	v_add_co_u32 v26, vcc_lo, s6, v26
	s_wait_alu 0xfffd
	v_add_co_ci_u32_e64 v27, null, s7, v27, vcc_lo
	global_load_b64 v[28:29], v[28:29], off
	global_load_b64 v[26:27], v[26:27], off
	s_wait_loadcnt 0x0
	v_add_f64_e64 v[26:27], v[28:29], -v[26:27]
	s_delay_alu instid0(VALU_DEP_1) | instskip(SKIP_2) | instid1(VALU_DEP_2)
	v_add_f64_e32 v[6:7], v[6:7], v[26:27]
	v_lshlrev_b64_e32 v[26:27], 3, v[0:1]
	v_add_nc_u32_e32 v0, s22, v0
	v_add_co_u32 v28, vcc_lo, s4, v26
	s_wait_alu 0xfffd
	s_delay_alu instid0(VALU_DEP_3)
	v_add_co_ci_u32_e64 v29, null, s5, v27, vcc_lo
	v_add_co_u32 v26, vcc_lo, s6, v26
	s_wait_alu 0xfffd
	v_add_co_ci_u32_e64 v27, null, s7, v27, vcc_lo
	global_load_b64 v[28:29], v[28:29], off
	global_load_b64 v[26:27], v[26:27], off
	s_wait_loadcnt 0x0
	v_add_f64_e64 v[26:27], v[28:29], -v[26:27]
	s_delay_alu instid0(VALU_DEP_1) | instskip(SKIP_2) | instid1(VALU_DEP_2)
	v_add_f64_e32 v[6:7], v[6:7], v[26:27]
	v_lshlrev_b64_e32 v[26:27], 3, v[0:1]
	v_add_nc_u32_e32 v0, s26, v0
	v_add_co_u32 v28, vcc_lo, s4, v26
	s_wait_alu 0xfffd
	s_delay_alu instid0(VALU_DEP_3)
	v_add_co_ci_u32_e64 v29, null, s5, v27, vcc_lo
	v_add_co_u32 v26, vcc_lo, s6, v26
	s_wait_alu 0xfffd
	v_add_co_ci_u32_e64 v27, null, s7, v27, vcc_lo
	global_load_b64 v[28:29], v[28:29], off
	global_load_b64 v[26:27], v[26:27], off
	s_wait_loadcnt 0x0
	v_add_f64_e64 v[26:27], v[28:29], -v[26:27]
	s_delay_alu instid0(VALU_DEP_1) | instskip(SKIP_1) | instid1(VALU_DEP_1)
	v_add_f64_e32 v[6:7], v[6:7], v[26:27]
	v_lshlrev_b64_e32 v[26:27], 3, v[0:1]
	v_add_co_u32 v28, vcc_lo, s4, v26
	s_wait_alu 0xfffd
	s_delay_alu instid0(VALU_DEP_2)
	v_add_co_ci_u32_e64 v29, null, s5, v27, vcc_lo
	v_add_co_u32 v26, vcc_lo, s6, v26
	s_wait_alu 0xfffd
	v_add_co_ci_u32_e64 v27, null, s7, v27, vcc_lo
	global_load_b64 v[28:29], v[28:29], off
	global_load_b64 v[26:27], v[26:27], off
	s_wait_loadcnt 0x0
	v_add_f64_e64 v[26:27], v[28:29], -v[26:27]
	s_delay_alu instid0(VALU_DEP_1) | instskip(SKIP_2) | instid1(VALU_DEP_1)
	v_add_f64_e32 v[6:7], v[6:7], v[26:27]
	v_mad_co_u64_u32 v[26:27], null, 0xffffff7e, s22, v[0:1]
	v_mov_b32_e32 v27, v1
	v_lshlrev_b64_e32 v[27:28], 3, v[26:27]
	s_wait_alu 0xfffe
	v_add_nc_u32_e32 v0, s13, v26
	s_delay_alu instid0(VALU_DEP_2) | instskip(SKIP_1) | instid1(VALU_DEP_3)
	v_add_co_u32 v27, vcc_lo, s8, v27
	s_wait_alu 0xfffd
	v_add_co_ci_u32_e64 v28, null, s9, v28, vcc_lo
	v_mul_f64_e32 v[6:7], s[10:11], v[6:7]
	s_delay_alu instid0(VALU_DEP_1) | instskip(SKIP_3) | instid1(VALU_DEP_2)
	v_mul_f64_e32 v[6:7], s[14:15], v[6:7]
	global_store_b64 v[27:28], v[6:7], off
	v_lshlrev_b64_e32 v[6:7], 3, v[0:1]
	v_add_nc_u32_e32 v0, s22, v0
	v_add_co_u32 v26, vcc_lo, s4, v6
	s_wait_alu 0xfffd
	s_delay_alu instid0(VALU_DEP_3)
	v_add_co_ci_u32_e64 v27, null, s5, v7, vcc_lo
	v_add_co_u32 v6, vcc_lo, s6, v6
	s_wait_alu 0xfffd
	v_add_co_ci_u32_e64 v7, null, s7, v7, vcc_lo
	global_load_b64 v[26:27], v[26:27], off
	global_load_b64 v[6:7], v[6:7], off
	s_wait_loadcnt 0x0
	v_add_f64_e64 v[6:7], v[26:27], -v[6:7]
	v_lshlrev_b64_e32 v[26:27], 3, v[0:1]
	v_add_nc_u32_e32 v0, s29, v0
	s_delay_alu instid0(VALU_DEP_2) | instskip(SKIP_1) | instid1(VALU_DEP_3)
	v_add_co_u32 v28, vcc_lo, s4, v26
	s_wait_alu 0xfffd
	v_add_co_ci_u32_e64 v29, null, s5, v27, vcc_lo
	v_add_co_u32 v26, vcc_lo, s6, v26
	s_wait_alu 0xfffd
	v_add_co_ci_u32_e64 v27, null, s7, v27, vcc_lo
	global_load_b64 v[28:29], v[28:29], off
	global_load_b64 v[26:27], v[26:27], off
	s_wait_loadcnt 0x0
	v_add_f64_e64 v[26:27], v[28:29], -v[26:27]
	s_delay_alu instid0(VALU_DEP_1) | instskip(SKIP_2) | instid1(VALU_DEP_2)
	v_add_f64_e32 v[6:7], v[6:7], v[26:27]
	v_lshlrev_b64_e32 v[26:27], 3, v[0:1]
	v_add_nc_u32_e32 v0, s12, v0
	v_add_co_u32 v28, vcc_lo, s4, v26
	s_wait_alu 0xfffd
	s_delay_alu instid0(VALU_DEP_3)
	v_add_co_ci_u32_e64 v29, null, s5, v27, vcc_lo
	v_add_co_u32 v26, vcc_lo, s6, v26
	s_wait_alu 0xfffd
	v_add_co_ci_u32_e64 v27, null, s7, v27, vcc_lo
	global_load_b64 v[30:31], v[28:29], off
	global_load_b64 v[32:33], v[26:27], off
	s_wait_loadcnt 0x0
	v_add_f64_e64 v[30:31], v[30:31], -v[32:33]
	s_delay_alu instid0(VALU_DEP_1) | instskip(SKIP_1) | instid1(VALU_DEP_1)
	v_add_f64_e32 v[6:7], v[6:7], v[30:31]
	v_lshlrev_b64_e32 v[30:31], 3, v[0:1]
	v_add_co_u32 v32, vcc_lo, s4, v30
	s_wait_alu 0xfffd
	s_delay_alu instid0(VALU_DEP_2)
	v_add_co_ci_u32_e64 v33, null, s5, v31, vcc_lo
	v_add_co_u32 v30, vcc_lo, s6, v30
	s_wait_alu 0xfffd
	v_add_co_ci_u32_e64 v31, null, s7, v31, vcc_lo
	global_load_b64 v[32:33], v[32:33], off
	global_load_b64 v[30:31], v[30:31], off
	s_wait_loadcnt 0x0
	v_add_f64_e64 v[30:31], v[32:33], -v[30:31]
	s_delay_alu instid0(VALU_DEP_1) | instskip(SKIP_2) | instid1(VALU_DEP_1)
	v_add_f64_e32 v[6:7], v[6:7], v[30:31]
	v_mad_co_u64_u32 v[30:31], null, s22, 27, v[0:1]
	v_mov_b32_e32 v31, v1
	v_lshlrev_b64_e32 v[31:32], 3, v[30:31]
	v_add_nc_u32_e32 v0, s12, v30
	s_mul_i32 s12, s22, 15
	s_delay_alu instid0(VALU_DEP_2) | instskip(SKIP_1) | instid1(VALU_DEP_3)
	v_add_co_u32 v33, vcc_lo, s4, v31
	s_wait_alu 0xfffd
	v_add_co_ci_u32_e64 v34, null, s5, v32, vcc_lo
	v_add_co_u32 v31, vcc_lo, s6, v31
	s_wait_alu 0xfffd
	v_add_co_ci_u32_e64 v32, null, s7, v32, vcc_lo
	global_load_b64 v[33:34], v[33:34], off
	global_load_b64 v[31:32], v[31:32], off
	s_wait_loadcnt 0x0
	v_add_f64_e64 v[31:32], v[33:34], -v[31:32]
	s_delay_alu instid0(VALU_DEP_1) | instskip(SKIP_2) | instid1(VALU_DEP_2)
	v_add_f64_e32 v[6:7], v[6:7], v[31:32]
	v_lshlrev_b64_e32 v[30:31], 3, v[0:1]
	v_add_nc_u32_e32 v0, s22, v0
	v_add_co_u32 v32, vcc_lo, s4, v30
	s_wait_alu 0xfffd
	s_delay_alu instid0(VALU_DEP_3)
	v_add_co_ci_u32_e64 v33, null, s5, v31, vcc_lo
	v_add_co_u32 v30, vcc_lo, s6, v30
	s_wait_alu 0xfffd
	v_add_co_ci_u32_e64 v31, null, s7, v31, vcc_lo
	global_load_b64 v[32:33], v[32:33], off
	global_load_b64 v[30:31], v[30:31], off
	s_wait_loadcnt 0x0
	v_add_f64_e64 v[30:31], v[32:33], -v[30:31]
	s_delay_alu instid0(VALU_DEP_1) | instskip(SKIP_2) | instid1(VALU_DEP_2)
	v_add_f64_e32 v[6:7], v[6:7], v[30:31]
	v_lshlrev_b64_e32 v[30:31], 3, v[0:1]
	v_add_nc_u32_e32 v0, s25, v0
	v_add_co_u32 v32, vcc_lo, s4, v30
	s_wait_alu 0xfffd
	s_delay_alu instid0(VALU_DEP_3)
	;; [unrolled: 15-line block ×3, first 2 shown]
	v_add_co_ci_u32_e64 v33, null, s5, v31, vcc_lo
	v_add_co_u32 v30, vcc_lo, s6, v30
	s_wait_alu 0xfffd
	v_add_co_ci_u32_e64 v31, null, s7, v31, vcc_lo
	global_load_b64 v[32:33], v[32:33], off
	global_load_b64 v[30:31], v[30:31], off
	s_wait_loadcnt 0x0
	v_add_f64_e64 v[30:31], v[32:33], -v[30:31]
	s_delay_alu instid0(VALU_DEP_1) | instskip(SKIP_2) | instid1(VALU_DEP_2)
	v_add_f64_e64 v[6:7], v[6:7], -v[30:31]
	v_lshlrev_b64_e32 v[30:31], 3, v[0:1]
	v_add_nc_u32_e32 v0, s22, v0
	v_add_co_u32 v32, vcc_lo, s4, v30
	s_wait_alu 0xfffd
	s_delay_alu instid0(VALU_DEP_3)
	v_add_co_ci_u32_e64 v33, null, s5, v31, vcc_lo
	v_add_co_u32 v30, vcc_lo, s6, v30
	s_wait_alu 0xfffd
	v_add_co_ci_u32_e64 v31, null, s7, v31, vcc_lo
	global_load_b64 v[32:33], v[32:33], off
	global_load_b64 v[30:31], v[30:31], off
	s_wait_loadcnt 0x0
	v_add_f64_e64 v[30:31], v[32:33], -v[30:31]
	s_delay_alu instid0(VALU_DEP_1) | instskip(SKIP_2) | instid1(VALU_DEP_2)
	v_add_f64_e64 v[6:7], v[6:7], -v[30:31]
	v_lshlrev_b64_e32 v[30:31], 3, v[0:1]
	v_add_nc_u32_e32 v0, s22, v0
	v_add_co_u32 v32, vcc_lo, s4, v30
	s_wait_alu 0xfffd
	s_delay_alu instid0(VALU_DEP_3)
	;; [unrolled: 15-line block ×4, first 2 shown]
	v_add_co_ci_u32_e64 v33, null, s5, v31, vcc_lo
	v_add_co_u32 v30, vcc_lo, s6, v30
	s_wait_alu 0xfffd
	v_add_co_ci_u32_e64 v31, null, s7, v31, vcc_lo
	global_load_b64 v[32:33], v[32:33], off
	global_load_b64 v[30:31], v[30:31], off
	s_wait_loadcnt 0x0
	v_add_f64_e64 v[30:31], v[32:33], -v[30:31]
	s_delay_alu instid0(VALU_DEP_1) | instskip(NEXT) | instid1(VALU_DEP_1)
	v_add_f64_e64 v[6:7], v[6:7], -v[30:31]
	v_add_f64_e64 v[6:7], v[6:7], -v[8:9]
	v_lshlrev_b64_e32 v[8:9], 3, v[0:1]
	v_add_nc_u32_e32 v0, s22, v0
	s_delay_alu instid0(VALU_DEP_2) | instskip(SKIP_1) | instid1(VALU_DEP_3)
	v_add_co_u32 v30, vcc_lo, s4, v8
	s_wait_alu 0xfffd
	v_add_co_ci_u32_e64 v31, null, s5, v9, vcc_lo
	v_add_co_u32 v8, vcc_lo, s6, v8
	s_wait_alu 0xfffd
	v_add_co_ci_u32_e64 v9, null, s7, v9, vcc_lo
	global_load_b64 v[30:31], v[30:31], off
	global_load_b64 v[8:9], v[8:9], off
	s_wait_loadcnt 0x0
	v_add_f64_e64 v[8:9], v[30:31], -v[8:9]
	s_delay_alu instid0(VALU_DEP_1) | instskip(SKIP_2) | instid1(VALU_DEP_2)
	v_add_f64_e64 v[6:7], v[6:7], -v[8:9]
	v_lshlrev_b64_e32 v[8:9], 3, v[0:1]
	v_add_nc_u32_e32 v0, s22, v0
	v_add_co_u32 v30, vcc_lo, s4, v8
	s_wait_alu 0xfffd
	s_delay_alu instid0(VALU_DEP_3)
	v_add_co_ci_u32_e64 v31, null, s5, v9, vcc_lo
	v_add_co_u32 v8, vcc_lo, s6, v8
	s_wait_alu 0xfffd
	v_add_co_ci_u32_e64 v9, null, s7, v9, vcc_lo
	global_load_b64 v[30:31], v[30:31], off
	global_load_b64 v[8:9], v[8:9], off
	s_wait_loadcnt 0x0
	v_add_f64_e64 v[8:9], v[30:31], -v[8:9]
	s_delay_alu instid0(VALU_DEP_1) | instskip(SKIP_2) | instid1(VALU_DEP_2)
	v_add_f64_e64 v[30:31], v[6:7], -v[8:9]
	v_lshlrev_b64_e32 v[8:9], 3, v[0:1]
	v_add_nc_u32_e32 v0, s22, v0
	v_add_co_u32 v6, vcc_lo, s4, v8
	s_wait_alu 0xfffd
	s_delay_alu instid0(VALU_DEP_3)
	v_add_co_ci_u32_e64 v7, null, s5, v9, vcc_lo
	v_add_co_u32 v8, vcc_lo, s6, v8
	s_wait_alu 0xfffd
	v_add_co_ci_u32_e64 v9, null, s7, v9, vcc_lo
	global_load_b64 v[32:33], v[6:7], off
	global_load_b64 v[34:35], v[8:9], off
	s_wait_loadcnt 0x0
	v_add_f64_e64 v[32:33], v[32:33], -v[34:35]
	s_delay_alu instid0(VALU_DEP_1) | instskip(SKIP_2) | instid1(VALU_DEP_2)
	v_add_f64_e64 v[30:31], v[30:31], -v[32:33]
	v_lshlrev_b64_e32 v[32:33], 3, v[0:1]
	v_add_nc_u32_e32 v0, s22, v0
	v_add_co_u32 v34, vcc_lo, s4, v32
	s_wait_alu 0xfffd
	s_delay_alu instid0(VALU_DEP_3)
	v_add_co_ci_u32_e64 v35, null, s5, v33, vcc_lo
	v_add_co_u32 v32, vcc_lo, s6, v32
	s_wait_alu 0xfffd
	v_add_co_ci_u32_e64 v33, null, s7, v33, vcc_lo
	global_load_b64 v[34:35], v[34:35], off
	global_load_b64 v[32:33], v[32:33], off
	s_wait_loadcnt 0x0
	v_add_f64_e64 v[32:33], v[34:35], -v[32:33]
	s_delay_alu instid0(VALU_DEP_1) | instskip(SKIP_2) | instid1(VALU_DEP_2)
	v_add_f64_e64 v[30:31], v[30:31], -v[32:33]
	v_lshlrev_b64_e32 v[32:33], 3, v[0:1]
	v_add_nc_u32_e32 v0, s22, v0
	v_add_co_u32 v34, vcc_lo, s4, v32
	s_wait_alu 0xfffd
	s_delay_alu instid0(VALU_DEP_3)
	v_add_co_ci_u32_e64 v35, null, s5, v33, vcc_lo
	v_add_co_u32 v32, vcc_lo, s6, v32
	s_wait_alu 0xfffd
	v_add_co_ci_u32_e64 v33, null, s7, v33, vcc_lo
	global_load_b64 v[34:35], v[34:35], off
	global_load_b64 v[32:33], v[32:33], off
	s_wait_loadcnt 0x0
	v_add_f64_e64 v[32:33], v[34:35], -v[32:33]
	s_delay_alu instid0(VALU_DEP_1) | instskip(SKIP_2) | instid1(VALU_DEP_2)
	v_add_f64_e64 v[30:31], v[30:31], -v[32:33]
	v_lshlrev_b64_e32 v[32:33], 3, v[0:1]
	v_add_nc_u32_e32 v0, s22, v0
	v_add_co_u32 v34, vcc_lo, s4, v32
	s_wait_alu 0xfffd
	s_delay_alu instid0(VALU_DEP_3)
	v_add_co_ci_u32_e64 v35, null, s5, v33, vcc_lo
	v_add_co_u32 v32, vcc_lo, s6, v32
	s_wait_alu 0xfffd
	v_add_co_ci_u32_e64 v33, null, s7, v33, vcc_lo
	global_load_b64 v[34:35], v[34:35], off
	global_load_b64 v[32:33], v[32:33], off
	s_wait_loadcnt 0x0
	v_add_f64_e64 v[32:33], v[34:35], -v[32:33]
	s_delay_alu instid0(VALU_DEP_1) | instskip(SKIP_2) | instid1(VALU_DEP_2)
	v_add_f64_e64 v[30:31], v[30:31], -v[32:33]
	v_lshlrev_b64_e32 v[32:33], 3, v[0:1]
	v_add_nc_u32_e32 v0, s22, v0
	v_add_co_u32 v34, vcc_lo, s4, v32
	s_wait_alu 0xfffd
	s_delay_alu instid0(VALU_DEP_3)
	v_add_co_ci_u32_e64 v35, null, s5, v33, vcc_lo
	v_add_co_u32 v32, vcc_lo, s6, v32
	s_wait_alu 0xfffd
	v_add_co_ci_u32_e64 v33, null, s7, v33, vcc_lo
	global_load_b64 v[34:35], v[34:35], off
	global_load_b64 v[32:33], v[32:33], off
	s_wait_loadcnt 0x0
	v_add_f64_e64 v[32:33], v[34:35], -v[32:33]
	s_delay_alu instid0(VALU_DEP_1) | instskip(SKIP_2) | instid1(VALU_DEP_2)
	v_add_f64_e64 v[30:31], v[30:31], -v[32:33]
	v_lshlrev_b64_e32 v[32:33], 3, v[0:1]
	v_add_nc_u32_e32 v0, s22, v0
	v_add_co_u32 v34, vcc_lo, s4, v32
	s_wait_alu 0xfffd
	s_delay_alu instid0(VALU_DEP_3)
	v_add_co_ci_u32_e64 v35, null, s5, v33, vcc_lo
	v_add_co_u32 v32, vcc_lo, s6, v32
	s_wait_alu 0xfffd
	v_add_co_ci_u32_e64 v33, null, s7, v33, vcc_lo
	global_load_b64 v[34:35], v[34:35], off
	global_load_b64 v[32:33], v[32:33], off
	s_wait_loadcnt 0x0
	v_add_f64_e64 v[32:33], v[34:35], -v[32:33]
	s_delay_alu instid0(VALU_DEP_1) | instskip(SKIP_2) | instid1(VALU_DEP_2)
	v_add_f64_e64 v[30:31], v[30:31], -v[32:33]
	v_lshlrev_b64_e32 v[32:33], 3, v[0:1]
	v_add_nc_u32_e32 v0, s23, v0
	v_add_co_u32 v34, vcc_lo, s4, v32
	s_wait_alu 0xfffd
	s_delay_alu instid0(VALU_DEP_3)
	v_add_co_ci_u32_e64 v35, null, s5, v33, vcc_lo
	v_add_co_u32 v32, vcc_lo, s6, v32
	s_wait_alu 0xfffd
	v_add_co_ci_u32_e64 v33, null, s7, v33, vcc_lo
	global_load_b64 v[34:35], v[34:35], off
	global_load_b64 v[32:33], v[32:33], off
	s_wait_loadcnt 0x0
	v_add_f64_e64 v[32:33], v[34:35], -v[32:33]
	s_delay_alu instid0(VALU_DEP_1) | instskip(SKIP_2) | instid1(VALU_DEP_2)
	v_add_f64_e64 v[30:31], v[30:31], -v[32:33]
	v_lshlrev_b64_e32 v[32:33], 3, v[0:1]
	v_add_nc_u32_e32 v0, s29, v0
	v_add_co_u32 v34, vcc_lo, s4, v32
	s_wait_alu 0xfffd
	s_delay_alu instid0(VALU_DEP_3)
	v_add_co_ci_u32_e64 v35, null, s5, v33, vcc_lo
	v_add_co_u32 v32, vcc_lo, s6, v32
	s_wait_alu 0xfffd
	v_add_co_ci_u32_e64 v33, null, s7, v33, vcc_lo
	global_load_b64 v[34:35], v[34:35], off
	global_load_b64 v[32:33], v[32:33], off
	s_wait_loadcnt 0x0
	v_add_f64_e64 v[32:33], v[34:35], -v[32:33]
	s_delay_alu instid0(VALU_DEP_1) | instskip(SKIP_2) | instid1(VALU_DEP_2)
	v_add_f64_e32 v[30:31], v[30:31], v[32:33]
	v_lshlrev_b64_e32 v[32:33], 3, v[0:1]
	v_add_nc_u32_e32 v0, s23, v0
	v_add_co_u32 v34, vcc_lo, s4, v32
	s_wait_alu 0xfffd
	s_delay_alu instid0(VALU_DEP_3)
	v_add_co_ci_u32_e64 v35, null, s5, v33, vcc_lo
	v_add_co_u32 v32, vcc_lo, s6, v32
	s_wait_alu 0xfffd
	v_add_co_ci_u32_e64 v33, null, s7, v33, vcc_lo
	global_load_b64 v[34:35], v[34:35], off
	global_load_b64 v[32:33], v[32:33], off
	s_wait_loadcnt 0x0
	v_add_f64_e64 v[32:33], v[34:35], -v[32:33]
	s_delay_alu instid0(VALU_DEP_1) | instskip(SKIP_3) | instid1(VALU_DEP_2)
	v_add_f64_e32 v[30:31], v[30:31], v[32:33]
	v_lshlrev_b64_e32 v[32:33], 3, v[0:1]
	s_wait_alu 0xfffe
	v_add_nc_u32_e32 v0, s12, v0
	v_add_co_u32 v34, vcc_lo, s4, v32
	s_wait_alu 0xfffd
	s_delay_alu instid0(VALU_DEP_3)
	v_add_co_ci_u32_e64 v35, null, s5, v33, vcc_lo
	v_add_co_u32 v32, vcc_lo, s6, v32
	s_wait_alu 0xfffd
	v_add_co_ci_u32_e64 v33, null, s7, v33, vcc_lo
	global_load_b64 v[34:35], v[34:35], off
	global_load_b64 v[32:33], v[32:33], off
	s_wait_loadcnt 0x0
	v_add_f64_e64 v[32:33], v[34:35], -v[32:33]
	s_delay_alu instid0(VALU_DEP_1) | instskip(SKIP_1) | instid1(VALU_DEP_1)
	v_add_f64_e32 v[30:31], v[30:31], v[32:33]
	v_lshlrev_b64_e32 v[32:33], 3, v[0:1]
	v_add_co_u32 v34, vcc_lo, s4, v32
	s_wait_alu 0xfffd
	s_delay_alu instid0(VALU_DEP_2)
	v_add_co_ci_u32_e64 v35, null, s5, v33, vcc_lo
	v_add_co_u32 v32, vcc_lo, s6, v32
	s_wait_alu 0xfffd
	v_add_co_ci_u32_e64 v33, null, s7, v33, vcc_lo
	global_load_b64 v[34:35], v[34:35], off
	global_load_b64 v[32:33], v[32:33], off
	s_wait_loadcnt 0x0
	v_add_f64_e64 v[32:33], v[34:35], -v[32:33]
	s_delay_alu instid0(VALU_DEP_1) | instskip(SKIP_2) | instid1(VALU_DEP_1)
	v_add_f64_e32 v[30:31], v[30:31], v[32:33]
	v_mad_co_u64_u32 v[32:33], null, 0xffffff50, s22, v[0:1]
	v_mov_b32_e32 v33, v1
	v_lshlrev_b64_e32 v[34:35], 3, v[32:33]
	s_delay_alu instid0(VALU_DEP_1) | instskip(SKIP_1) | instid1(VALU_DEP_2)
	v_add_co_u32 v34, vcc_lo, s8, v34
	s_wait_alu 0xfffd
	v_add_co_ci_u32_e64 v35, null, s9, v35, vcc_lo
	v_mul_f64_e32 v[30:31], s[10:11], v[30:31]
	s_delay_alu instid0(VALU_DEP_1) | instskip(SKIP_3) | instid1(VALU_DEP_1)
	v_mul_f64_e32 v[30:31], s[16:17], v[30:31]
	global_store_b64 v[34:35], v[30:31], off
	v_mad_co_u64_u32 v[30:31], null, 0x4e, s22, v[32:33]
	v_mov_b32_e32 v31, v1
	v_lshlrev_b64_e32 v[31:32], 3, v[30:31]
	v_add_nc_u32_e32 v0, s13, v30
	s_delay_alu instid0(VALU_DEP_2) | instskip(SKIP_1) | instid1(VALU_DEP_3)
	v_add_co_u32 v33, vcc_lo, s4, v31
	s_wait_alu 0xfffd
	v_add_co_ci_u32_e64 v34, null, s5, v32, vcc_lo
	v_add_co_u32 v31, vcc_lo, s6, v31
	s_wait_alu 0xfffd
	v_add_co_ci_u32_e64 v32, null, s7, v32, vcc_lo
	global_load_b64 v[33:34], v[33:34], off
	global_load_b64 v[31:32], v[31:32], off
	s_wait_loadcnt 0x0
	v_add_f64_e64 v[31:32], v[33:34], -v[31:32]
	v_lshlrev_b64_e32 v[33:34], 3, v[0:1]
	v_add_nc_u32_e32 v0, s24, v0
	s_delay_alu instid0(VALU_DEP_2) | instskip(SKIP_1) | instid1(VALU_DEP_3)
	v_add_co_u32 v35, vcc_lo, s4, v33
	s_wait_alu 0xfffd
	v_add_co_ci_u32_e64 v36, null, s5, v34, vcc_lo
	v_add_co_u32 v33, vcc_lo, s6, v33
	s_wait_alu 0xfffd
	v_add_co_ci_u32_e64 v34, null, s7, v34, vcc_lo
	global_load_b64 v[35:36], v[35:36], off
	global_load_b64 v[33:34], v[33:34], off
	s_wait_loadcnt 0x0
	v_add_f64_e64 v[33:34], v[35:36], -v[33:34]
	s_delay_alu instid0(VALU_DEP_1) | instskip(SKIP_2) | instid1(VALU_DEP_2)
	v_add_f64_e32 v[30:31], v[31:32], v[33:34]
	v_lshlrev_b64_e32 v[32:33], 3, v[0:1]
	v_add_nc_u32_e32 v0, s29, v0
	v_add_co_u32 v34, vcc_lo, s4, v32
	s_wait_alu 0xfffd
	s_delay_alu instid0(VALU_DEP_3)
	v_add_co_ci_u32_e64 v35, null, s5, v33, vcc_lo
	v_add_co_u32 v32, vcc_lo, s6, v32
	s_wait_alu 0xfffd
	v_add_co_ci_u32_e64 v33, null, s7, v33, vcc_lo
	global_load_b64 v[34:35], v[34:35], off
	global_load_b64 v[32:33], v[32:33], off
	s_wait_loadcnt 0x0
	v_add_f64_e64 v[32:33], v[34:35], -v[32:33]
	s_delay_alu instid0(VALU_DEP_1) | instskip(SKIP_2) | instid1(VALU_DEP_2)
	v_add_f64_e32 v[30:31], v[30:31], v[32:33]
	v_lshlrev_b64_e32 v[32:33], 3, v[0:1]
	v_add_nc_u32_e32 v0, s22, v0
	v_add_co_u32 v34, vcc_lo, s4, v32
	s_wait_alu 0xfffd
	s_delay_alu instid0(VALU_DEP_3)
	;; [unrolled: 15-line block ×4, first 2 shown]
	v_add_co_ci_u32_e64 v35, null, s5, v33, vcc_lo
	v_add_co_u32 v32, vcc_lo, s6, v32
	s_wait_alu 0xfffd
	v_add_co_ci_u32_e64 v33, null, s7, v33, vcc_lo
	global_load_b64 v[34:35], v[34:35], off
	global_load_b64 v[32:33], v[32:33], off
	s_wait_loadcnt 0x0
	v_add_f64_e64 v[32:33], v[34:35], -v[32:33]
	s_delay_alu instid0(VALU_DEP_1) | instskip(SKIP_2) | instid1(VALU_DEP_2)
	v_add_f64_e64 v[30:31], v[30:31], -v[32:33]
	v_lshlrev_b64_e32 v[32:33], 3, v[0:1]
	v_add_nc_u32_e32 v0, s22, v0
	v_add_co_u32 v34, vcc_lo, s4, v32
	s_wait_alu 0xfffd
	s_delay_alu instid0(VALU_DEP_3)
	v_add_co_ci_u32_e64 v35, null, s5, v33, vcc_lo
	v_add_co_u32 v32, vcc_lo, s6, v32
	s_wait_alu 0xfffd
	v_add_co_ci_u32_e64 v33, null, s7, v33, vcc_lo
	global_load_b64 v[34:35], v[34:35], off
	global_load_b64 v[32:33], v[32:33], off
	s_wait_loadcnt 0x0
	v_add_f64_e64 v[32:33], v[34:35], -v[32:33]
	s_delay_alu instid0(VALU_DEP_1) | instskip(SKIP_2) | instid1(VALU_DEP_2)
	v_add_f64_e64 v[30:31], v[30:31], -v[32:33]
	v_lshlrev_b64_e32 v[32:33], 3, v[0:1]
	v_add_nc_u32_e32 v0, s22, v0
	v_add_co_u32 v34, vcc_lo, s4, v32
	s_wait_alu 0xfffd
	s_delay_alu instid0(VALU_DEP_3)
	v_add_co_ci_u32_e64 v35, null, s5, v33, vcc_lo
	v_add_co_u32 v32, vcc_lo, s6, v32
	s_wait_alu 0xfffd
	v_add_co_ci_u32_e64 v33, null, s7, v33, vcc_lo
	global_load_b64 v[34:35], v[34:35], off
	global_load_b64 v[32:33], v[32:33], off
	s_wait_loadcnt 0x0
	v_add_f64_e64 v[32:33], v[34:35], -v[32:33]
	s_delay_alu instid0(VALU_DEP_1) | instskip(SKIP_2) | instid1(VALU_DEP_2)
	v_add_f64_e64 v[30:31], v[30:31], -v[32:33]
	v_lshlrev_b64_e32 v[32:33], 3, v[0:1]
	v_add_nc_u32_e32 v0, s22, v0
	v_add_co_u32 v34, vcc_lo, s4, v32
	s_wait_alu 0xfffd
	s_delay_alu instid0(VALU_DEP_3)
	v_add_co_ci_u32_e64 v35, null, s5, v33, vcc_lo
	v_add_co_u32 v32, vcc_lo, s6, v32
	s_wait_alu 0xfffd
	v_add_co_ci_u32_e64 v33, null, s7, v33, vcc_lo
	global_load_b64 v[34:35], v[34:35], off
	global_load_b64 v[32:33], v[32:33], off
	s_wait_loadcnt 0x0
	v_add_f64_e64 v[32:33], v[34:35], -v[32:33]
	s_delay_alu instid0(VALU_DEP_1) | instskip(SKIP_1) | instid1(VALU_DEP_1)
	v_add_f64_e64 v[30:31], v[30:31], -v[32:33]
	v_lshlrev_b64_e32 v[32:33], 3, v[0:1]
	v_add_co_u32 v34, vcc_lo, s4, v32
	s_wait_alu 0xfffd
	s_delay_alu instid0(VALU_DEP_2)
	v_add_co_ci_u32_e64 v35, null, s5, v33, vcc_lo
	v_add_co_u32 v32, vcc_lo, s6, v32
	s_wait_alu 0xfffd
	v_add_co_ci_u32_e64 v33, null, s7, v33, vcc_lo
	global_load_b64 v[34:35], v[34:35], off
	global_load_b64 v[32:33], v[32:33], off
	s_wait_loadcnt 0x0
	v_add_f64_e64 v[32:33], v[34:35], -v[32:33]
	s_delay_alu instid0(VALU_DEP_1) | instskip(SKIP_2) | instid1(VALU_DEP_1)
	v_add_f64_e64 v[30:31], v[30:31], -v[32:33]
	v_mad_co_u64_u32 v[32:33], null, 0xffffff58, s22, v[0:1]
	v_mov_b32_e32 v33, v1
	v_lshlrev_b64_e32 v[34:35], 3, v[32:33]
	s_delay_alu instid0(VALU_DEP_1) | instskip(SKIP_1) | instid1(VALU_DEP_2)
	v_add_co_u32 v34, vcc_lo, s8, v34
	s_wait_alu 0xfffd
	v_add_co_ci_u32_e64 v35, null, s9, v35, vcc_lo
	v_mul_f64_e32 v[30:31], s[10:11], v[30:31]
	s_delay_alu instid0(VALU_DEP_1) | instskip(SKIP_3) | instid1(VALU_DEP_1)
	v_mul_f64_e32 v[30:31], s[18:19], v[30:31]
	global_store_b64 v[34:35], v[30:31], off
	v_mad_co_u64_u32 v[30:31], null, s22, 23, v[32:33]
	v_mov_b32_e32 v31, v1
	v_lshlrev_b64_e32 v[31:32], 3, v[30:31]
	s_delay_alu instid0(VALU_DEP_1) | instskip(SKIP_1) | instid1(VALU_DEP_2)
	v_add_co_u32 v33, vcc_lo, s4, v31
	s_wait_alu 0xfffd
	v_add_co_ci_u32_e64 v34, null, s5, v32, vcc_lo
	v_add_co_u32 v31, vcc_lo, s6, v31
	s_wait_alu 0xfffd
	v_add_co_ci_u32_e64 v32, null, s7, v32, vcc_lo
	global_load_b64 v[33:34], v[33:34], off
	global_load_b64 v[31:32], v[31:32], off
	;; [unrolled: 1-line block ×4, first 2 shown]
	s_wait_loadcnt 0x2
	v_add_f64_e64 v[31:32], v[33:34], -v[31:32]
	s_wait_loadcnt 0x0
	v_add_f64_e64 v[26:27], v[28:29], -v[26:27]
	s_delay_alu instid0(VALU_DEP_2) | instskip(SKIP_1) | instid1(VALU_DEP_3)
	v_mad_co_u64_u32 v[28:29], null, 0x45, s22, v[30:31]
	v_mov_b32_e32 v29, v1
	v_add_f64_e64 v[26:27], v[31:32], -v[26:27]
	s_delay_alu instid0(VALU_DEP_2) | instskip(SKIP_1) | instid1(VALU_DEP_2)
	v_lshlrev_b64_e32 v[29:30], 3, v[28:29]
	v_add_nc_u32_e32 v0, s22, v28
	v_add_co_u32 v31, vcc_lo, s4, v29
	s_wait_alu 0xfffd
	s_delay_alu instid0(VALU_DEP_3)
	v_add_co_ci_u32_e64 v32, null, s5, v30, vcc_lo
	v_add_co_u32 v29, vcc_lo, s6, v29
	s_wait_alu 0xfffd
	v_add_co_ci_u32_e64 v30, null, s7, v30, vcc_lo
	global_load_b64 v[31:32], v[31:32], off
	global_load_b64 v[29:30], v[29:30], off
	s_wait_loadcnt 0x0
	v_add_f64_e64 v[29:30], v[31:32], -v[29:30]
	s_delay_alu instid0(VALU_DEP_1) | instskip(SKIP_2) | instid1(VALU_DEP_2)
	v_add_f64_e64 v[26:27], v[26:27], -v[29:30]
	v_lshlrev_b64_e32 v[28:29], 3, v[0:1]
	v_add_nc_u32_e32 v0, s22, v0
	v_add_co_u32 v30, vcc_lo, s4, v28
	s_wait_alu 0xfffd
	s_delay_alu instid0(VALU_DEP_3)
	v_add_co_ci_u32_e64 v31, null, s5, v29, vcc_lo
	v_add_co_u32 v28, vcc_lo, s6, v28
	s_wait_alu 0xfffd
	v_add_co_ci_u32_e64 v29, null, s7, v29, vcc_lo
	global_load_b64 v[30:31], v[30:31], off
	global_load_b64 v[28:29], v[28:29], off
	s_wait_loadcnt 0x0
	v_add_f64_e64 v[28:29], v[30:31], -v[28:29]
	s_delay_alu instid0(VALU_DEP_1) | instskip(SKIP_2) | instid1(VALU_DEP_2)
	v_add_f64_e64 v[26:27], v[26:27], -v[28:29]
	v_lshlrev_b64_e32 v[28:29], 3, v[0:1]
	v_add_nc_u32_e32 v0, s23, v0
	v_add_co_u32 v30, vcc_lo, s4, v28
	s_wait_alu 0xfffd
	s_delay_alu instid0(VALU_DEP_3)
	v_add_co_ci_u32_e64 v31, null, s5, v29, vcc_lo
	v_add_co_u32 v28, vcc_lo, s6, v28
	s_wait_alu 0xfffd
	v_add_co_ci_u32_e64 v29, null, s7, v29, vcc_lo
	global_load_b64 v[30:31], v[30:31], off
	global_load_b64 v[28:29], v[28:29], off
	;; [unrolled: 1-line block ×4, first 2 shown]
	s_wait_loadcnt 0x2
	v_add_f64_e64 v[28:29], v[30:31], -v[28:29]
	s_wait_loadcnt 0x0
	v_add_f64_e64 v[14:15], v[14:15], -v[16:17]
	v_lshlrev_b64_e32 v[16:17], 3, v[0:1]
	v_add_nc_u32_e32 v0, s12, v0
	s_delay_alu instid0(VALU_DEP_4) | instskip(NEXT) | instid1(VALU_DEP_1)
	v_add_f64_e64 v[26:27], v[26:27], -v[28:29]
	v_add_f64_e64 v[14:15], v[26:27], -v[14:15]
	s_delay_alu instid0(VALU_DEP_4)
	v_add_co_u32 v26, vcc_lo, s4, v16
	s_wait_alu 0xfffd
	v_add_co_ci_u32_e64 v27, null, s5, v17, vcc_lo
	v_add_co_u32 v16, vcc_lo, s6, v16
	s_wait_alu 0xfffd
	v_add_co_ci_u32_e64 v17, null, s7, v17, vcc_lo
	global_load_b64 v[26:27], v[26:27], off
	global_load_b64 v[16:17], v[16:17], off
	s_wait_loadcnt 0x0
	v_add_f64_e64 v[16:17], v[26:27], -v[16:17]
	s_delay_alu instid0(VALU_DEP_1) | instskip(SKIP_4) | instid1(VALU_DEP_1)
	v_add_f64_e64 v[14:15], v[14:15], -v[16:17]
	global_load_b64 v[16:17], v[18:19], off
	global_load_b64 v[18:19], v[20:21], off
	s_wait_loadcnt 0x0
	v_add_f64_e64 v[16:17], v[16:17], -v[18:19]
	v_add_f64_e64 v[14:15], v[14:15], -v[16:17]
	s_delay_alu instid0(VALU_DEP_1) | instskip(SKIP_4) | instid1(VALU_DEP_1)
	v_add_f64_e64 v[14:15], v[14:15], -v[16:17]
	global_load_b64 v[16:17], v[22:23], off
	global_load_b64 v[18:19], v[24:25], off
	s_wait_loadcnt 0x0
	v_add_f64_e64 v[16:17], v[16:17], -v[18:19]
	v_add_f64_e32 v[14:15], v[14:15], v[16:17]
	v_lshlrev_b64_e32 v[16:17], 3, v[0:1]
	v_add_nc_u32_e32 v0, s23, v0
	s_delay_alu instid0(VALU_DEP_2) | instskip(SKIP_1) | instid1(VALU_DEP_3)
	v_add_co_u32 v18, vcc_lo, s4, v16
	s_wait_alu 0xfffd
	v_add_co_ci_u32_e64 v19, null, s5, v17, vcc_lo
	v_add_co_u32 v16, vcc_lo, s6, v16
	s_wait_alu 0xfffd
	v_add_co_ci_u32_e64 v17, null, s7, v17, vcc_lo
	global_load_b64 v[18:19], v[18:19], off
	global_load_b64 v[16:17], v[16:17], off
	s_wait_loadcnt 0x0
	v_add_f64_e64 v[18:19], v[18:19], -v[16:17]
	v_lshlrev_b64_e32 v[16:17], 3, v[0:1]
	v_add_nc_u32_e32 v0, s23, v0
	s_delay_alu instid0(VALU_DEP_2) | instskip(SKIP_1) | instid1(VALU_DEP_3)
	v_add_co_u32 v20, vcc_lo, s4, v16
	s_wait_alu 0xfffd
	v_add_co_ci_u32_e64 v21, null, s5, v17, vcc_lo
	v_add_co_u32 v16, vcc_lo, s6, v16
	s_wait_alu 0xfffd
	v_add_co_ci_u32_e64 v17, null, s7, v17, vcc_lo
	global_load_b64 v[20:21], v[20:21], off
	global_load_b64 v[16:17], v[16:17], off
	v_add_f64_e32 v[14:15], v[14:15], v[18:19]
	s_wait_loadcnt 0x0
	v_add_f64_e64 v[16:17], v[20:21], -v[16:17]
	s_delay_alu instid0(VALU_DEP_1) | instskip(SKIP_1) | instid1(VALU_DEP_1)
	v_add_f64_e32 v[20:21], v[14:15], v[16:17]
	v_lshlrev_b64_e32 v[14:15], 3, v[0:1]
	v_add_co_u32 v22, vcc_lo, s4, v14
	s_wait_alu 0xfffd
	s_delay_alu instid0(VALU_DEP_2)
	v_add_co_ci_u32_e64 v23, null, s5, v15, vcc_lo
	v_add_co_u32 v14, vcc_lo, s6, v14
	s_wait_alu 0xfffd
	v_add_co_ci_u32_e64 v15, null, s7, v15, vcc_lo
	global_load_b64 v[22:23], v[22:23], off
	global_load_b64 v[14:15], v[14:15], off
	s_wait_loadcnt 0x0
	v_add_f64_e64 v[14:15], v[22:23], -v[14:15]
	v_mad_co_u64_u32 v[22:23], null, 0xffffff8e, s22, v[0:1]
	v_mov_b32_e32 v23, v1
	s_delay_alu instid0(VALU_DEP_1) | instskip(SKIP_1) | instid1(VALU_DEP_2)
	v_lshlrev_b64_e32 v[23:24], 3, v[22:23]
	v_add_nc_u32_e32 v0, s28, v22
	v_add_co_u32 v23, vcc_lo, s8, v23
	s_wait_alu 0xfffd
	s_delay_alu instid0(VALU_DEP_3) | instskip(SKIP_1) | instid1(VALU_DEP_1)
	v_add_co_ci_u32_e64 v24, null, s9, v24, vcc_lo
	v_add_f64_e32 v[20:21], v[20:21], v[14:15]
	v_mul_f64_e32 v[20:21], s[10:11], v[20:21]
	s_delay_alu instid0(VALU_DEP_1) | instskip(SKIP_2) | instid1(VALU_DEP_1)
	v_mul_f64_e32 v[20:21], s[0:1], v[20:21]
	global_store_b64 v[23:24], v[20:21], off
	v_lshlrev_b64_e32 v[20:21], 3, v[0:1]
	v_add_co_u32 v22, vcc_lo, s4, v20
	s_wait_alu 0xfffd
	s_delay_alu instid0(VALU_DEP_2)
	v_add_co_ci_u32_e64 v23, null, s5, v21, vcc_lo
	v_add_co_u32 v20, vcc_lo, s6, v20
	s_wait_alu 0xfffd
	v_add_co_ci_u32_e64 v21, null, s7, v21, vcc_lo
	global_load_b64 v[22:23], v[22:23], off
	global_load_b64 v[20:21], v[20:21], off
	;; [unrolled: 1-line block ×4, first 2 shown]
	s_wait_loadcnt 0x2
	v_add_f64_e64 v[20:21], v[22:23], -v[20:21]
	s_wait_loadcnt 0x0
	v_add_f64_e64 v[2:3], v[2:3], -v[4:5]
	global_load_b64 v[4:5], v[10:11], off
	global_load_b64 v[10:11], v[12:13], off
	v_add_f64_e32 v[2:3], v[20:21], v[2:3]
	s_wait_loadcnt 0x0
	v_add_f64_e64 v[4:5], v[4:5], -v[10:11]
	s_delay_alu instid0(VALU_DEP_1) | instskip(SKIP_2) | instid1(VALU_DEP_1)
	v_add_f64_e32 v[2:3], v[2:3], v[4:5]
	v_mad_co_u64_u32 v[4:5], null, 0x44, s22, v[0:1]
	v_mov_b32_e32 v5, v1
	v_lshlrev_b64_e32 v[10:11], 3, v[4:5]
	v_add_nc_u32_e32 v0, s23, v4
	s_delay_alu instid0(VALU_DEP_2) | instskip(SKIP_1) | instid1(VALU_DEP_3)
	v_add_co_u32 v12, vcc_lo, s4, v10
	s_wait_alu 0xfffd
	v_add_co_ci_u32_e64 v13, null, s5, v11, vcc_lo
	v_add_co_u32 v10, vcc_lo, s6, v10
	s_wait_alu 0xfffd
	v_add_co_ci_u32_e64 v11, null, s7, v11, vcc_lo
	global_load_b64 v[12:13], v[12:13], off
	v_lshlrev_b64_e32 v[4:5], 3, v[0:1]
	v_add_nc_u32_e32 v0, s23, v0
	global_load_b64 v[10:11], v[10:11], off
	s_wait_loadcnt 0x0
	v_add_f64_e64 v[10:11], v[12:13], -v[10:11]
	s_delay_alu instid0(VALU_DEP_1)
	v_add_f64_e32 v[2:3], v[2:3], v[10:11]
	v_add_co_u32 v10, vcc_lo, s4, v4
	s_wait_alu 0xfffd
	v_add_co_ci_u32_e64 v11, null, s5, v5, vcc_lo
	v_add_co_u32 v4, vcc_lo, s6, v4
	s_wait_alu 0xfffd
	v_add_co_ci_u32_e64 v5, null, s7, v5, vcc_lo
	global_load_b64 v[10:11], v[10:11], off
	global_load_b64 v[4:5], v[4:5], off
	s_wait_loadcnt 0x0
	v_add_f64_e64 v[4:5], v[10:11], -v[4:5]
	s_delay_alu instid0(VALU_DEP_1) | instskip(SKIP_2) | instid1(VALU_DEP_2)
	v_add_f64_e64 v[2:3], v[2:3], -v[4:5]
	v_lshlrev_b64_e32 v[4:5], 3, v[0:1]
	v_add_nc_u32_e32 v0, s23, v0
	v_add_co_u32 v10, vcc_lo, s4, v4
	s_wait_alu 0xfffd
	s_delay_alu instid0(VALU_DEP_3)
	v_add_co_ci_u32_e64 v11, null, s5, v5, vcc_lo
	v_add_co_u32 v4, vcc_lo, s6, v4
	s_wait_alu 0xfffd
	v_add_co_ci_u32_e64 v5, null, s7, v5, vcc_lo
	global_load_b64 v[10:11], v[10:11], off
	global_load_b64 v[4:5], v[4:5], off
	v_add_f64_e64 v[2:3], v[2:3], -v[18:19]
	s_wait_loadcnt 0x0
	v_add_f64_e64 v[4:5], v[10:11], -v[4:5]
	s_delay_alu instid0(VALU_DEP_1) | instskip(SKIP_2) | instid1(VALU_DEP_2)
	v_add_f64_e64 v[2:3], v[2:3], -v[4:5]
	v_lshlrev_b64_e32 v[4:5], 3, v[0:1]
	v_add_nc_u32_e32 v0, s24, v0
	v_add_co_u32 v10, vcc_lo, s4, v4
	s_wait_alu 0xfffd
	s_delay_alu instid0(VALU_DEP_3)
	v_add_co_ci_u32_e64 v11, null, s5, v5, vcc_lo
	v_add_co_u32 v4, vcc_lo, s6, v4
	s_wait_alu 0xfffd
	v_add_co_ci_u32_e64 v5, null, s7, v5, vcc_lo
	global_load_b64 v[10:11], v[10:11], off
	global_load_b64 v[4:5], v[4:5], off
	v_add_f64_e64 v[2:3], v[2:3], -v[16:17]
	;; [unrolled: 16-line block ×3, first 2 shown]
	s_wait_loadcnt 0x0
	v_add_f64_e64 v[4:5], v[10:11], -v[4:5]
	s_delay_alu instid0(VALU_DEP_1) | instskip(SKIP_2) | instid1(VALU_DEP_2)
	v_add_f64_e32 v[2:3], v[2:3], v[4:5]
	v_lshlrev_b64_e32 v[4:5], 3, v[0:1]
	v_add_nc_u32_e32 v0, s22, v0
	v_add_co_u32 v10, vcc_lo, s4, v4
	s_wait_alu 0xfffd
	s_delay_alu instid0(VALU_DEP_3)
	v_add_co_ci_u32_e64 v11, null, s5, v5, vcc_lo
	v_add_co_u32 v4, vcc_lo, s6, v4
	s_wait_alu 0xfffd
	v_add_co_ci_u32_e64 v5, null, s7, v5, vcc_lo
	global_load_b64 v[10:11], v[10:11], off
	global_load_b64 v[4:5], v[4:5], off
	s_wait_loadcnt 0x0
	v_add_f64_e64 v[4:5], v[10:11], -v[4:5]
	s_delay_alu instid0(VALU_DEP_1) | instskip(SKIP_2) | instid1(VALU_DEP_2)
	v_add_f64_e32 v[2:3], v[2:3], v[4:5]
	v_lshlrev_b64_e32 v[4:5], 3, v[0:1]
	v_add_nc_u32_e32 v0, s22, v0
	v_add_co_u32 v10, vcc_lo, s4, v4
	s_wait_alu 0xfffd
	s_delay_alu instid0(VALU_DEP_3)
	v_add_co_ci_u32_e64 v11, null, s5, v5, vcc_lo
	v_add_co_u32 v4, vcc_lo, s6, v4
	s_wait_alu 0xfffd
	v_add_co_ci_u32_e64 v5, null, s7, v5, vcc_lo
	global_load_b64 v[10:11], v[10:11], off
	global_load_b64 v[4:5], v[4:5], off
	;; [unrolled: 15-line block ×3, first 2 shown]
	s_wait_loadcnt 0x0
	v_add_f64_e64 v[4:5], v[10:11], -v[4:5]
	s_delay_alu instid0(VALU_DEP_1) | instskip(SKIP_1) | instid1(VALU_DEP_1)
	v_add_f64_e32 v[2:3], v[2:3], v[4:5]
	v_lshlrev_b64_e32 v[4:5], 3, v[0:1]
	v_add_co_u32 v10, vcc_lo, s4, v4
	s_wait_alu 0xfffd
	s_delay_alu instid0(VALU_DEP_2)
	v_add_co_ci_u32_e64 v11, null, s5, v5, vcc_lo
	v_add_co_u32 v4, vcc_lo, s6, v4
	s_wait_alu 0xfffd
	v_add_co_ci_u32_e64 v5, null, s7, v5, vcc_lo
	global_load_b64 v[10:11], v[10:11], off
	global_load_b64 v[4:5], v[4:5], off
	s_wait_loadcnt 0x0
	v_add_f64_e64 v[4:5], v[10:11], -v[4:5]
	s_delay_alu instid0(VALU_DEP_1) | instskip(SKIP_2) | instid1(VALU_DEP_1)
	v_add_f64_e32 v[2:3], v[2:3], v[4:5]
	v_mad_co_u64_u32 v[4:5], null, s22, 40, v[0:1]
	v_mov_b32_e32 v5, v1
	v_lshlrev_b64_e32 v[10:11], 3, v[4:5]
	v_mad_co_u64_u32 v[4:5], null, 0xffffff51, s22, v[4:5]
	v_mov_b32_e32 v5, v1
	s_delay_alu instid0(VALU_DEP_3) | instskip(SKIP_1) | instid1(VALU_DEP_4)
	v_add_co_u32 v12, vcc_lo, s4, v10
	s_wait_alu 0xfffd
	v_add_co_ci_u32_e64 v13, null, s5, v11, vcc_lo
	v_add_co_u32 v10, vcc_lo, s6, v10
	s_wait_alu 0xfffd
	v_add_co_ci_u32_e64 v11, null, s7, v11, vcc_lo
	global_load_b64 v[12:13], v[12:13], off
	global_load_b64 v[10:11], v[10:11], off
	s_wait_loadcnt 0x0
	v_add_f64_e64 v[10:11], v[12:13], -v[10:11]
	s_delay_alu instid0(VALU_DEP_1) | instskip(SKIP_1) | instid1(VALU_DEP_1)
	v_add_f64_e32 v[2:3], v[2:3], v[10:11]
	v_lshlrev_b64_e32 v[10:11], 3, v[4:5]
	v_add_co_u32 v10, vcc_lo, s8, v10
	s_wait_alu 0xfffd
	s_delay_alu instid0(VALU_DEP_2) | instskip(NEXT) | instid1(VALU_DEP_4)
	v_add_co_ci_u32_e64 v11, null, s9, v11, vcc_lo
	v_mul_f64_e32 v[2:3], s[10:11], v[2:3]
	s_delay_alu instid0(VALU_DEP_1) | instskip(SKIP_3) | instid1(VALU_DEP_1)
	v_mul_f64_e32 v[2:3], s[2:3], v[2:3]
	global_store_b64 v[10:11], v[2:3], off
	v_mad_co_u64_u32 v[2:3], null, 0x47, s22, v[4:5]
	v_mov_b32_e32 v3, v1
	v_lshlrev_b64_e32 v[3:4], 3, v[2:3]
	s_delay_alu instid0(VALU_DEP_1) | instskip(SKIP_1) | instid1(VALU_DEP_2)
	v_add_co_u32 v10, vcc_lo, s4, v3
	s_wait_alu 0xfffd
	v_add_co_ci_u32_e64 v11, null, s5, v4, vcc_lo
	v_add_co_u32 v3, vcc_lo, s6, v3
	s_wait_alu 0xfffd
	v_add_co_ci_u32_e64 v4, null, s7, v4, vcc_lo
	global_load_b64 v[10:11], v[10:11], off
	global_load_b64 v[3:4], v[3:4], off
	s_wait_loadcnt 0x0
	v_add_f64_e64 v[4:5], v[10:11], -v[3:4]
	v_mad_co_u64_u32 v[2:3], null, s22, 59, v[2:3]
	v_mov_b32_e32 v3, v1
	s_delay_alu instid0(VALU_DEP_1) | instskip(NEXT) | instid1(VALU_DEP_1)
	v_lshlrev_b64_e32 v[10:11], 3, v[2:3]
	v_add_co_u32 v12, vcc_lo, s4, v10
	s_wait_alu 0xfffd
	s_delay_alu instid0(VALU_DEP_2)
	v_add_co_ci_u32_e64 v13, null, s5, v11, vcc_lo
	v_add_co_u32 v10, vcc_lo, s6, v10
	s_wait_alu 0xfffd
	v_add_co_ci_u32_e64 v11, null, s7, v11, vcc_lo
	global_load_b64 v[12:13], v[12:13], off
	global_load_b64 v[10:11], v[10:11], off
	s_wait_loadcnt 0x0
	v_add_f64_e64 v[10:11], v[12:13], -v[10:11]
	s_delay_alu instid0(VALU_DEP_1) | instskip(SKIP_4) | instid1(VALU_DEP_1)
	v_add_f64_e32 v[3:4], v[4:5], v[10:11]
	global_load_b64 v[5:6], v[6:7], off
	global_load_b64 v[7:8], v[8:9], off
	s_wait_loadcnt 0x0
	v_add_f64_e64 v[5:6], v[5:6], -v[7:8]
	v_add_f64_e32 v[3:4], v[3:4], v[5:6]
	s_delay_alu instid0(VALU_DEP_1) | instskip(SKIP_1) | instid1(VALU_DEP_1)
	v_mad_co_u64_u32 v[5:6], null, s22, 25, v[2:3]
	v_mov_b32_e32 v6, v1
	v_lshlrev_b64_e32 v[6:7], 3, v[5:6]
	s_delay_alu instid0(VALU_DEP_1) | instskip(SKIP_1) | instid1(VALU_DEP_2)
	v_add_co_u32 v8, vcc_lo, s4, v6
	s_wait_alu 0xfffd
	v_add_co_ci_u32_e64 v9, null, s5, v7, vcc_lo
	v_add_co_u32 v6, vcc_lo, s6, v6
	s_wait_alu 0xfffd
	v_add_co_ci_u32_e64 v7, null, s7, v7, vcc_lo
	global_load_b64 v[8:9], v[8:9], off
	global_load_b64 v[6:7], v[6:7], off
	s_wait_loadcnt 0x0
	v_add_f64_e64 v[6:7], v[8:9], -v[6:7]
	s_delay_alu instid0(VALU_DEP_1) | instskip(SKIP_2) | instid1(VALU_DEP_1)
	v_add_f64_e32 v[2:3], v[3:4], v[6:7]
	v_mad_co_u64_u32 v[4:5], null, 0xffffff66, s22, v[5:6]
	v_mov_b32_e32 v5, v1
	v_lshlrev_b64_e32 v[0:1], 3, v[4:5]
	s_delay_alu instid0(VALU_DEP_1) | instskip(SKIP_1) | instid1(VALU_DEP_2)
	v_add_co_u32 v0, vcc_lo, s8, v0
	s_wait_alu 0xfffd
	v_add_co_ci_u32_e64 v1, null, s9, v1, vcc_lo
	v_mul_f64_e32 v[2:3], s[10:11], v[2:3]
	s_delay_alu instid0(VALU_DEP_1)
	v_mul_f64_e32 v[2:3], s[20:21], v[2:3]
	global_store_b64 v[0:1], v[2:3], off
	s_endpgm
	.section	.rodata,"a",@progbits
	.p2align	6, 0x0
	.amdhsa_kernel _Z14rdwdot3_kernelIdEvPKT_S2_PS0_S0_S2_
		.amdhsa_group_segment_fixed_size 0
		.amdhsa_private_segment_fixed_size 0
		.amdhsa_kernarg_size 296
		.amdhsa_user_sgpr_count 2
		.amdhsa_user_sgpr_dispatch_ptr 0
		.amdhsa_user_sgpr_queue_ptr 0
		.amdhsa_user_sgpr_kernarg_segment_ptr 1
		.amdhsa_user_sgpr_dispatch_id 0
		.amdhsa_user_sgpr_private_segment_size 0
		.amdhsa_wavefront_size32 1
		.amdhsa_uses_dynamic_stack 0
		.amdhsa_enable_private_segment 0
		.amdhsa_system_sgpr_workgroup_id_x 1
		.amdhsa_system_sgpr_workgroup_id_y 0
		.amdhsa_system_sgpr_workgroup_id_z 0
		.amdhsa_system_sgpr_workgroup_info 0
		.amdhsa_system_vgpr_workitem_id 0
		.amdhsa_next_free_vgpr 37
		.amdhsa_next_free_sgpr 30
		.amdhsa_reserve_vcc 1
		.amdhsa_float_round_mode_32 0
		.amdhsa_float_round_mode_16_64 0
		.amdhsa_float_denorm_mode_32 3
		.amdhsa_float_denorm_mode_16_64 3
		.amdhsa_fp16_overflow 0
		.amdhsa_workgroup_processor_mode 1
		.amdhsa_memory_ordered 1
		.amdhsa_forward_progress 1
		.amdhsa_inst_pref_size 87
		.amdhsa_round_robin_scheduling 0
		.amdhsa_exception_fp_ieee_invalid_op 0
		.amdhsa_exception_fp_denorm_src 0
		.amdhsa_exception_fp_ieee_div_zero 0
		.amdhsa_exception_fp_ieee_overflow 0
		.amdhsa_exception_fp_ieee_underflow 0
		.amdhsa_exception_fp_ieee_inexact 0
		.amdhsa_exception_int_div_zero 0
	.end_amdhsa_kernel
	.section	.text._Z14rdwdot3_kernelIdEvPKT_S2_PS0_S0_S2_,"axG",@progbits,_Z14rdwdot3_kernelIdEvPKT_S2_PS0_S0_S2_,comdat
.Lfunc_end48:
	.size	_Z14rdwdot3_kernelIdEvPKT_S2_PS0_S0_S2_, .Lfunc_end48-_Z14rdwdot3_kernelIdEvPKT_S2_PS0_S0_S2_
                                        ; -- End function
	.set _Z14rdwdot3_kernelIdEvPKT_S2_PS0_S0_S2_.num_vgpr, 37
	.set _Z14rdwdot3_kernelIdEvPKT_S2_PS0_S0_S2_.num_agpr, 0
	.set _Z14rdwdot3_kernelIdEvPKT_S2_PS0_S0_S2_.numbered_sgpr, 30
	.set _Z14rdwdot3_kernelIdEvPKT_S2_PS0_S0_S2_.num_named_barrier, 0
	.set _Z14rdwdot3_kernelIdEvPKT_S2_PS0_S0_S2_.private_seg_size, 0
	.set _Z14rdwdot3_kernelIdEvPKT_S2_PS0_S0_S2_.uses_vcc, 1
	.set _Z14rdwdot3_kernelIdEvPKT_S2_PS0_S0_S2_.uses_flat_scratch, 0
	.set _Z14rdwdot3_kernelIdEvPKT_S2_PS0_S0_S2_.has_dyn_sized_stack, 0
	.set _Z14rdwdot3_kernelIdEvPKT_S2_PS0_S0_S2_.has_recursion, 0
	.set _Z14rdwdot3_kernelIdEvPKT_S2_PS0_S0_S2_.has_indirect_call, 0
	.section	.AMDGPU.csdata,"",@progbits
; Kernel info:
; codeLenInByte = 11132
; TotalNumSgprs: 32
; NumVgprs: 37
; ScratchSize: 0
; MemoryBound: 0
; FloatMode: 240
; IeeeMode: 1
; LDSByteSize: 0 bytes/workgroup (compile time only)
; SGPRBlocks: 0
; VGPRBlocks: 4
; NumSGPRsForWavesPerEU: 32
; NumVGPRsForWavesPerEU: 37
; Occupancy: 16
; WaveLimiterHint : 0
; COMPUTE_PGM_RSRC2:SCRATCH_EN: 0
; COMPUTE_PGM_RSRC2:USER_SGPR: 2
; COMPUTE_PGM_RSRC2:TRAP_HANDLER: 0
; COMPUTE_PGM_RSRC2:TGID_X_EN: 1
; COMPUTE_PGM_RSRC2:TGID_Y_EN: 0
; COMPUTE_PGM_RSRC2:TGID_Z_EN: 0
; COMPUTE_PGM_RSRC2:TIDIG_COMP_CNT: 0
	.section	.text._Z14rdwdot6_kernelIdEvPKT_S2_PS0_S0_S2_,"axG",@progbits,_Z14rdwdot6_kernelIdEvPKT_S2_PS0_S0_S2_,comdat
	.protected	_Z14rdwdot6_kernelIdEvPKT_S2_PS0_S0_S2_ ; -- Begin function _Z14rdwdot6_kernelIdEvPKT_S2_PS0_S0_S2_
	.globl	_Z14rdwdot6_kernelIdEvPKT_S2_PS0_S0_S2_
	.p2align	8
	.type	_Z14rdwdot6_kernelIdEvPKT_S2_PS0_S0_S2_,@function
_Z14rdwdot6_kernelIdEvPKT_S2_PS0_S0_S2_: ; @_Z14rdwdot6_kernelIdEvPKT_S2_PS0_S0_S2_
; %bb.0:
	s_clause 0x2
	s_load_b32 s11, s[0:1], 0x34
	s_load_b96 s[8:10], s[0:1], 0x20
	s_load_b256 s[0:7], s[0:1], 0x0
	s_wait_kmcnt 0x0
	s_and_b32 s11, s11, 0xffff
	s_delay_alu instid0(SALU_CYCLE_1)
	s_mul_i32 s10, s10, s11
	s_mul_i32 s11, ttmp9, s11
	s_mul_i32 s12, s10, 28
	s_lshl_b32 s13, s10, 2
	v_add3_u32 v0, s12, s11, v0
	v_mov_b32_e32 v1, 0
	s_mul_i32 s11, s10, 5
	s_lshl_b32 s12, s10, 1
	s_mul_i32 s14, s10, 7
	s_delay_alu instid0(VALU_DEP_1) | instskip(SKIP_1) | instid1(VALU_DEP_1)
	v_lshlrev_b64_e32 v[2:3], 3, v[0:1]
	v_add_nc_u32_e32 v0, s10, v0
	v_lshlrev_b64_e32 v[4:5], 3, v[0:1]
	s_delay_alu instid0(VALU_DEP_3) | instskip(NEXT) | instid1(VALU_DEP_1)
	v_add_co_u32 v6, vcc_lo, s0, v2
	v_add_co_ci_u32_e64 v7, null, s1, v3, vcc_lo
	v_add_co_u32 v2, vcc_lo, s2, v2
	s_wait_alu 0xfffd
	v_add_co_ci_u32_e64 v3, null, s3, v3, vcc_lo
	v_add_co_u32 v8, vcc_lo, s0, v4
	s_wait_alu 0xfffd
	;; [unrolled: 3-line block ×3, first 2 shown]
	v_add_co_ci_u32_e64 v5, null, s3, v5, vcc_lo
	global_load_b64 v[6:7], v[6:7], off
	global_load_b64 v[2:3], v[2:3], off
	;; [unrolled: 1-line block ×4, first 2 shown]
	v_add_nc_u32_e32 v0, s10, v0
	s_delay_alu instid0(VALU_DEP_1) | instskip(SKIP_1) | instid1(VALU_DEP_2)
	v_lshlrev_b64_e32 v[10:11], 3, v[0:1]
	v_add_nc_u32_e32 v0, s10, v0
	v_add_co_u32 v12, vcc_lo, s0, v10
	s_wait_alu 0xfffd
	s_delay_alu instid0(VALU_DEP_3)
	v_add_co_ci_u32_e64 v13, null, s1, v11, vcc_lo
	v_add_co_u32 v10, vcc_lo, s2, v10
	s_wait_alu 0xfffd
	v_add_co_ci_u32_e64 v11, null, s3, v11, vcc_lo
	global_load_b64 v[12:13], v[12:13], off
	global_load_b64 v[10:11], v[10:11], off
	v_lshlrev_b64_e32 v[14:15], 3, v[0:1]
	v_add_nc_u32_e32 v0, s10, v0
	s_delay_alu instid0(VALU_DEP_2) | instskip(SKIP_1) | instid1(VALU_DEP_3)
	v_add_co_u32 v16, vcc_lo, s0, v14
	s_wait_alu 0xfffd
	v_add_co_ci_u32_e64 v17, null, s1, v15, vcc_lo
	v_add_co_u32 v14, vcc_lo, s2, v14
	s_wait_alu 0xfffd
	v_add_co_ci_u32_e64 v15, null, s3, v15, vcc_lo
	global_load_b64 v[16:17], v[16:17], off
	global_load_b64 v[14:15], v[14:15], off
	v_lshlrev_b64_e32 v[18:19], 3, v[0:1]
	v_add_nc_u32_e32 v0, s10, v0
	s_delay_alu instid0(VALU_DEP_2) | instskip(SKIP_1) | instid1(VALU_DEP_3)
	v_add_co_u32 v20, vcc_lo, s0, v18
	s_wait_alu 0xfffd
	v_add_co_ci_u32_e64 v21, null, s1, v19, vcc_lo
	v_add_co_u32 v18, vcc_lo, s2, v18
	s_wait_alu 0xfffd
	v_add_co_ci_u32_e64 v19, null, s3, v19, vcc_lo
	global_load_b64 v[20:21], v[20:21], off
	global_load_b64 v[18:19], v[18:19], off
	v_lshlrev_b64_e32 v[22:23], 3, v[0:1]
	s_wait_alu 0xfffe
	v_add_nc_u32_e32 v0, s11, v0
	s_delay_alu instid0(VALU_DEP_2) | instskip(SKIP_1) | instid1(VALU_DEP_3)
	v_add_co_u32 v24, vcc_lo, s0, v22
	s_wait_alu 0xfffd
	v_add_co_ci_u32_e64 v25, null, s1, v23, vcc_lo
	v_add_co_u32 v22, vcc_lo, s2, v22
	s_wait_alu 0xfffd
	v_add_co_ci_u32_e64 v23, null, s3, v23, vcc_lo
	global_load_b64 v[24:25], v[24:25], off
	global_load_b64 v[22:23], v[22:23], off
	v_lshlrev_b64_e32 v[26:27], 3, v[0:1]
	v_add_nc_u32_e32 v0, s10, v0
	s_delay_alu instid0(VALU_DEP_2) | instskip(SKIP_1) | instid1(VALU_DEP_3)
	v_add_co_u32 v28, vcc_lo, s0, v26
	s_wait_alu 0xfffd
	v_add_co_ci_u32_e64 v29, null, s1, v27, vcc_lo
	v_add_co_u32 v26, vcc_lo, s2, v26
	s_wait_alu 0xfffd
	v_add_co_ci_u32_e64 v27, null, s3, v27, vcc_lo
	global_load_b64 v[28:29], v[28:29], off
	global_load_b64 v[26:27], v[26:27], off
	v_lshlrev_b64_e32 v[30:31], 3, v[0:1]
	;; [unrolled: 11-line block ×4, first 2 shown]
	v_add_nc_u32_e32 v0, s12, v0
	s_delay_alu instid0(VALU_DEP_2) | instskip(SKIP_1) | instid1(VALU_DEP_3)
	v_add_co_u32 v40, vcc_lo, s0, v38
	s_wait_alu 0xfffd
	v_add_co_ci_u32_e64 v41, null, s1, v39, vcc_lo
	v_add_co_u32 v38, vcc_lo, s2, v38
	s_wait_alu 0xfffd
	v_add_co_ci_u32_e64 v39, null, s3, v39, vcc_lo
	global_load_b64 v[40:41], v[40:41], off
	global_load_b64 v[38:39], v[38:39], off
	s_wait_loadcnt 0x12
	v_add_f64_e64 v[2:3], v[6:7], -v[2:3]
	v_lshlrev_b64_e32 v[6:7], 3, v[0:1]
	s_wait_loadcnt 0x10
	v_add_f64_e64 v[4:5], v[8:9], -v[4:5]
	v_add_nc_u32_e32 v0, s10, v0
	s_delay_alu instid0(VALU_DEP_3)
	v_add_co_u32 v8, vcc_lo, s0, v6
	s_wait_alu 0xfffd
	v_add_co_ci_u32_e64 v9, null, s1, v7, vcc_lo
	v_add_co_u32 v6, vcc_lo, s2, v6
	s_wait_alu 0xfffd
	v_add_co_ci_u32_e64 v7, null, s3, v7, vcc_lo
	global_load_b64 v[42:43], v[8:9], off
	global_load_b64 v[44:45], v[6:7], off
	v_lshlrev_b64_e32 v[6:7], 3, v[0:1]
	v_add_nc_u32_e32 v0, s10, v0
	s_wait_loadcnt 0x10
	v_add_f64_e64 v[8:9], v[12:13], -v[10:11]
	s_delay_alu instid0(VALU_DEP_3)
	v_add_co_u32 v12, vcc_lo, s0, v6
	s_wait_alu 0xfffd
	v_add_co_ci_u32_e64 v13, null, s1, v7, vcc_lo
	v_add_co_u32 v6, vcc_lo, s2, v6
	s_wait_alu 0xfffd
	v_add_co_ci_u32_e64 v7, null, s3, v7, vcc_lo
	global_load_b64 v[12:13], v[12:13], off
	global_load_b64 v[46:47], v[6:7], off
	v_mad_co_u64_u32 v[48:49], null, s10, 9, v[0:1]
	v_mov_b32_e32 v49, v1
	v_add_f64_e64 v[10:11], -v[2:3], -v[4:5]
	s_wait_loadcnt 0x10
	v_add_f64_e64 v[6:7], v[16:17], -v[14:15]
	v_add_f64_e32 v[2:3], v[2:3], v[4:5]
	s_wait_loadcnt 0xc
	v_add_f64_e64 v[22:23], v[24:25], -v[22:23]
	s_delay_alu instid0(VALU_DEP_4) | instskip(SKIP_3) | instid1(VALU_DEP_3)
	v_add_f64_e64 v[10:11], v[10:11], -v[8:9]
	v_lshlrev_b64_e32 v[8:9], 3, v[0:1]
	v_add_nc_u32_e32 v0, s11, v48
	v_add_f64_e32 v[2:3], v[2:3], v[6:7]
	v_add_co_u32 v14, vcc_lo, s0, v8
	s_wait_alu 0xfffd
	s_delay_alu instid0(VALU_DEP_4)
	v_add_co_ci_u32_e64 v15, null, s1, v9, vcc_lo
	v_add_co_u32 v8, vcc_lo, s2, v8
	s_wait_alu 0xfffd
	v_add_co_ci_u32_e64 v9, null, s3, v9, vcc_lo
	global_load_b64 v[14:15], v[14:15], off
	global_load_b64 v[16:17], v[8:9], off
	v_add_f64_e64 v[8:9], v[20:21], -v[18:19]
	v_lshlrev_b64_e32 v[18:19], 3, v[48:49]
	v_lshlrev_b64_e32 v[24:25], 3, v[0:1]
	s_wait_loadcnt 0xc
	v_add_f64_e64 v[26:27], v[28:29], -v[26:27]
	v_add_nc_u32_e32 v0, s13, v0
	s_delay_alu instid0(VALU_DEP_4)
	v_add_co_u32 v20, vcc_lo, s0, v18
	s_wait_alu 0xfffd
	v_add_co_ci_u32_e64 v21, null, s1, v19, vcc_lo
	v_add_co_u32 v18, vcc_lo, s2, v18
	s_wait_alu 0xfffd
	v_add_co_ci_u32_e64 v19, null, s3, v19, vcc_lo
	global_load_b64 v[20:21], v[20:21], off
	global_load_b64 v[18:19], v[18:19], off
	v_add_co_u32 v48, vcc_lo, s0, v24
	v_add_f64_e64 v[10:11], v[10:11], -v[6:7]
	s_wait_alu 0xfffd
	v_add_co_ci_u32_e64 v49, null, s1, v25, vcc_lo
	v_add_co_u32 v24, vcc_lo, s2, v24
	s_wait_alu 0xfffd
	v_add_co_ci_u32_e64 v25, null, s3, v25, vcc_lo
	global_load_b64 v[48:49], v[48:49], off
	global_load_b64 v[24:25], v[24:25], off
	v_add_f64_e32 v[2:3], v[2:3], v[8:9]
	s_wait_loadcnt 0xa
	v_add_f64_e64 v[38:39], v[40:41], -v[38:39]
	v_add_f64_e64 v[10:11], v[10:11], -v[8:9]
	s_delay_alu instid0(VALU_DEP_1) | instskip(SKIP_2) | instid1(VALU_DEP_2)
	v_add_f64_e32 v[22:23], v[10:11], v[22:23]
	v_lshlrev_b64_e32 v[10:11], 3, v[0:1]
	v_add_nc_u32_e32 v0, s10, v0
	v_add_co_u32 v28, vcc_lo, s0, v10
	s_wait_alu 0xfffd
	s_delay_alu instid0(VALU_DEP_3)
	v_add_co_ci_u32_e64 v29, null, s1, v11, vcc_lo
	v_add_co_u32 v10, vcc_lo, s2, v10
	s_wait_alu 0xfffd
	v_add_co_ci_u32_e64 v11, null, s3, v11, vcc_lo
	global_load_b64 v[28:29], v[28:29], off
	global_load_b64 v[50:51], v[10:11], off
	v_add_f64_e64 v[10:11], v[32:33], -v[30:31]
	v_add_f64_e64 v[32:33], v[36:37], -v[34:35]
	;; [unrolled: 1-line block ×3, first 2 shown]
	v_lshlrev_b64_e32 v[26:27], 3, v[0:1]
	v_add_nc_u32_e32 v0, s13, v0
	s_delay_alu instid0(VALU_DEP_2) | instskip(SKIP_1) | instid1(VALU_DEP_3)
	v_add_co_u32 v30, vcc_lo, s0, v26
	s_wait_alu 0xfffd
	v_add_co_ci_u32_e64 v31, null, s1, v27, vcc_lo
	v_add_co_u32 v26, vcc_lo, s2, v26
	s_wait_alu 0xfffd
	v_add_co_ci_u32_e64 v27, null, s3, v27, vcc_lo
	global_load_b64 v[30:31], v[30:31], off
	global_load_b64 v[26:27], v[26:27], off
	v_lshlrev_b64_e32 v[34:35], 3, v[0:1]
	v_mad_co_u64_u32 v[52:53], null, s10, 18, v[0:1]
	v_mov_b32_e32 v53, v1
	v_add_f64_e64 v[2:3], v[2:3], -v[10:11]
	s_delay_alu instid0(VALU_DEP_4)
	v_add_co_u32 v36, vcc_lo, s0, v34
	s_wait_alu 0xfffd
	v_add_co_ci_u32_e64 v37, null, s1, v35, vcc_lo
	v_add_co_u32 v34, vcc_lo, s2, v34
	s_wait_alu 0xfffd
	v_add_co_ci_u32_e64 v35, null, s3, v35, vcc_lo
	global_load_b64 v[36:37], v[36:37], off
	global_load_b64 v[34:35], v[34:35], off
	v_add_nc_u32_e32 v0, s14, v52
	v_add_f64_e32 v[22:23], v[22:23], v[10:11]
	s_delay_alu instid0(VALU_DEP_1) | instskip(SKIP_1) | instid1(VALU_DEP_4)
	v_add_f64_e32 v[22:23], v[22:23], v[32:33]
	v_lshlrev_b64_e32 v[32:33], 3, v[52:53]
	v_mad_co_u64_u32 v[52:53], null, s10, 13, v[0:1]
	v_mov_b32_e32 v53, v1
	s_delay_alu instid0(VALU_DEP_3) | instskip(SKIP_1) | instid1(VALU_DEP_4)
	v_add_co_u32 v40, vcc_lo, s0, v32
	s_wait_alu 0xfffd
	v_add_co_ci_u32_e64 v41, null, s1, v33, vcc_lo
	v_add_co_u32 v32, vcc_lo, s2, v32
	s_wait_alu 0xfffd
	v_add_co_ci_u32_e64 v33, null, s3, v33, vcc_lo
	global_load_b64 v[40:41], v[40:41], off
	global_load_b64 v[32:33], v[32:33], off
	s_wait_loadcnt 0x10
	v_add_f64_e64 v[42:43], v[42:43], -v[44:45]
	v_add_f64_e32 v[22:23], v[22:23], v[38:39]
	v_lshlrev_b64_e32 v[38:39], 3, v[0:1]
	v_add_nc_u32_e32 v0, s10, v52
	s_delay_alu instid0(VALU_DEP_2) | instskip(SKIP_1) | instid1(VALU_DEP_3)
	v_add_co_u32 v44, vcc_lo, s0, v38
	s_wait_alu 0xfffd
	v_add_co_ci_u32_e64 v45, null, s1, v39, vcc_lo
	v_add_co_u32 v38, vcc_lo, s2, v38
	s_wait_alu 0xfffd
	v_add_co_ci_u32_e64 v39, null, s3, v39, vcc_lo
	global_load_b64 v[44:45], v[44:45], off
	global_load_b64 v[38:39], v[38:39], off
	s_wait_loadcnt 0x10
	v_add_f64_e64 v[12:13], v[12:13], -v[46:47]
	v_add_f64_e32 v[22:23], v[22:23], v[42:43]
	v_lshlrev_b64_e32 v[42:43], 3, v[52:53]
	s_delay_alu instid0(VALU_DEP_1) | instskip(SKIP_1) | instid1(VALU_DEP_2)
	v_add_co_u32 v46, vcc_lo, s0, v42
	s_wait_alu 0xfffd
	v_add_co_ci_u32_e64 v47, null, s1, v43, vcc_lo
	v_add_co_u32 v42, vcc_lo, s2, v42
	s_wait_alu 0xfffd
	v_add_co_ci_u32_e64 v43, null, s3, v43, vcc_lo
	global_load_b64 v[46:47], v[46:47], off
	global_load_b64 v[42:43], v[42:43], off
	s_wait_loadcnt 0x10
	v_add_f64_e64 v[14:15], v[14:15], -v[16:17]
	v_lshlrev_b64_e32 v[16:17], 3, v[0:1]
	v_add_nc_u32_e32 v0, s10, v0
	v_add_f64_e32 v[12:13], v[22:23], v[12:13]
	s_delay_alu instid0(VALU_DEP_3) | instskip(SKIP_1) | instid1(VALU_DEP_4)
	v_add_co_u32 v22, vcc_lo, s0, v16
	s_wait_alu 0xfffd
	v_add_co_ci_u32_e64 v23, null, s1, v17, vcc_lo
	v_add_co_u32 v16, vcc_lo, s2, v16
	s_wait_alu 0xfffd
	v_add_co_ci_u32_e64 v17, null, s3, v17, vcc_lo
	global_load_b64 v[22:23], v[22:23], off
	global_load_b64 v[16:17], v[16:17], off
	s_wait_loadcnt 0x10
	v_add_f64_e64 v[18:19], v[20:21], -v[18:19]
	v_add_f64_e32 v[12:13], v[12:13], v[14:15]
	s_wait_loadcnt 0xe
	v_add_f64_e64 v[14:15], v[48:49], -v[24:25]
	s_delay_alu instid0(VALU_DEP_2) | instskip(SKIP_2) | instid1(VALU_DEP_2)
	v_add_f64_e64 v[12:13], v[12:13], -v[18:19]
	v_lshlrev_b64_e32 v[18:19], 3, v[0:1]
	v_add_nc_u32_e32 v0, s10, v0
	v_add_co_u32 v20, vcc_lo, s0, v18
	s_wait_alu 0xfffd
	s_delay_alu instid0(VALU_DEP_3)
	v_add_co_ci_u32_e64 v21, null, s1, v19, vcc_lo
	v_add_co_u32 v18, vcc_lo, s2, v18
	s_wait_alu 0xfffd
	v_add_co_ci_u32_e64 v19, null, s3, v19, vcc_lo
	global_load_b64 v[20:21], v[20:21], off
	global_load_b64 v[18:19], v[18:19], off
	s_wait_loadcnt 0xe
	v_add_f64_e64 v[24:25], v[28:29], -v[50:51]
	v_add_f64_e32 v[12:13], v[12:13], v[14:15]
	s_wait_loadcnt 0xc
	v_add_f64_e64 v[14:15], v[30:31], -v[26:27]
	s_delay_alu instid0(VALU_DEP_2) | instskip(SKIP_2) | instid1(VALU_DEP_2)
	v_add_f64_e32 v[24:25], v[12:13], v[24:25]
	v_lshlrev_b64_e32 v[12:13], 3, v[0:1]
	v_add_nc_u32_e32 v0, s10, v0
	v_add_co_u32 v26, vcc_lo, s0, v12
	s_wait_alu 0xfffd
	s_delay_alu instid0(VALU_DEP_3)
	v_add_co_ci_u32_e64 v27, null, s1, v13, vcc_lo
	v_add_co_u32 v12, vcc_lo, s2, v12
	s_wait_alu 0xfffd
	v_add_co_ci_u32_e64 v13, null, s3, v13, vcc_lo
	global_load_b64 v[26:27], v[26:27], off
	global_load_b64 v[28:29], v[12:13], off
	s_wait_loadcnt 0xc
	v_add_f64_e64 v[12:13], v[36:37], -v[34:35]
	v_add_f64_e32 v[14:15], v[24:25], v[14:15]
	v_lshlrev_b64_e32 v[24:25], 3, v[0:1]
	v_add_nc_u32_e32 v0, s10, v0
	s_delay_alu instid0(VALU_DEP_2) | instskip(SKIP_1) | instid1(VALU_DEP_3)
	v_add_co_u32 v30, vcc_lo, s0, v24
	s_wait_alu 0xfffd
	v_add_co_ci_u32_e64 v31, null, s1, v25, vcc_lo
	v_add_co_u32 v24, vcc_lo, s2, v24
	s_wait_alu 0xfffd
	v_add_co_ci_u32_e64 v25, null, s3, v25, vcc_lo
	global_load_b64 v[30:31], v[30:31], off
	global_load_b64 v[24:25], v[24:25], off
	v_lshlrev_b64_e32 v[34:35], 3, v[0:1]
	v_add_nc_u32_e32 v0, s13, v0
	s_delay_alu instid0(VALU_DEP_2) | instskip(SKIP_1) | instid1(VALU_DEP_3)
	v_add_co_u32 v36, vcc_lo, s0, v34
	s_wait_alu 0xfffd
	v_add_co_ci_u32_e64 v37, null, s1, v35, vcc_lo
	v_add_co_u32 v34, vcc_lo, s2, v34
	s_wait_alu 0xfffd
	v_add_co_ci_u32_e64 v35, null, s3, v35, vcc_lo
	global_load_b64 v[36:37], v[36:37], off
	global_load_b64 v[34:35], v[34:35], off
	s_wait_loadcnt 0xe
	v_add_f64_e64 v[32:33], v[40:41], -v[32:33]
	v_add_f64_e32 v[14:15], v[14:15], v[12:13]
	s_wait_loadcnt 0xc
	v_add_f64_e64 v[38:39], v[44:45], -v[38:39]
	s_delay_alu instid0(VALU_DEP_2) | instskip(SKIP_2) | instid1(VALU_DEP_2)
	v_add_f64_e32 v[14:15], v[14:15], v[32:33]
	s_wait_loadcnt 0xa
	v_add_f64_e64 v[32:33], v[46:47], -v[42:43]
	v_add_f64_e32 v[14:15], v[14:15], v[38:39]
	v_lshlrev_b64_e32 v[38:39], 3, v[0:1]
	v_add_nc_u32_e32 v0, s12, v0
	s_lshl_b32 s12, s10, 3
	s_delay_alu instid0(VALU_DEP_2) | instskip(SKIP_1) | instid1(VALU_DEP_3)
	v_add_co_u32 v40, vcc_lo, s0, v38
	s_wait_alu 0xfffd
	v_add_co_ci_u32_e64 v41, null, s1, v39, vcc_lo
	v_add_co_u32 v38, vcc_lo, s2, v38
	s_wait_alu 0xfffd
	v_add_co_ci_u32_e64 v39, null, s3, v39, vcc_lo
	global_load_b64 v[40:41], v[40:41], off
	global_load_b64 v[38:39], v[38:39], off
	s_wait_loadcnt 0xa
	v_add_f64_e64 v[16:17], v[22:23], -v[16:17]
	v_lshlrev_b64_e32 v[22:23], 3, v[0:1]
	v_add_nc_u32_e32 v0, s10, v0
	s_delay_alu instid0(VALU_DEP_1)
	v_lshlrev_b64_e32 v[42:43], 3, v[0:1]
	v_mad_co_u64_u32 v[46:47], null, s10, 3, v[0:1]
	v_add_f64_e32 v[14:15], v[14:15], v[32:33]
	v_add_co_u32 v32, vcc_lo, s0, v22
	s_wait_alu 0xfffd
	v_add_co_ci_u32_e64 v33, null, s1, v23, vcc_lo
	v_add_co_u32 v22, vcc_lo, s2, v22
	s_wait_alu 0xfffd
	v_add_co_ci_u32_e64 v23, null, s3, v23, vcc_lo
	global_load_b64 v[32:33], v[32:33], off
	global_load_b64 v[22:23], v[22:23], off
	v_add_co_u32 v44, vcc_lo, s0, v42
	s_wait_alu 0xfffd
	v_add_co_ci_u32_e64 v45, null, s1, v43, vcc_lo
	v_add_co_u32 v42, vcc_lo, s2, v42
	s_wait_alu 0xfffd
	v_add_co_ci_u32_e64 v43, null, s3, v43, vcc_lo
	global_load_b64 v[44:45], v[44:45], off
	global_load_b64 v[42:43], v[42:43], off
	v_dual_mov_b32 v47, v1 :: v_dual_add_nc_u32 v0, s11, v46
	v_add_f64_e32 v[14:15], v[14:15], v[16:17]
	s_wait_loadcnt 0xc
	v_add_f64_e64 v[18:19], v[20:21], -v[18:19]
	s_delay_alu instid0(VALU_DEP_2) | instskip(SKIP_4) | instid1(VALU_DEP_3)
	v_add_f64_e32 v[14:15], v[16:17], v[14:15]
	v_lshlrev_b64_e32 v[16:17], 3, v[46:47]
	v_lshlrev_b64_e32 v[46:47], 3, v[0:1]
	s_wait_alu 0xfffe
	v_add_nc_u32_e32 v0, s12, v0
	v_add_co_u32 v20, vcc_lo, s0, v16
	s_wait_alu 0xfffd
	v_add_co_ci_u32_e64 v21, null, s1, v17, vcc_lo
	v_add_co_u32 v16, vcc_lo, s2, v16
	s_wait_alu 0xfffd
	v_add_co_ci_u32_e64 v17, null, s3, v17, vcc_lo
	global_load_b64 v[20:21], v[20:21], off
	global_load_b64 v[16:17], v[16:17], off
	v_add_co_u32 v48, vcc_lo, s0, v46
	s_wait_alu 0xfffd
	v_add_co_ci_u32_e64 v49, null, s1, v47, vcc_lo
	v_add_co_u32 v46, vcc_lo, s2, v46
	s_wait_alu 0xfffd
	v_add_co_ci_u32_e64 v47, null, s3, v47, vcc_lo
	global_load_b64 v[48:49], v[48:49], off
	global_load_b64 v[46:47], v[46:47], off
	v_add_f64_e32 v[14:15], v[14:15], v[18:19]
	s_wait_loadcnt 0xe
	v_add_f64_e64 v[26:27], v[26:27], -v[28:29]
	s_delay_alu instid0(VALU_DEP_2) | instskip(SKIP_2) | instid1(VALU_DEP_2)
	v_add_f64_e32 v[14:15], v[18:19], v[14:15]
	v_lshlrev_b64_e32 v[18:19], 3, v[0:1]
	v_add_nc_u32_e32 v0, s14, v0
	v_add_co_u32 v28, vcc_lo, s0, v18
	s_wait_alu 0xfffd
	s_delay_alu instid0(VALU_DEP_3)
	v_add_co_ci_u32_e64 v29, null, s1, v19, vcc_lo
	v_add_co_u32 v18, vcc_lo, s2, v18
	s_wait_alu 0xfffd
	v_add_co_ci_u32_e64 v19, null, s3, v19, vcc_lo
	global_load_b64 v[28:29], v[28:29], off
	global_load_b64 v[18:19], v[18:19], off
	v_lshlrev_b64_e32 v[50:51], 3, v[0:1]
	v_add_nc_u32_e32 v0, s13, v0
	s_mul_i32 s13, s10, 10
	s_delay_alu instid0(VALU_DEP_1)
	v_lshlrev_b64_e32 v[52:53], 3, v[0:1]
	v_add_nc_u32_e32 v0, s14, v0
	s_wait_loadcnt 0xe
	v_add_f64_e64 v[24:25], v[30:31], -v[24:25]
	v_add_co_u32 v30, vcc_lo, s0, v50
	s_wait_alu 0xfffd
	v_add_co_ci_u32_e64 v31, null, s1, v51, vcc_lo
	v_add_f64_e32 v[14:15], v[14:15], v[26:27]
	v_lshlrev_b64_e32 v[26:27], 3, v[0:1]
	s_wait_alu 0xfffe
	v_add_nc_u32_e32 v0, s13, v0
	v_add_co_u32 v50, vcc_lo, s2, v50
	s_wait_alu 0xfffd
	v_add_co_ci_u32_e64 v51, null, s3, v51, vcc_lo
	s_delay_alu instid0(VALU_DEP_3)
	v_mad_co_u64_u32 v[54:55], null, s10, 15, v[0:1]
	global_load_b64 v[30:31], v[30:31], off
	global_load_b64 v[50:51], v[50:51], off
	v_lshlrev_b64_e32 v[55:56], 3, v[0:1]
	s_wait_loadcnt 0xe
	v_add_f64_e64 v[34:35], v[36:37], -v[34:35]
	v_add_nc_u32_e32 v0, s13, v54
	s_delay_alu instid0(VALU_DEP_1) | instskip(SKIP_2) | instid1(VALU_DEP_2)
	v_mad_co_u64_u32 v[57:58], null, 0xffffff4e, s10, v[0:1]
	v_mov_b32_e32 v58, v1
	v_lshlrev_b64_e32 v[62:63], 3, v[0:1]
	v_mad_co_u64_u32 v[59:60], null, s10, 33, v[57:58]
	v_mov_b32_e32 v60, v1
	s_delay_alu instid0(VALU_DEP_1)
	v_lshlrev_b64_e32 v[36:37], 3, v[59:60]
	v_add_nc_u32_e32 v0, s12, v59
	v_add_f64_e32 v[14:15], v[14:15], v[24:25]
	v_add_co_u32 v24, vcc_lo, s0, v52
	s_wait_alu 0xfffd
	v_add_co_ci_u32_e64 v25, null, s1, v53, vcc_lo
	v_add_co_u32 v52, vcc_lo, s2, v52
	s_wait_alu 0xfffd
	v_add_co_ci_u32_e64 v53, null, s3, v53, vcc_lo
	;; [unrolled: 3-line block ×4, first 2 shown]
	global_load_b64 v[24:25], v[24:25], off
	global_load_b64 v[52:53], v[52:53], off
	global_load_b64 v[60:61], v[60:61], off
	global_load_b64 v[36:37], v[36:37], off
	v_lshlrev_b64_e32 v[66:67], 3, v[0:1]
	v_add_co_u32 v64, vcc_lo, s0, v26
	s_wait_alu 0xfffd
	v_add_co_ci_u32_e64 v65, null, s1, v27, vcc_lo
	v_add_co_u32 v26, vcc_lo, s2, v26
	s_wait_alu 0xfffd
	v_add_co_ci_u32_e64 v27, null, s3, v27, vcc_lo
	;; [unrolled: 3-line block ×4, first 2 shown]
	global_load_b64 v[64:65], v[64:65], off
	global_load_b64 v[26:27], v[26:27], off
	;; [unrolled: 1-line block ×4, first 2 shown]
	v_mad_co_u64_u32 v[70:71], null, 0x49, s10, v[0:1]
	v_add_f64_e32 v[14:15], v[14:15], v[34:35]
	s_delay_alu instid0(VALU_DEP_2) | instskip(SKIP_2) | instid1(VALU_DEP_3)
	v_dual_mov_b32 v71, v1 :: v_dual_add_nc_u32 v0, s11, v70
	s_wait_loadcnt 0x14
	v_add_f64_e64 v[38:39], v[40:41], -v[38:39]
	v_add_f64_e32 v[14:15], v[34:35], v[14:15]
	v_add_co_u32 v34, vcc_lo, s0, v55
	s_wait_alu 0xfffd
	v_add_co_ci_u32_e64 v35, null, s1, v56, vcc_lo
	v_add_co_u32 v40, vcc_lo, s2, v55
	s_wait_alu 0xfffd
	v_add_co_ci_u32_e64 v41, null, s3, v56, vcc_lo
	global_load_b64 v[34:35], v[34:35], off
	global_load_b64 v[40:41], v[40:41], off
	v_mov_b32_e32 v55, v1
	s_delay_alu instid0(VALU_DEP_1) | instskip(SKIP_2) | instid1(VALU_DEP_2)
	v_lshlrev_b64_e32 v[54:55], 3, v[54:55]
	s_wait_loadcnt 0x14
	v_add_f64_e64 v[22:23], v[32:33], -v[22:23]
	v_add_co_u32 v32, vcc_lo, s0, v54
	s_wait_alu 0xfffd
	s_delay_alu instid0(VALU_DEP_3)
	v_add_co_ci_u32_e64 v33, null, s1, v55, vcc_lo
	v_add_co_u32 v54, vcc_lo, s2, v54
	s_wait_alu 0xfffd
	v_add_co_ci_u32_e64 v55, null, s3, v55, vcc_lo
	v_add_f64_e32 v[14:15], v[14:15], v[38:39]
	v_lshlrev_b64_e32 v[38:39], 3, v[70:71]
	s_wait_loadcnt 0x12
	v_add_f64_e64 v[42:43], v[44:45], -v[42:43]
	v_lshlrev_b64_e32 v[44:45], 3, v[0:1]
	s_delay_alu instid0(VALU_DEP_3)
	v_add_co_u32 v71, vcc_lo, s0, v38
	s_wait_alu 0xfffd
	v_add_co_ci_u32_e64 v72, null, s1, v39, vcc_lo
	v_add_co_u32 v38, vcc_lo, s2, v38
	s_wait_alu 0xfffd
	v_add_co_ci_u32_e64 v39, null, s3, v39, vcc_lo
	global_load_b64 v[32:33], v[32:33], off
	global_load_b64 v[54:55], v[54:55], off
	;; [unrolled: 1-line block ×4, first 2 shown]
	v_add_f64_e32 v[14:15], v[14:15], v[22:23]
	v_add_co_u32 v22, vcc_lo, s0, v62
	s_wait_alu 0xfffd
	v_add_co_ci_u32_e64 v23, null, s1, v63, vcc_lo
	v_add_co_u32 v62, vcc_lo, s2, v62
	s_wait_alu 0xfffd
	v_add_co_ci_u32_e64 v63, null, s3, v63, vcc_lo
	;; [unrolled: 3-line block ×4, first 2 shown]
	global_load_b64 v[22:23], v[22:23], off
	global_load_b64 v[62:63], v[62:63], off
	;; [unrolled: 1-line block ×4, first 2 shown]
	s_load_b128 s[0:3], s[8:9], 0x50
	s_wait_loadcnt 0x18
	v_add_f64_e64 v[16:17], v[20:21], -v[16:17]
	v_add_f64_e32 v[14:15], v[14:15], v[42:43]
	s_wait_loadcnt 0x16
	v_add_f64_e64 v[4:5], v[48:49], -v[46:47]
	s_delay_alu instid0(VALU_DEP_2) | instskip(SKIP_2) | instid1(VALU_DEP_2)
	v_add_f64_e32 v[14:15], v[14:15], v[16:17]
	s_wait_loadcnt 0x14
	v_add_f64_e64 v[6:7], v[28:29], -v[18:19]
	v_add_f64_e32 v[4:5], v[14:15], v[4:5]
	s_wait_loadcnt 0x12
	v_add_f64_e64 v[8:9], v[30:31], -v[50:51]
	s_delay_alu instid0(VALU_DEP_2) | instskip(SKIP_2) | instid1(VALU_DEP_2)
	v_add_f64_e32 v[4:5], v[4:5], v[6:7]
	s_wait_loadcnt 0x10
	v_add_f64_e64 v[6:7], v[24:25], -v[52:53]
	v_add_f64_e32 v[4:5], v[4:5], v[8:9]
	s_wait_loadcnt 0xe
	v_add_f64_e64 v[8:9], v[60:61], -v[36:37]
	s_wait_loadcnt 0xc
	v_add_f64_e64 v[10:11], v[64:65], -v[26:27]
	;; [unrolled: 2-line block ×3, first 2 shown]
	s_delay_alu instid0(VALU_DEP_4) | instskip(NEXT) | instid1(VALU_DEP_4)
	v_add_f64_e32 v[4:5], v[4:5], v[6:7]
	v_add_f64_e32 v[2:3], v[2:3], v[8:9]
	s_wait_loadcnt 0x8
	v_add_f64_e64 v[6:7], v[34:35], -v[40:41]
	s_delay_alu instid0(VALU_DEP_3) | instskip(NEXT) | instid1(VALU_DEP_3)
	v_add_f64_e32 v[4:5], v[4:5], v[10:11]
	v_add_f64_e32 v[2:3], v[2:3], v[14:15]
	s_wait_loadcnt 0x6
	v_add_f64_e64 v[8:9], v[32:33], -v[54:55]
	s_wait_loadcnt 0x4
	v_add_f64_e64 v[10:11], v[71:72], -v[38:39]
	s_delay_alu instid0(VALU_DEP_4) | instskip(NEXT) | instid1(VALU_DEP_4)
	v_add_f64_e32 v[4:5], v[4:5], v[6:7]
	v_add_f64_e64 v[2:3], v[2:3], -v[12:13]
	s_wait_loadcnt 0x2
	v_add_f64_e64 v[6:7], v[22:23], -v[62:63]
	s_wait_loadcnt 0x0
	v_add_f64_e64 v[12:13], v[73:74], -v[44:45]
	s_delay_alu instid0(VALU_DEP_4) | instskip(NEXT) | instid1(VALU_DEP_4)
	v_add_f64_e32 v[4:5], v[4:5], v[8:9]
	v_add_f64_e32 v[2:3], v[2:3], v[10:11]
	s_delay_alu instid0(VALU_DEP_2) | instskip(NEXT) | instid1(VALU_DEP_2)
	v_add_f64_e32 v[4:5], v[4:5], v[6:7]
	v_add_f64_e32 v[2:3], v[2:3], v[12:13]
	v_mad_co_u64_u32 v[6:7], null, 0xffffff8a, s10, v[0:1]
	v_mov_b32_e32 v7, v1
	v_lshlrev_b64_e32 v[0:1], 3, v[57:58]
	s_delay_alu instid0(VALU_DEP_2) | instskip(NEXT) | instid1(VALU_DEP_2)
	v_lshlrev_b64_e32 v[6:7], 3, v[6:7]
	v_add_co_u32 v0, vcc_lo, s4, v0
	s_wait_alu 0xfffd
	s_delay_alu instid0(VALU_DEP_3) | instskip(NEXT) | instid1(VALU_DEP_3)
	v_add_co_ci_u32_e64 v1, null, s5, v1, vcc_lo
	v_add_co_u32 v6, vcc_lo, s4, v6
	s_wait_alu 0xfffd
	v_add_co_ci_u32_e64 v7, null, s5, v7, vcc_lo
	v_mul_f64_e32 v[4:5], s[6:7], v[4:5]
	v_mul_f64_e32 v[2:3], s[6:7], v[2:3]
	s_wait_kmcnt 0x0
	s_delay_alu instid0(VALU_DEP_2) | instskip(NEXT) | instid1(VALU_DEP_2)
	v_mul_f64_e32 v[4:5], s[0:1], v[4:5]
	v_mul_f64_e32 v[2:3], s[2:3], v[2:3]
	s_clause 0x1
	global_store_b64 v[0:1], v[4:5], off
	global_store_b64 v[6:7], v[2:3], off
	s_endpgm
	.section	.rodata,"a",@progbits
	.p2align	6, 0x0
	.amdhsa_kernel _Z14rdwdot6_kernelIdEvPKT_S2_PS0_S0_S2_
		.amdhsa_group_segment_fixed_size 0
		.amdhsa_private_segment_fixed_size 0
		.amdhsa_kernarg_size 296
		.amdhsa_user_sgpr_count 2
		.amdhsa_user_sgpr_dispatch_ptr 0
		.amdhsa_user_sgpr_queue_ptr 0
		.amdhsa_user_sgpr_kernarg_segment_ptr 1
		.amdhsa_user_sgpr_dispatch_id 0
		.amdhsa_user_sgpr_private_segment_size 0
		.amdhsa_wavefront_size32 1
		.amdhsa_uses_dynamic_stack 0
		.amdhsa_enable_private_segment 0
		.amdhsa_system_sgpr_workgroup_id_x 1
		.amdhsa_system_sgpr_workgroup_id_y 0
		.amdhsa_system_sgpr_workgroup_id_z 0
		.amdhsa_system_sgpr_workgroup_info 0
		.amdhsa_system_vgpr_workitem_id 0
		.amdhsa_next_free_vgpr 75
		.amdhsa_next_free_sgpr 15
		.amdhsa_reserve_vcc 1
		.amdhsa_float_round_mode_32 0
		.amdhsa_float_round_mode_16_64 0
		.amdhsa_float_denorm_mode_32 3
		.amdhsa_float_denorm_mode_16_64 3
		.amdhsa_fp16_overflow 0
		.amdhsa_workgroup_processor_mode 1
		.amdhsa_memory_ordered 1
		.amdhsa_forward_progress 1
		.amdhsa_inst_pref_size 34
		.amdhsa_round_robin_scheduling 0
		.amdhsa_exception_fp_ieee_invalid_op 0
		.amdhsa_exception_fp_denorm_src 0
		.amdhsa_exception_fp_ieee_div_zero 0
		.amdhsa_exception_fp_ieee_overflow 0
		.amdhsa_exception_fp_ieee_underflow 0
		.amdhsa_exception_fp_ieee_inexact 0
		.amdhsa_exception_int_div_zero 0
	.end_amdhsa_kernel
	.section	.text._Z14rdwdot6_kernelIdEvPKT_S2_PS0_S0_S2_,"axG",@progbits,_Z14rdwdot6_kernelIdEvPKT_S2_PS0_S0_S2_,comdat
.Lfunc_end49:
	.size	_Z14rdwdot6_kernelIdEvPKT_S2_PS0_S0_S2_, .Lfunc_end49-_Z14rdwdot6_kernelIdEvPKT_S2_PS0_S0_S2_
                                        ; -- End function
	.set _Z14rdwdot6_kernelIdEvPKT_S2_PS0_S0_S2_.num_vgpr, 75
	.set _Z14rdwdot6_kernelIdEvPKT_S2_PS0_S0_S2_.num_agpr, 0
	.set _Z14rdwdot6_kernelIdEvPKT_S2_PS0_S0_S2_.numbered_sgpr, 15
	.set _Z14rdwdot6_kernelIdEvPKT_S2_PS0_S0_S2_.num_named_barrier, 0
	.set _Z14rdwdot6_kernelIdEvPKT_S2_PS0_S0_S2_.private_seg_size, 0
	.set _Z14rdwdot6_kernelIdEvPKT_S2_PS0_S0_S2_.uses_vcc, 1
	.set _Z14rdwdot6_kernelIdEvPKT_S2_PS0_S0_S2_.uses_flat_scratch, 0
	.set _Z14rdwdot6_kernelIdEvPKT_S2_PS0_S0_S2_.has_dyn_sized_stack, 0
	.set _Z14rdwdot6_kernelIdEvPKT_S2_PS0_S0_S2_.has_recursion, 0
	.set _Z14rdwdot6_kernelIdEvPKT_S2_PS0_S0_S2_.has_indirect_call, 0
	.section	.AMDGPU.csdata,"",@progbits
; Kernel info:
; codeLenInByte = 4260
; TotalNumSgprs: 17
; NumVgprs: 75
; ScratchSize: 0
; MemoryBound: 0
; FloatMode: 240
; IeeeMode: 1
; LDSByteSize: 0 bytes/workgroup (compile time only)
; SGPRBlocks: 0
; VGPRBlocks: 9
; NumSGPRsForWavesPerEU: 17
; NumVGPRsForWavesPerEU: 75
; Occupancy: 16
; WaveLimiterHint : 0
; COMPUTE_PGM_RSRC2:SCRATCH_EN: 0
; COMPUTE_PGM_RSRC2:USER_SGPR: 2
; COMPUTE_PGM_RSRC2:TRAP_HANDLER: 0
; COMPUTE_PGM_RSRC2:TGID_X_EN: 1
; COMPUTE_PGM_RSRC2:TGID_Y_EN: 0
; COMPUTE_PGM_RSRC2:TGID_Z_EN: 0
; COMPUTE_PGM_RSRC2:TIDIG_COMP_CNT: 0
	.section	.text._Z14rdwdot7_kernelIdEvPKT_S2_PS0_S0_S2_,"axG",@progbits,_Z14rdwdot7_kernelIdEvPKT_S2_PS0_S0_S2_,comdat
	.protected	_Z14rdwdot7_kernelIdEvPKT_S2_PS0_S0_S2_ ; -- Begin function _Z14rdwdot7_kernelIdEvPKT_S2_PS0_S0_S2_
	.globl	_Z14rdwdot7_kernelIdEvPKT_S2_PS0_S0_S2_
	.p2align	8
	.type	_Z14rdwdot7_kernelIdEvPKT_S2_PS0_S0_S2_,@function
_Z14rdwdot7_kernelIdEvPKT_S2_PS0_S0_S2_: ; @_Z14rdwdot7_kernelIdEvPKT_S2_PS0_S0_S2_
; %bb.0:
	s_clause 0x2
	s_load_b32 s11, s[0:1], 0x34
	s_load_b96 s[8:10], s[0:1], 0x20
	s_load_b256 s[0:7], s[0:1], 0x0
	s_wait_kmcnt 0x0
	s_and_b32 s11, s11, 0xffff
	s_delay_alu instid0(SALU_CYCLE_1)
	s_mul_i32 s10, s10, s11
	s_mul_i32 s11, ttmp9, s11
	s_mul_i32 s12, s10, 47
	s_mul_i32 s13, s10, 7
	v_add3_u32 v0, s12, s11, v0
	v_mov_b32_e32 v1, 0
	s_lshl_b32 s11, s10, 1
	s_mul_i32 s12, s10, 5
	s_lshl_b32 s14, s10, 3
	s_delay_alu instid0(VALU_DEP_1) | instskip(SKIP_1) | instid1(VALU_DEP_1)
	v_lshlrev_b64_e32 v[2:3], 3, v[0:1]
	v_add_nc_u32_e32 v0, s10, v0
	v_mad_co_u64_u32 v[10:11], null, s10, 15, v[0:1]
	v_mov_b32_e32 v11, v1
	v_lshlrev_b64_e32 v[4:5], 3, v[0:1]
	v_add_co_u32 v6, vcc_lo, s0, v2
	s_delay_alu instid0(VALU_DEP_1)
	v_add_co_ci_u32_e64 v7, null, s1, v3, vcc_lo
	v_add_co_u32 v2, vcc_lo, s2, v2
	v_lshlrev_b64_e32 v[11:12], 3, v[10:11]
	s_wait_alu 0xfffd
	v_add_co_ci_u32_e64 v3, null, s3, v3, vcc_lo
	v_add_co_u32 v8, vcc_lo, s0, v4
	s_wait_alu 0xfffd
	v_add_co_ci_u32_e64 v9, null, s1, v5, vcc_lo
	v_add_co_u32 v4, vcc_lo, s2, v4
	;; [unrolled: 3-line block ×4, first 2 shown]
	s_wait_alu 0xfffd
	v_add_co_ci_u32_e64 v12, null, s3, v12, vcc_lo
	global_load_b64 v[6:7], v[6:7], off
	global_load_b64 v[2:3], v[2:3], off
	;; [unrolled: 1-line block ×6, first 2 shown]
	s_wait_loadcnt 0x4
	v_add_f64_e64 v[2:3], v[6:7], -v[2:3]
	s_wait_loadcnt 0x2
	v_add_f64_e64 v[4:5], v[8:9], -v[4:5]
	s_wait_loadcnt 0x0
	v_mad_co_u64_u32 v[15:16], null, s10, 14, v[10:11]
	v_mov_b32_e32 v16, v1
	v_add_f64_e64 v[10:11], v[13:14], -v[11:12]
	s_delay_alu instid0(VALU_DEP_2) | instskip(SKIP_1) | instid1(VALU_DEP_2)
	v_lshlrev_b64_e32 v[16:17], 3, v[15:16]
	v_add_nc_u32_e32 v0, s10, v15
	v_add_co_u32 v18, vcc_lo, s0, v16
	s_wait_alu 0xfffd
	s_delay_alu instid0(VALU_DEP_3)
	v_add_co_ci_u32_e64 v19, null, s1, v17, vcc_lo
	v_add_co_u32 v16, vcc_lo, s2, v16
	s_wait_alu 0xfffd
	v_add_co_ci_u32_e64 v17, null, s3, v17, vcc_lo
	global_load_b64 v[18:19], v[18:19], off
	global_load_b64 v[16:17], v[16:17], off
	v_lshlrev_b64_e32 v[20:21], 3, v[0:1]
	v_add_nc_u32_e32 v0, s10, v0
	s_delay_alu instid0(VALU_DEP_2) | instskip(SKIP_1) | instid1(VALU_DEP_3)
	v_add_co_u32 v22, vcc_lo, s0, v20
	s_wait_alu 0xfffd
	v_add_co_ci_u32_e64 v23, null, s1, v21, vcc_lo
	v_add_co_u32 v20, vcc_lo, s2, v20
	s_wait_alu 0xfffd
	v_add_co_ci_u32_e64 v21, null, s3, v21, vcc_lo
	global_load_b64 v[22:23], v[22:23], off
	global_load_b64 v[20:21], v[20:21], off
	v_lshlrev_b64_e32 v[24:25], 3, v[0:1]
	v_add_nc_u32_e32 v0, s10, v0
	v_add_f64_e32 v[4:5], v[2:3], v[4:5]
	s_delay_alu instid0(VALU_DEP_3) | instskip(SKIP_1) | instid1(VALU_DEP_4)
	v_add_co_u32 v26, vcc_lo, s0, v24
	s_wait_alu 0xfffd
	v_add_co_ci_u32_e64 v27, null, s1, v25, vcc_lo
	v_add_co_u32 v24, vcc_lo, s2, v24
	s_wait_alu 0xfffd
	v_add_co_ci_u32_e64 v25, null, s3, v25, vcc_lo
	global_load_b64 v[26:27], v[26:27], off
	global_load_b64 v[24:25], v[24:25], off
	v_lshlrev_b64_e32 v[28:29], 3, v[0:1]
	v_add_nc_u32_e32 v0, s10, v0
	s_delay_alu instid0(VALU_DEP_2) | instskip(SKIP_1) | instid1(VALU_DEP_3)
	v_add_co_u32 v30, vcc_lo, s0, v28
	s_wait_alu 0xfffd
	v_add_co_ci_u32_e64 v31, null, s1, v29, vcc_lo
	v_add_co_u32 v28, vcc_lo, s2, v28
	s_wait_alu 0xfffd
	v_add_co_ci_u32_e64 v29, null, s3, v29, vcc_lo
	global_load_b64 v[30:31], v[30:31], off
	global_load_b64 v[28:29], v[28:29], off
	v_lshlrev_b64_e32 v[32:33], 3, v[0:1]
	v_add_nc_u32_e32 v0, s10, v0
	s_delay_alu instid0(VALU_DEP_2) | instskip(SKIP_1) | instid1(VALU_DEP_3)
	v_add_co_u32 v34, vcc_lo, s0, v32
	s_wait_alu 0xfffd
	v_add_co_ci_u32_e64 v35, null, s1, v33, vcc_lo
	v_add_co_u32 v32, vcc_lo, s2, v32
	s_wait_alu 0xfffd
	v_add_co_ci_u32_e64 v33, null, s3, v33, vcc_lo
	global_load_b64 v[34:35], v[34:35], off
	global_load_b64 v[32:33], v[32:33], off
	v_lshlrev_b64_e32 v[36:37], 3, v[0:1]
	v_add_nc_u32_e32 v0, s10, v0
	v_add_f64_e32 v[4:5], v[4:5], v[10:11]
	s_delay_alu instid0(VALU_DEP_3) | instskip(SKIP_1) | instid1(VALU_DEP_4)
	v_add_co_u32 v38, vcc_lo, s0, v36
	s_wait_alu 0xfffd
	v_add_co_ci_u32_e64 v39, null, s1, v37, vcc_lo
	v_add_co_u32 v36, vcc_lo, s2, v36
	s_wait_alu 0xfffd
	v_add_co_ci_u32_e64 v37, null, s3, v37, vcc_lo
	global_load_b64 v[38:39], v[38:39], off
	global_load_b64 v[36:37], v[36:37], off
	v_lshlrev_b64_e32 v[40:41], 3, v[0:1]
	v_add_nc_u32_e32 v0, s10, v0
	s_delay_alu instid0(VALU_DEP_2) | instskip(SKIP_1) | instid1(VALU_DEP_3)
	v_add_co_u32 v42, vcc_lo, s0, v40
	s_wait_alu 0xfffd
	v_add_co_ci_u32_e64 v43, null, s1, v41, vcc_lo
	v_add_co_u32 v40, vcc_lo, s2, v40
	s_wait_alu 0xfffd
	v_add_co_ci_u32_e64 v41, null, s3, v41, vcc_lo
	global_load_b64 v[42:43], v[42:43], off
	global_load_b64 v[40:41], v[40:41], off
	v_lshlrev_b64_e32 v[6:7], 3, v[0:1]
	v_add_nc_u32_e32 v0, s10, v0
	s_delay_alu instid0(VALU_DEP_2) | instskip(SKIP_1) | instid1(VALU_DEP_3)
	;; [unrolled: 11-line block ×3, first 2 shown]
	v_add_co_u32 v12, vcc_lo, s0, v2
	s_wait_alu 0xfffd
	v_add_co_ci_u32_e64 v13, null, s1, v3, vcc_lo
	v_add_co_u32 v2, vcc_lo, s2, v2
	s_wait_alu 0xfffd
	v_add_co_ci_u32_e64 v3, null, s3, v3, vcc_lo
	global_load_b64 v[12:13], v[12:13], off
	global_load_b64 v[14:15], v[2:3], off
	v_lshlrev_b64_e32 v[10:11], 3, v[0:1]
	v_add_nc_u32_e32 v0, s10, v0
	s_wait_loadcnt 0x10
	v_add_f64_e64 v[2:3], v[18:19], -v[16:17]
	s_delay_alu instid0(VALU_DEP_3)
	v_add_co_u32 v16, vcc_lo, s0, v10
	s_wait_alu 0xfffd
	v_add_co_ci_u32_e64 v17, null, s1, v11, vcc_lo
	v_add_co_u32 v10, vcc_lo, s2, v10
	s_wait_alu 0xfffd
	v_add_co_ci_u32_e64 v11, null, s3, v11, vcc_lo
	global_load_b64 v[16:17], v[16:17], off
	global_load_b64 v[10:11], v[10:11], off
	s_wait_loadcnt 0x10
	v_add_f64_e64 v[18:19], v[22:23], -v[20:21]
	v_lshlrev_b64_e32 v[20:21], 3, v[0:1]
	v_add_nc_u32_e32 v0, s10, v0
	s_delay_alu instid0(VALU_DEP_2) | instskip(SKIP_1) | instid1(VALU_DEP_3)
	v_add_co_u32 v22, vcc_lo, s0, v20
	s_wait_alu 0xfffd
	v_add_co_ci_u32_e64 v23, null, s1, v21, vcc_lo
	v_add_co_u32 v20, vcc_lo, s2, v20
	s_wait_alu 0xfffd
	v_add_co_ci_u32_e64 v21, null, s3, v21, vcc_lo
	global_load_b64 v[22:23], v[22:23], off
	global_load_b64 v[20:21], v[20:21], off
	s_wait_loadcnt 0x10
	v_add_f64_e64 v[24:25], v[26:27], -v[24:25]
	v_add_f64_e64 v[4:5], v[4:5], -v[2:3]
	s_wait_loadcnt 0xe
	v_add_f64_e64 v[28:29], v[30:31], -v[28:29]
	s_wait_loadcnt 0xc
	v_add_f64_e64 v[32:33], v[34:35], -v[32:33]
	s_delay_alu instid0(VALU_DEP_3) | instskip(SKIP_2) | instid1(VALU_DEP_2)
	v_add_f64_e64 v[4:5], v[4:5], -v[18:19]
	v_lshlrev_b64_e32 v[18:19], 3, v[0:1]
	v_add_nc_u32_e32 v0, s10, v0
	v_add_co_u32 v26, vcc_lo, s0, v18
	s_wait_alu 0xfffd
	s_delay_alu instid0(VALU_DEP_3)
	v_add_co_ci_u32_e64 v27, null, s1, v19, vcc_lo
	v_add_co_u32 v18, vcc_lo, s2, v18
	s_wait_alu 0xfffd
	v_add_co_ci_u32_e64 v19, null, s3, v19, vcc_lo
	global_load_b64 v[26:27], v[26:27], off
	global_load_b64 v[18:19], v[18:19], off
	s_wait_loadcnt 0xc
	v_add_f64_e64 v[36:37], v[38:39], -v[36:37]
	v_add_f64_e64 v[4:5], v[4:5], -v[24:25]
	v_lshlrev_b64_e32 v[24:25], 3, v[0:1]
	v_add_nc_u32_e32 v0, s10, v0
	s_wait_loadcnt 0x8
	v_add_f64_e64 v[8:9], v[8:9], -v[6:7]
	s_delay_alu instid0(VALU_DEP_3)
	v_add_co_u32 v30, vcc_lo, s0, v24
	s_wait_alu 0xfffd
	v_add_co_ci_u32_e64 v31, null, s1, v25, vcc_lo
	v_add_co_u32 v24, vcc_lo, s2, v24
	s_wait_alu 0xfffd
	v_add_co_ci_u32_e64 v25, null, s3, v25, vcc_lo
	global_load_b64 v[30:31], v[30:31], off
	global_load_b64 v[24:25], v[24:25], off
	s_wait_loadcnt 0x8
	v_add_f64_e64 v[6:7], v[12:13], -v[14:15]
	v_add_f64_e64 v[4:5], v[4:5], -v[28:29]
	v_lshlrev_b64_e32 v[28:29], 3, v[0:1]
	v_add_nc_u32_e32 v0, s10, v0
	s_delay_alu instid0(VALU_DEP_2) | instskip(SKIP_1) | instid1(VALU_DEP_3)
	v_add_co_u32 v34, vcc_lo, s0, v28
	s_wait_alu 0xfffd
	v_add_co_ci_u32_e64 v35, null, s1, v29, vcc_lo
	v_add_co_u32 v28, vcc_lo, s2, v28
	s_wait_alu 0xfffd
	v_add_co_ci_u32_e64 v29, null, s3, v29, vcc_lo
	global_load_b64 v[34:35], v[34:35], off
	global_load_b64 v[28:29], v[28:29], off
	v_add_f64_e64 v[32:33], v[4:5], -v[32:33]
	v_lshlrev_b64_e32 v[4:5], 3, v[0:1]
	v_add_nc_u32_e32 v0, s10, v0
	s_delay_alu instid0(VALU_DEP_2) | instskip(SKIP_1) | instid1(VALU_DEP_3)
	v_add_co_u32 v38, vcc_lo, s0, v4
	s_wait_alu 0xfffd
	v_add_co_ci_u32_e64 v39, null, s1, v5, vcc_lo
	v_add_co_u32 v4, vcc_lo, s2, v4
	s_wait_alu 0xfffd
	v_add_co_ci_u32_e64 v5, null, s3, v5, vcc_lo
	global_load_b64 v[38:39], v[38:39], off
	global_load_b64 v[44:45], v[4:5], off
	v_add_f64_e64 v[4:5], v[42:43], -v[40:41]
	v_add_f64_e64 v[32:33], v[32:33], -v[36:37]
	v_lshlrev_b64_e32 v[36:37], 3, v[0:1]
	v_add_nc_u32_e32 v0, s10, v0
	s_delay_alu instid0(VALU_DEP_2) | instskip(SKIP_1) | instid1(VALU_DEP_3)
	v_add_co_u32 v40, vcc_lo, s0, v36
	s_wait_alu 0xfffd
	v_add_co_ci_u32_e64 v41, null, s1, v37, vcc_lo
	v_add_co_u32 v36, vcc_lo, s2, v36
	s_wait_alu 0xfffd
	v_add_co_ci_u32_e64 v37, null, s3, v37, vcc_lo
	global_load_b64 v[40:41], v[40:41], off
	global_load_b64 v[36:37], v[36:37], off
	v_lshlrev_b64_e32 v[12:13], 3, v[0:1]
	v_add_nc_u32_e32 v0, s10, v0
	v_add_f64_e32 v[2:3], v[2:3], v[4:5]
	s_delay_alu instid0(VALU_DEP_3) | instskip(SKIP_1) | instid1(VALU_DEP_4)
	v_add_co_u32 v14, vcc_lo, s0, v12
	s_wait_alu 0xfffd
	v_add_co_ci_u32_e64 v15, null, s1, v13, vcc_lo
	v_add_co_u32 v12, vcc_lo, s2, v12
	s_wait_alu 0xfffd
	v_add_co_ci_u32_e64 v13, null, s3, v13, vcc_lo
	global_load_b64 v[14:15], v[14:15], off
	global_load_b64 v[12:13], v[12:13], off
	v_add_f64_e64 v[32:33], v[32:33], -v[4:5]
	v_add_f64_e32 v[2:3], v[2:3], v[6:7]
	s_delay_alu instid0(VALU_DEP_2) | instskip(SKIP_2) | instid1(VALU_DEP_2)
	v_add_f64_e64 v[8:9], v[32:33], -v[8:9]
	s_wait_loadcnt 0xe
	v_add_f64_e64 v[10:11], v[16:17], -v[10:11]
	v_add_f64_e64 v[16:17], v[8:9], -v[6:7]
	s_wait_loadcnt 0xc
	v_add_f64_e64 v[8:9], v[22:23], -v[20:21]
	s_delay_alu instid0(VALU_DEP_2) | instskip(SKIP_3) | instid1(VALU_DEP_2)
	v_add_f64_e64 v[10:11], v[16:17], -v[10:11]
	v_lshlrev_b64_e32 v[16:17], 3, v[0:1]
	s_wait_alu 0xfffe
	v_add_nc_u32_e32 v0, s11, v0
	v_add_co_u32 v20, vcc_lo, s0, v16
	s_wait_alu 0xfffd
	s_delay_alu instid0(VALU_DEP_3)
	v_add_co_ci_u32_e64 v21, null, s1, v17, vcc_lo
	v_add_co_u32 v16, vcc_lo, s2, v16
	s_wait_alu 0xfffd
	v_add_co_ci_u32_e64 v17, null, s3, v17, vcc_lo
	global_load_b64 v[20:21], v[20:21], off
	global_load_b64 v[16:17], v[16:17], off
	v_add_f64_e32 v[2:3], v[2:3], v[8:9]
	s_wait_loadcnt 0xc
	v_add_f64_e64 v[18:19], v[26:27], -v[18:19]
	v_add_f64_e64 v[22:23], v[10:11], -v[8:9]
	v_lshlrev_b64_e32 v[10:11], 3, v[0:1]
	v_add_nc_u32_e32 v0, s12, v0
	s_delay_alu instid0(VALU_DEP_2) | instskip(SKIP_1) | instid1(VALU_DEP_3)
	v_add_co_u32 v26, vcc_lo, s0, v10
	s_wait_alu 0xfffd
	v_add_co_ci_u32_e64 v27, null, s1, v11, vcc_lo
	v_add_co_u32 v10, vcc_lo, s2, v10
	s_wait_alu 0xfffd
	v_add_co_ci_u32_e64 v11, null, s3, v11, vcc_lo
	global_load_b64 v[26:27], v[26:27], off
	global_load_b64 v[32:33], v[10:11], off
	s_wait_loadcnt 0xc
	v_add_f64_e64 v[10:11], v[30:31], -v[24:25]
	v_add_f64_e64 v[18:19], v[22:23], -v[18:19]
	v_lshlrev_b64_e32 v[22:23], 3, v[0:1]
	v_add_nc_u32_e32 v0, s10, v0
	s_delay_alu instid0(VALU_DEP_2) | instskip(SKIP_1) | instid1(VALU_DEP_3)
	v_add_co_u32 v24, vcc_lo, s0, v22
	s_wait_alu 0xfffd
	v_add_co_ci_u32_e64 v25, null, s1, v23, vcc_lo
	v_add_co_u32 v22, vcc_lo, s2, v22
	s_wait_alu 0xfffd
	v_add_co_ci_u32_e64 v23, null, s3, v23, vcc_lo
	global_load_b64 v[24:25], v[24:25], off
	global_load_b64 v[22:23], v[22:23], off
	v_lshlrev_b64_e32 v[30:31], 3, v[0:1]
	v_add_nc_u32_e32 v0, s10, v0
	s_wait_loadcnt 0xc
	v_add_f64_e64 v[28:29], v[34:35], -v[28:29]
	s_delay_alu instid0(VALU_DEP_3)
	v_add_co_u32 v34, vcc_lo, s0, v30
	s_wait_alu 0xfffd
	v_add_co_ci_u32_e64 v35, null, s1, v31, vcc_lo
	v_add_f64_e64 v[18:19], v[18:19], -v[10:11]
	v_add_co_u32 v30, vcc_lo, s2, v30
	s_wait_alu 0xfffd
	v_add_co_ci_u32_e64 v31, null, s3, v31, vcc_lo
	global_load_b64 v[34:35], v[34:35], off
	global_load_b64 v[30:31], v[30:31], off
	v_add_f64_e32 v[2:3], v[2:3], v[10:11]
	s_wait_loadcnt 0xc
	v_add_f64_e64 v[38:39], v[38:39], -v[44:45]
	v_add_f64_e64 v[18:19], v[18:19], -v[28:29]
	v_lshlrev_b64_e32 v[28:29], 3, v[0:1]
	v_add_nc_u32_e32 v0, s11, v0
	s_delay_alu instid0(VALU_DEP_2) | instskip(SKIP_1) | instid1(VALU_DEP_3)
	v_add_co_u32 v42, vcc_lo, s0, v28
	s_wait_alu 0xfffd
	v_add_co_ci_u32_e64 v43, null, s1, v29, vcc_lo
	v_add_co_u32 v28, vcc_lo, s2, v28
	s_wait_alu 0xfffd
	v_add_co_ci_u32_e64 v29, null, s3, v29, vcc_lo
	global_load_b64 v[42:43], v[42:43], off
	global_load_b64 v[28:29], v[28:29], off
	s_wait_loadcnt 0xc
	v_add_f64_e64 v[36:37], v[40:41], -v[36:37]
	v_add_f64_e64 v[18:19], v[18:19], -v[38:39]
	v_lshlrev_b64_e32 v[38:39], 3, v[0:1]
	v_add_nc_u32_e32 v0, s10, v0
	s_delay_alu instid0(VALU_DEP_2) | instskip(SKIP_1) | instid1(VALU_DEP_3)
	v_add_co_u32 v40, vcc_lo, s0, v38
	s_wait_alu 0xfffd
	v_add_co_ci_u32_e64 v41, null, s1, v39, vcc_lo
	v_add_co_u32 v38, vcc_lo, s2, v38
	s_wait_loadcnt 0xa
	v_add_f64_e64 v[12:13], v[14:15], -v[12:13]
	s_wait_alu 0xfffd
	v_add_co_ci_u32_e64 v39, null, s3, v39, vcc_lo
	global_load_b64 v[40:41], v[40:41], off
	global_load_b64 v[38:39], v[38:39], off
	v_add_f64_e64 v[18:19], v[18:19], -v[36:37]
	s_delay_alu instid0(VALU_DEP_1) | instskip(SKIP_1) | instid1(VALU_DEP_1)
	v_add_f64_e64 v[14:15], v[18:19], -v[36:37]
	v_lshlrev_b64_e32 v[18:19], 3, v[0:1]
	v_add_co_u32 v36, vcc_lo, s0, v18
	s_wait_alu 0xfffd
	s_delay_alu instid0(VALU_DEP_2)
	v_add_co_ci_u32_e64 v37, null, s1, v19, vcc_lo
	v_add_co_u32 v18, vcc_lo, s2, v18
	s_wait_alu 0xfffd
	v_add_co_ci_u32_e64 v19, null, s3, v19, vcc_lo
	global_load_b64 v[36:37], v[36:37], off
	global_load_b64 v[44:45], v[18:19], off
	v_mad_co_u64_u32 v[18:19], null, s10, 12, v[0:1]
	s_delay_alu instid0(VALU_DEP_1) | instskip(SKIP_3) | instid1(VALU_DEP_2)
	v_dual_mov_b32 v19, v1 :: v_dual_add_nc_u32 v0, s11, v18
	v_add_f64_e64 v[14:15], v[14:15], -v[12:13]
	s_wait_loadcnt 0xc
	v_add_f64_e64 v[16:17], v[20:21], -v[16:17]
	v_add_f64_e64 v[12:13], v[14:15], -v[12:13]
	v_lshlrev_b64_e32 v[14:15], 3, v[18:19]
	s_delay_alu instid0(VALU_DEP_1) | instskip(SKIP_1) | instid1(VALU_DEP_2)
	v_add_co_u32 v19, vcc_lo, s0, v14
	s_wait_alu 0xfffd
	v_add_co_ci_u32_e64 v20, null, s1, v15, vcc_lo
	v_add_co_u32 v14, vcc_lo, s2, v14
	s_wait_alu 0xfffd
	v_add_co_ci_u32_e64 v15, null, s3, v15, vcc_lo
	global_load_b64 v[46:47], v[19:20], off
	global_load_b64 v[48:49], v[14:15], off
	v_lshlrev_b64_e32 v[14:15], 3, v[0:1]
	v_add_nc_u32_e32 v0, s13, v0
	s_wait_loadcnt 0xc
	v_add_f64_e64 v[18:19], v[26:27], -v[32:33]
	v_add_f64_e64 v[12:13], v[12:13], -v[16:17]
	s_delay_alu instid0(VALU_DEP_4)
	v_add_co_u32 v16, vcc_lo, s0, v14
	s_wait_alu 0xfffd
	v_add_co_ci_u32_e64 v17, null, s1, v15, vcc_lo
	v_add_co_u32 v14, vcc_lo, s2, v14
	s_wait_alu 0xfffd
	v_add_co_ci_u32_e64 v15, null, s3, v15, vcc_lo
	global_load_b64 v[26:27], v[16:17], off
	global_load_b64 v[32:33], v[14:15], off
	s_wait_loadcnt 0xc
	v_add_f64_e64 v[14:15], v[24:25], -v[22:23]
	v_add_f64_e32 v[16:17], v[12:13], v[18:19]
	v_lshlrev_b64_e32 v[12:13], 3, v[0:1]
	v_add_nc_u32_e32 v0, s14, v0
	s_delay_alu instid0(VALU_DEP_2) | instskip(SKIP_1) | instid1(VALU_DEP_3)
	v_add_co_u32 v18, vcc_lo, s0, v12
	s_wait_alu 0xfffd
	v_add_co_ci_u32_e64 v19, null, s1, v13, vcc_lo
	v_add_co_u32 v12, vcc_lo, s2, v12
	s_wait_alu 0xfffd
	v_add_co_ci_u32_e64 v13, null, s3, v13, vcc_lo
	global_load_b64 v[22:23], v[18:19], off
	global_load_b64 v[24:25], v[12:13], off
	s_wait_loadcnt 0xc
	v_add_f64_e64 v[12:13], v[34:35], -v[30:31]
	v_add_f64_e64 v[2:3], v[2:3], -v[14:15]
	v_add_f64_e32 v[18:19], v[16:17], v[14:15]
	v_lshlrev_b64_e32 v[16:17], 3, v[0:1]
	v_add_nc_u32_e32 v0, s14, v0
	s_mul_i32 s14, s10, 6
	s_delay_alu instid0(VALU_DEP_2) | instskip(SKIP_1) | instid1(VALU_DEP_3)
	v_add_co_u32 v20, vcc_lo, s0, v16
	s_wait_alu 0xfffd
	v_add_co_ci_u32_e64 v21, null, s1, v17, vcc_lo
	v_add_co_u32 v16, vcc_lo, s2, v16
	s_wait_alu 0xfffd
	v_add_co_ci_u32_e64 v17, null, s3, v17, vcc_lo
	global_load_b64 v[30:31], v[20:21], off
	global_load_b64 v[34:35], v[16:17], off
	s_wait_loadcnt 0xc
	v_add_f64_e64 v[16:17], v[42:43], -v[28:29]
	v_add_f64_e64 v[2:3], v[2:3], -v[12:13]
	v_add_f64_e32 v[20:21], v[18:19], v[12:13]
	v_lshlrev_b64_e32 v[18:19], 3, v[0:1]
	v_add_nc_u32_e32 v0, s10, v0
	s_delay_alu instid0(VALU_DEP_2) | instskip(SKIP_1) | instid1(VALU_DEP_3)
	v_add_co_u32 v28, vcc_lo, s0, v18
	s_wait_alu 0xfffd
	v_add_co_ci_u32_e64 v29, null, s1, v19, vcc_lo
	v_add_co_u32 v18, vcc_lo, s2, v18
	s_wait_alu 0xfffd
	v_add_co_ci_u32_e64 v19, null, s3, v19, vcc_lo
	global_load_b64 v[28:29], v[28:29], off
	global_load_b64 v[42:43], v[18:19], off
	s_wait_loadcnt 0xc
	v_add_f64_e64 v[18:19], v[40:41], -v[38:39]
	v_lshlrev_b64_e32 v[38:39], 3, v[0:1]
	v_add_nc_u32_e32 v0, s10, v0
	v_add_f64_e64 v[2:3], v[2:3], -v[16:17]
	v_add_f64_e32 v[20:21], v[20:21], v[16:17]
	s_delay_alu instid0(VALU_DEP_4)
	v_add_co_u32 v40, vcc_lo, s0, v38
	s_wait_alu 0xfffd
	v_add_co_ci_u32_e64 v41, null, s1, v39, vcc_lo
	v_add_co_u32 v38, vcc_lo, s2, v38
	s_wait_alu 0xfffd
	v_add_co_ci_u32_e64 v39, null, s3, v39, vcc_lo
	global_load_b64 v[40:41], v[40:41], off
	global_load_b64 v[38:39], v[38:39], off
	v_add_f64_e32 v[50:51], v[20:21], v[18:19]
	v_lshlrev_b64_e32 v[20:21], 3, v[0:1]
	v_add_nc_u32_e32 v0, s10, v0
	s_delay_alu instid0(VALU_DEP_2) | instskip(SKIP_1) | instid1(VALU_DEP_3)
	v_add_co_u32 v52, vcc_lo, s0, v20
	s_wait_alu 0xfffd
	v_add_co_ci_u32_e64 v53, null, s1, v21, vcc_lo
	v_add_co_u32 v20, vcc_lo, s2, v20
	s_wait_alu 0xfffd
	v_add_co_ci_u32_e64 v21, null, s3, v21, vcc_lo
	global_load_b64 v[52:53], v[52:53], off
	global_load_b64 v[54:55], v[20:21], off
	s_wait_loadcnt 0xe
	v_add_f64_e64 v[20:21], v[36:37], -v[44:45]
	v_lshlrev_b64_e32 v[44:45], 3, v[0:1]
	v_add_nc_u32_e32 v0, s11, v0
	v_add_f64_e32 v[36:37], v[18:19], v[50:51]
	s_delay_alu instid0(VALU_DEP_2)
	v_mad_co_u64_u32 v[60:61], null, s10, 10, v[0:1]
	v_mov_b32_e32 v61, v1
	v_lshlrev_b64_e32 v[56:57], 3, v[0:1]
	v_add_co_u32 v50, vcc_lo, s0, v44
	s_wait_alu 0xfffd
	v_add_co_ci_u32_e64 v51, null, s1, v45, vcc_lo
	v_add_co_u32 v44, vcc_lo, s2, v44
	s_wait_alu 0xfffd
	v_add_co_ci_u32_e64 v45, null, s3, v45, vcc_lo
	;; [unrolled: 3-line block ×4, first 2 shown]
	global_load_b64 v[50:51], v[50:51], off
	global_load_b64 v[44:45], v[44:45], off
	;; [unrolled: 1-line block ×4, first 2 shown]
	v_add_f64_e32 v[36:37], v[36:37], v[20:21]
	s_wait_loadcnt 0x10
	v_add_f64_e64 v[46:47], v[46:47], -v[48:49]
	v_lshlrev_b64_e32 v[48:49], 3, v[60:61]
	s_delay_alu instid0(VALU_DEP_3) | instskip(NEXT) | instid1(VALU_DEP_2)
	v_add_f64_e32 v[36:37], v[20:21], v[36:37]
	v_add_co_u32 v61, vcc_lo, s0, v48
	s_wait_alu 0xfffd
	s_delay_alu instid0(VALU_DEP_3)
	v_add_co_ci_u32_e64 v62, null, s1, v49, vcc_lo
	v_add_co_u32 v48, vcc_lo, s2, v48
	s_wait_alu 0xfffd
	v_add_co_ci_u32_e64 v49, null, s3, v49, vcc_lo
	global_load_b64 v[61:62], v[61:62], off
	global_load_b64 v[48:49], v[48:49], off
	s_wait_loadcnt 0x10
	v_add_f64_e64 v[26:27], v[26:27], -v[32:33]
	v_add_f64_e32 v[32:33], v[36:37], v[46:47]
	s_wait_loadcnt 0xe
	v_add_f64_e64 v[22:23], v[22:23], -v[24:25]
	s_delay_alu instid0(VALU_DEP_2) | instskip(SKIP_2) | instid1(VALU_DEP_2)
	v_add_f64_e64 v[24:25], v[32:33], -v[26:27]
	s_wait_loadcnt 0xc
	v_add_f64_e64 v[30:31], v[30:31], -v[34:35]
	v_add_f64_e32 v[22:23], v[24:25], v[22:23]
	s_wait_loadcnt 0xa
	v_add_f64_e64 v[28:29], v[28:29], -v[42:43]
	s_delay_alu instid0(VALU_DEP_2) | instskip(SKIP_2) | instid1(VALU_DEP_2)
	v_add_f64_e32 v[22:23], v[22:23], v[30:31]
	s_wait_loadcnt 0x8
	v_add_f64_e64 v[38:39], v[40:41], -v[38:39]
	v_add_f64_e64 v[22:23], v[22:23], -v[28:29]
	s_wait_loadcnt 0x6
	v_add_f64_e64 v[4:5], v[52:53], -v[54:55]
	s_delay_alu instid0(VALU_DEP_2) | instskip(SKIP_2) | instid1(VALU_DEP_2)
	v_add_f64_e64 v[22:23], v[22:23], -v[38:39]
	s_wait_loadcnt 0x4
	v_add_f64_e64 v[6:7], v[50:51], -v[44:45]
	v_add_f64_e64 v[4:5], v[22:23], -v[4:5]
	s_wait_loadcnt 0x2
	v_add_f64_e64 v[8:9], v[58:59], -v[56:57]
	s_delay_alu instid0(VALU_DEP_2)
	v_add_f64_e32 v[4:5], v[4:5], v[6:7]
	s_wait_loadcnt 0x1
	v_mad_co_u64_u32 v[63:64], null, s10, 9, v[60:61]
	v_mov_b32_e32 v64, v1
	s_wait_loadcnt 0x0
	v_add_f64_e64 v[48:49], v[61:62], -v[48:49]
	s_delay_alu instid0(VALU_DEP_3) | instskip(NEXT) | instid1(VALU_DEP_3)
	v_add_nc_u32_e32 v0, s10, v63
	v_lshlrev_b64_e32 v[36:37], 3, v[63:64]
	v_add_f64_e32 v[4:5], v[4:5], v[8:9]
	s_delay_alu instid0(VALU_DEP_3)
	v_mad_co_u64_u32 v[46:47], null, s10, 3, v[0:1]
	v_lshlrev_b64_e32 v[63:64], 3, v[0:1]
	v_mov_b32_e32 v47, v1
	v_add_co_u32 v65, vcc_lo, s0, v36
	s_wait_alu 0xfffd
	v_add_co_ci_u32_e64 v66, null, s1, v37, vcc_lo
	v_add_nc_u32_e32 v0, s12, v46
	v_add_co_u32 v36, vcc_lo, s2, v36
	v_lshlrev_b64_e32 v[46:47], 3, v[46:47]
	s_wait_alu 0xfffd
	v_add_co_ci_u32_e64 v37, null, s3, v37, vcc_lo
	v_lshlrev_b64_e32 v[67:68], 3, v[0:1]
	s_wait_alu 0xfffe
	v_add_nc_u32_e32 v0, s14, v0
	v_add_co_u32 v32, vcc_lo, s0, v63
	s_wait_alu 0xfffd
	v_add_co_ci_u32_e64 v33, null, s1, v64, vcc_lo
	s_delay_alu instid0(VALU_DEP_3) | instskip(SKIP_4) | instid1(VALU_DEP_3)
	v_lshlrev_b64_e32 v[69:70], 3, v[0:1]
	v_add_nc_u32_e32 v0, s10, v0
	v_add_co_u32 v63, vcc_lo, s2, v63
	s_wait_alu 0xfffd
	v_add_co_ci_u32_e64 v64, null, s3, v64, vcc_lo
	v_lshlrev_b64_e32 v[71:72], 3, v[0:1]
	v_add_nc_u32_e32 v0, s13, v0
	v_add_co_u32 v24, vcc_lo, s0, v46
	s_wait_alu 0xfffd
	v_add_co_ci_u32_e64 v25, null, s1, v47, vcc_lo
	s_delay_alu instid0(VALU_DEP_3) | instskip(SKIP_4) | instid1(VALU_DEP_3)
	v_lshlrev_b64_e32 v[73:74], 3, v[0:1]
	v_add_nc_u32_e32 v0, s11, v0
	v_add_co_u32 v46, vcc_lo, s2, v46
	s_wait_alu 0xfffd
	v_add_co_ci_u32_e64 v47, null, s3, v47, vcc_lo
	v_lshlrev_b64_e32 v[26:27], 3, v[0:1]
	v_add_nc_u32_e32 v0, s12, v0
	global_load_b64 v[65:66], v[65:66], off
	global_load_b64 v[36:37], v[36:37], off
	;; [unrolled: 1-line block ×4, first 2 shown]
	v_add_f64_e32 v[4:5], v[4:5], v[48:49]
	v_lshlrev_b64_e32 v[75:76], 3, v[0:1]
	v_add_nc_u32_e32 v0, s10, v0
	s_delay_alu instid0(VALU_DEP_1) | instskip(SKIP_1) | instid1(VALU_DEP_1)
	v_lshlrev_b64_e32 v[77:78], 3, v[0:1]
	v_add_nc_u32_e32 v0, s14, v0
	v_lshlrev_b64_e32 v[79:80], 3, v[0:1]
	v_add_nc_u32_e32 v0, s10, v0
	s_delay_alu instid0(VALU_DEP_1) | instskip(SKIP_2) | instid1(VALU_DEP_2)
	v_mad_co_u64_u32 v[81:82], null, 0xffffff3b, s10, v[0:1]
	v_mov_b32_e32 v82, v1
	v_lshlrev_b64_e32 v[16:17], 3, v[0:1]
	v_mad_co_u64_u32 v[83:84], null, 0x60, s10, v[81:82]
	v_mov_b32_e32 v84, v1
	s_delay_alu instid0(VALU_DEP_1) | instskip(NEXT) | instid1(VALU_DEP_1)
	v_lshlrev_b64_e32 v[34:35], 3, v[83:84]
	v_add_co_u32 v84, vcc_lo, s0, v34
	s_wait_alu 0xfffd
	s_delay_alu instid0(VALU_DEP_2)
	v_add_co_ci_u32_e64 v85, null, s1, v35, vcc_lo
	v_add_co_u32 v34, vcc_lo, s2, v34
	s_wait_alu 0xfffd
	v_add_co_ci_u32_e64 v35, null, s3, v35, vcc_lo
	global_load_b64 v[24:25], v[24:25], off
	global_load_b64 v[46:47], v[46:47], off
	;; [unrolled: 1-line block ×4, first 2 shown]
	v_add_co_u32 v30, vcc_lo, s0, v67
	s_wait_alu 0xfffd
	v_add_co_ci_u32_e64 v31, null, s1, v68, vcc_lo
	v_add_co_u32 v42, vcc_lo, s2, v67
	s_wait_alu 0xfffd
	v_add_co_ci_u32_e64 v43, null, s3, v68, vcc_lo
	global_load_b64 v[30:31], v[30:31], off
	global_load_b64 v[42:43], v[42:43], off
	v_add_co_u32 v40, vcc_lo, s0, v69
	s_wait_alu 0xfffd
	v_add_co_ci_u32_e64 v41, null, s1, v70, vcc_lo
	v_add_co_u32 v67, vcc_lo, s2, v69
	s_wait_alu 0xfffd
	v_add_co_ci_u32_e64 v68, null, s3, v70, vcc_lo
	global_load_b64 v[40:41], v[40:41], off
	global_load_b64 v[67:68], v[67:68], off
	;; [unrolled: 8-line block ×3, first 2 shown]
	v_add_co_u32 v22, vcc_lo, s0, v73
	s_wait_alu 0xfffd
	v_add_co_ci_u32_e64 v23, null, s1, v74, vcc_lo
	v_add_co_u32 v50, vcc_lo, s2, v73
	s_wait_alu 0xfffd
	v_add_co_ci_u32_e64 v51, null, s3, v74, vcc_lo
	s_wait_loadcnt 0xc
	v_add_f64_e64 v[36:37], v[65:66], -v[36:37]
	s_wait_loadcnt 0xa
	v_add_f64_e64 v[32:33], v[32:33], -v[63:64]
	s_delay_alu instid0(VALU_DEP_2)
	v_add_f64_e64 v[4:5], v[4:5], -v[36:37]
	s_wait_loadcnt 0x8
	v_add_f64_e64 v[24:25], v[24:25], -v[46:47]
	s_wait_loadcnt 0x7
	v_mad_co_u64_u32 v[54:55], null, s10, 61, v[83:84]
	v_mov_b32_e32 v55, v1
	s_wait_loadcnt 0x6
	v_add_f64_e64 v[34:35], v[84:85], -v[34:35]
	s_delay_alu instid0(VALU_DEP_2) | instskip(SKIP_4) | instid1(VALU_DEP_4)
	v_lshlrev_b64_e32 v[44:45], 3, v[54:55]
	v_mad_co_u64_u32 v[54:55], null, s10, 20, v[54:55]
	v_mov_b32_e32 v55, v1
	s_wait_loadcnt 0x4
	v_add_f64_e64 v[30:31], v[30:31], -v[42:43]
	v_add_co_u32 v69, vcc_lo, s0, v44
	s_wait_alu 0xfffd
	v_add_co_ci_u32_e64 v70, null, s1, v45, vcc_lo
	v_add_co_u32 v44, vcc_lo, s2, v44
	s_wait_alu 0xfffd
	v_add_co_ci_u32_e64 v45, null, s3, v45, vcc_lo
	global_load_b64 v[22:23], v[22:23], off
	global_load_b64 v[50:51], v[50:51], off
	;; [unrolled: 1-line block ×4, first 2 shown]
	v_add_co_u32 v6, vcc_lo, s0, v26
	s_wait_alu 0xfffd
	v_add_co_ci_u32_e64 v7, null, s1, v27, vcc_lo
	v_add_co_u32 v26, vcc_lo, s2, v26
	s_wait_alu 0xfffd
	v_add_co_ci_u32_e64 v27, null, s3, v27, vcc_lo
	global_load_b64 v[6:7], v[6:7], off
	global_load_b64 v[26:27], v[26:27], off
	v_add_co_u32 v8, vcc_lo, s0, v75
	s_wait_alu 0xfffd
	v_add_co_ci_u32_e64 v9, null, s1, v76, vcc_lo
	v_add_co_u32 v10, vcc_lo, s2, v75
	s_wait_alu 0xfffd
	v_add_co_ci_u32_e64 v11, null, s3, v76, vcc_lo
	global_load_b64 v[8:9], v[8:9], off
	global_load_b64 v[10:11], v[10:11], off
	v_lshlrev_b64_e32 v[48:49], 3, v[54:55]
	v_add_co_u32 v14, vcc_lo, s0, v77
	s_wait_alu 0xfffd
	v_add_co_ci_u32_e64 v15, null, s1, v78, vcc_lo
	v_add_co_u32 v55, vcc_lo, s2, v77
	s_wait_alu 0xfffd
	v_add_co_ci_u32_e64 v56, null, s3, v78, vcc_lo
	;; [unrolled: 3-line block ×4, first 2 shown]
	global_load_b64 v[14:15], v[14:15], off
	global_load_b64 v[55:56], v[55:56], off
	;; [unrolled: 1-line block ×4, first 2 shown]
	v_add_co_u32 v12, vcc_lo, s0, v79
	s_wait_alu 0xfffd
	v_add_co_ci_u32_e64 v13, null, s1, v80, vcc_lo
	v_add_co_u32 v59, vcc_lo, s2, v79
	s_wait_alu 0xfffd
	v_add_co_ci_u32_e64 v60, null, s3, v80, vcc_lo
	global_load_b64 v[12:13], v[12:13], off
	global_load_b64 v[59:60], v[59:60], off
	v_add_f64_e64 v[4:5], v[4:5], -v[32:33]
	v_add_co_u32 v32, vcc_lo, s0, v16
	s_wait_alu 0xfffd
	v_add_co_ci_u32_e64 v33, null, s1, v17, vcc_lo
	v_add_co_u32 v16, vcc_lo, s2, v16
	s_wait_alu 0xfffd
	v_add_co_ci_u32_e64 v17, null, s3, v17, vcc_lo
	global_load_b64 v[32:33], v[32:33], off
	global_load_b64 v[16:17], v[16:17], off
	v_add_f64_e64 v[2:3], v[2:3], -v[34:35]
	s_load_b128 s[0:3], s[8:9], 0x40
	v_add_f64_e32 v[4:5], v[4:5], v[24:25]
	s_wait_loadcnt 0x12
	v_add_f64_e64 v[24:25], v[40:41], -v[67:68]
	s_delay_alu instid0(VALU_DEP_3) | instskip(SKIP_2) | instid1(VALU_DEP_4)
	v_add_f64_e64 v[2:3], v[2:3], -v[18:19]
	s_wait_loadcnt 0x10
	v_add_f64_e64 v[18:19], v[38:39], -v[52:53]
	v_add_f64_e32 v[4:5], v[4:5], v[30:31]
	s_delay_alu instid0(VALU_DEP_3) | instskip(NEXT) | instid1(VALU_DEP_2)
	v_add_f64_e64 v[2:3], v[2:3], -v[20:21]
	v_add_f64_e32 v[4:5], v[4:5], v[24:25]
	s_delay_alu instid0(VALU_DEP_2) | instskip(NEXT) | instid1(VALU_DEP_2)
	v_add_f64_e32 v[2:3], v[28:29], v[2:3]
	v_add_f64_e64 v[4:5], v[4:5], -v[18:19]
	s_wait_loadcnt 0xe
	v_add_f64_e64 v[20:21], v[22:23], -v[50:51]
	s_wait_loadcnt 0xc
	;; [unrolled: 2-line block ×4, first 2 shown]
	v_add_f64_e64 v[8:9], v[8:9], -v[10:11]
	s_delay_alu instid0(VALU_DEP_4) | instskip(NEXT) | instid1(VALU_DEP_4)
	v_add_f64_e32 v[4:5], v[4:5], v[20:21]
	v_add_f64_e32 v[2:3], v[22:23], v[2:3]
	s_wait_loadcnt 0x4
	v_add_f64_e64 v[10:11], v[57:58], -v[48:49]
	s_wait_loadcnt 0x2
	v_add_f64_e64 v[12:13], v[12:13], -v[59:60]
	s_delay_alu instid0(VALU_DEP_4) | instskip(SKIP_2) | instid1(VALU_DEP_3)
	v_add_f64_e32 v[4:5], v[4:5], v[6:7]
	v_add_f64_e64 v[6:7], v[14:15], -v[55:56]
	v_add_f64_e32 v[2:3], v[36:37], v[2:3]
	v_add_f64_e64 v[4:5], v[4:5], -v[8:9]
	s_delay_alu instid0(VALU_DEP_2) | instskip(NEXT) | instid1(VALU_DEP_2)
	v_add_f64_e32 v[2:3], v[18:19], v[2:3]
	v_add_f64_e32 v[4:5], v[4:5], v[6:7]
	s_wait_loadcnt 0x0
	v_add_f64_e64 v[6:7], v[32:33], -v[16:17]
	s_delay_alu instid0(VALU_DEP_3) | instskip(NEXT) | instid1(VALU_DEP_3)
	v_add_f64_e32 v[2:3], v[10:11], v[2:3]
	v_add_f64_e64 v[4:5], v[4:5], -v[12:13]
	s_delay_alu instid0(VALU_DEP_2) | instskip(NEXT) | instid1(VALU_DEP_2)
	v_add_f64_e32 v[2:3], v[8:9], v[2:3]
	v_add_f64_e32 v[4:5], v[4:5], v[6:7]
	v_mad_co_u64_u32 v[6:7], null, 0xffffff50, s10, v[54:55]
	s_delay_alu instid0(VALU_DEP_3) | instskip(SKIP_2) | instid1(VALU_DEP_2)
	v_add_f64_e32 v[2:3], v[12:13], v[2:3]
	v_mov_b32_e32 v7, v1
	v_lshlrev_b64_e32 v[0:1], 3, v[81:82]
	v_lshlrev_b64_e32 v[6:7], 3, v[6:7]
	s_delay_alu instid0(VALU_DEP_2) | instskip(SKIP_1) | instid1(VALU_DEP_3)
	v_add_co_u32 v0, vcc_lo, s4, v0
	s_wait_alu 0xfffd
	v_add_co_ci_u32_e64 v1, null, s5, v1, vcc_lo
	s_delay_alu instid0(VALU_DEP_3)
	v_add_co_u32 v6, vcc_lo, s4, v6
	s_wait_alu 0xfffd
	v_add_co_ci_u32_e64 v7, null, s5, v7, vcc_lo
	v_mul_f64_e32 v[4:5], s[6:7], v[4:5]
	v_mul_f64_e32 v[2:3], s[6:7], v[2:3]
	s_wait_kmcnt 0x0
	s_delay_alu instid0(VALU_DEP_2) | instskip(NEXT) | instid1(VALU_DEP_2)
	v_mul_f64_e32 v[4:5], s[0:1], v[4:5]
	v_mul_f64_e32 v[2:3], s[2:3], v[2:3]
	s_clause 0x1
	global_store_b64 v[0:1], v[4:5], off
	global_store_b64 v[6:7], v[2:3], off
	s_endpgm
	.section	.rodata,"a",@progbits
	.p2align	6, 0x0
	.amdhsa_kernel _Z14rdwdot7_kernelIdEvPKT_S2_PS0_S0_S2_
		.amdhsa_group_segment_fixed_size 0
		.amdhsa_private_segment_fixed_size 0
		.amdhsa_kernarg_size 296
		.amdhsa_user_sgpr_count 2
		.amdhsa_user_sgpr_dispatch_ptr 0
		.amdhsa_user_sgpr_queue_ptr 0
		.amdhsa_user_sgpr_kernarg_segment_ptr 1
		.amdhsa_user_sgpr_dispatch_id 0
		.amdhsa_user_sgpr_private_segment_size 0
		.amdhsa_wavefront_size32 1
		.amdhsa_uses_dynamic_stack 0
		.amdhsa_enable_private_segment 0
		.amdhsa_system_sgpr_workgroup_id_x 1
		.amdhsa_system_sgpr_workgroup_id_y 0
		.amdhsa_system_sgpr_workgroup_id_z 0
		.amdhsa_system_sgpr_workgroup_info 0
		.amdhsa_system_vgpr_workitem_id 0
		.amdhsa_next_free_vgpr 86
		.amdhsa_next_free_sgpr 15
		.amdhsa_reserve_vcc 1
		.amdhsa_float_round_mode_32 0
		.amdhsa_float_round_mode_16_64 0
		.amdhsa_float_denorm_mode_32 3
		.amdhsa_float_denorm_mode_16_64 3
		.amdhsa_fp16_overflow 0
		.amdhsa_workgroup_processor_mode 1
		.amdhsa_memory_ordered 1
		.amdhsa_forward_progress 1
		.amdhsa_inst_pref_size 42
		.amdhsa_round_robin_scheduling 0
		.amdhsa_exception_fp_ieee_invalid_op 0
		.amdhsa_exception_fp_denorm_src 0
		.amdhsa_exception_fp_ieee_div_zero 0
		.amdhsa_exception_fp_ieee_overflow 0
		.amdhsa_exception_fp_ieee_underflow 0
		.amdhsa_exception_fp_ieee_inexact 0
		.amdhsa_exception_int_div_zero 0
	.end_amdhsa_kernel
	.section	.text._Z14rdwdot7_kernelIdEvPKT_S2_PS0_S0_S2_,"axG",@progbits,_Z14rdwdot7_kernelIdEvPKT_S2_PS0_S0_S2_,comdat
.Lfunc_end50:
	.size	_Z14rdwdot7_kernelIdEvPKT_S2_PS0_S0_S2_, .Lfunc_end50-_Z14rdwdot7_kernelIdEvPKT_S2_PS0_S0_S2_
                                        ; -- End function
	.set _Z14rdwdot7_kernelIdEvPKT_S2_PS0_S0_S2_.num_vgpr, 86
	.set _Z14rdwdot7_kernelIdEvPKT_S2_PS0_S0_S2_.num_agpr, 0
	.set _Z14rdwdot7_kernelIdEvPKT_S2_PS0_S0_S2_.numbered_sgpr, 15
	.set _Z14rdwdot7_kernelIdEvPKT_S2_PS0_S0_S2_.num_named_barrier, 0
	.set _Z14rdwdot7_kernelIdEvPKT_S2_PS0_S0_S2_.private_seg_size, 0
	.set _Z14rdwdot7_kernelIdEvPKT_S2_PS0_S0_S2_.uses_vcc, 1
	.set _Z14rdwdot7_kernelIdEvPKT_S2_PS0_S0_S2_.uses_flat_scratch, 0
	.set _Z14rdwdot7_kernelIdEvPKT_S2_PS0_S0_S2_.has_dyn_sized_stack, 0
	.set _Z14rdwdot7_kernelIdEvPKT_S2_PS0_S0_S2_.has_recursion, 0
	.set _Z14rdwdot7_kernelIdEvPKT_S2_PS0_S0_S2_.has_indirect_call, 0
	.section	.AMDGPU.csdata,"",@progbits
; Kernel info:
; codeLenInByte = 5360
; TotalNumSgprs: 17
; NumVgprs: 86
; ScratchSize: 0
; MemoryBound: 0
; FloatMode: 240
; IeeeMode: 1
; LDSByteSize: 0 bytes/workgroup (compile time only)
; SGPRBlocks: 0
; VGPRBlocks: 10
; NumSGPRsForWavesPerEU: 17
; NumVGPRsForWavesPerEU: 86
; Occupancy: 16
; WaveLimiterHint : 0
; COMPUTE_PGM_RSRC2:SCRATCH_EN: 0
; COMPUTE_PGM_RSRC2:USER_SGPR: 2
; COMPUTE_PGM_RSRC2:TRAP_HANDLER: 0
; COMPUTE_PGM_RSRC2:TGID_X_EN: 1
; COMPUTE_PGM_RSRC2:TGID_Y_EN: 0
; COMPUTE_PGM_RSRC2:TGID_Z_EN: 0
; COMPUTE_PGM_RSRC2:TIDIG_COMP_CNT: 0
	.section	.text._Z14rdwdot8_kernelIdEvPKT_S2_PS0_S0_S2_,"axG",@progbits,_Z14rdwdot8_kernelIdEvPKT_S2_PS0_S0_S2_,comdat
	.protected	_Z14rdwdot8_kernelIdEvPKT_S2_PS0_S0_S2_ ; -- Begin function _Z14rdwdot8_kernelIdEvPKT_S2_PS0_S0_S2_
	.globl	_Z14rdwdot8_kernelIdEvPKT_S2_PS0_S0_S2_
	.p2align	8
	.type	_Z14rdwdot8_kernelIdEvPKT_S2_PS0_S0_S2_,@function
_Z14rdwdot8_kernelIdEvPKT_S2_PS0_S0_S2_: ; @_Z14rdwdot8_kernelIdEvPKT_S2_PS0_S0_S2_
; %bb.0:
	s_clause 0x2
	s_load_b32 s11, s[0:1], 0x34
	s_load_b96 s[8:10], s[0:1], 0x20
	s_load_b256 s[0:7], s[0:1], 0x0
	s_wait_kmcnt 0x0
	s_and_b32 s11, s11, 0xffff
	s_delay_alu instid0(SALU_CYCLE_1)
	s_mul_i32 s10, s10, s11
	s_mul_i32 s12, ttmp9, s11
	s_mul_i32 s11, s10, 11
	s_mul_i32 s13, s10, 7
	v_add3_u32 v0, s11, s12, v0
	v_mov_b32_e32 v1, 0
	s_mul_i32 s12, s10, 3
	s_delay_alu instid0(VALU_DEP_1) | instskip(SKIP_1) | instid1(VALU_DEP_1)
	v_lshlrev_b64_e32 v[2:3], 3, v[0:1]
	v_add_nc_u32_e32 v0, s10, v0
	v_lshlrev_b64_e32 v[4:5], 3, v[0:1]
	s_delay_alu instid0(VALU_DEP_3) | instskip(NEXT) | instid1(VALU_DEP_1)
	v_add_co_u32 v6, vcc_lo, s0, v2
	v_add_co_ci_u32_e64 v7, null, s1, v3, vcc_lo
	v_add_co_u32 v2, vcc_lo, s2, v2
	s_wait_alu 0xfffd
	v_add_co_ci_u32_e64 v3, null, s3, v3, vcc_lo
	v_add_co_u32 v8, vcc_lo, s0, v4
	s_wait_alu 0xfffd
	;; [unrolled: 3-line block ×3, first 2 shown]
	v_add_co_ci_u32_e64 v5, null, s3, v5, vcc_lo
	global_load_b64 v[6:7], v[6:7], off
	global_load_b64 v[2:3], v[2:3], off
	;; [unrolled: 1-line block ×4, first 2 shown]
	v_add_nc_u32_e32 v0, s10, v0
	s_delay_alu instid0(VALU_DEP_1) | instskip(SKIP_1) | instid1(VALU_DEP_2)
	v_lshlrev_b64_e32 v[10:11], 3, v[0:1]
	v_add_nc_u32_e32 v0, s10, v0
	v_add_co_u32 v12, vcc_lo, s0, v10
	s_wait_alu 0xfffd
	s_delay_alu instid0(VALU_DEP_3)
	v_add_co_ci_u32_e64 v13, null, s1, v11, vcc_lo
	v_add_co_u32 v10, vcc_lo, s2, v10
	s_wait_alu 0xfffd
	v_add_co_ci_u32_e64 v11, null, s3, v11, vcc_lo
	global_load_b64 v[12:13], v[12:13], off
	global_load_b64 v[10:11], v[10:11], off
	v_lshlrev_b64_e32 v[14:15], 3, v[0:1]
	v_add_nc_u32_e32 v0, s13, v0
	s_delay_alu instid0(VALU_DEP_2) | instskip(SKIP_1) | instid1(VALU_DEP_3)
	v_add_co_u32 v16, vcc_lo, s0, v14
	s_wait_alu 0xfffd
	v_add_co_ci_u32_e64 v17, null, s1, v15, vcc_lo
	v_add_co_u32 v14, vcc_lo, s2, v14
	s_wait_alu 0xfffd
	v_add_co_ci_u32_e64 v15, null, s3, v15, vcc_lo
	global_load_b64 v[16:17], v[16:17], off
	global_load_b64 v[14:15], v[14:15], off
	v_lshlrev_b64_e32 v[18:19], 3, v[0:1]
	v_add_nc_u32_e32 v0, s10, v0
	s_delay_alu instid0(VALU_DEP_1) | instskip(SKIP_1) | instid1(VALU_DEP_1)
	v_lshlrev_b64_e32 v[20:21], 3, v[0:1]
	v_lshl_add_u32 v0, s10, 2, v0
	v_lshlrev_b64_e32 v[22:23], 3, v[0:1]
	v_add_nc_u32_e32 v0, s10, v0
	s_delay_alu instid0(VALU_DEP_1) | instskip(SKIP_2) | instid1(VALU_DEP_2)
	v_mad_co_u64_u32 v[24:25], null, s10, -11, v[0:1]
	v_mov_b32_e32 v25, v1
	v_lshlrev_b64_e32 v[29:30], 3, v[0:1]
	v_lshlrev_b64_e32 v[25:26], 3, v[24:25]
	v_add_nc_u32_e32 v0, s10, v24
	s_delay_alu instid0(VALU_DEP_2) | instskip(SKIP_1) | instid1(VALU_DEP_3)
	v_add_co_u32 v27, vcc_lo, s0, v25
	s_wait_alu 0xfffd
	v_add_co_ci_u32_e64 v28, null, s1, v26, vcc_lo
	v_add_co_u32 v25, vcc_lo, s2, v25
	s_wait_alu 0xfffd
	v_add_co_ci_u32_e64 v26, null, s3, v26, vcc_lo
	global_load_b64 v[27:28], v[27:28], off
	global_load_b64 v[25:26], v[25:26], off
	v_lshlrev_b64_e32 v[31:32], 3, v[0:1]
	v_add_nc_u32_e32 v0, s10, v0
	s_delay_alu instid0(VALU_DEP_2) | instskip(SKIP_1) | instid1(VALU_DEP_3)
	v_add_co_u32 v33, vcc_lo, s0, v31
	s_wait_alu 0xfffd
	v_add_co_ci_u32_e64 v34, null, s1, v32, vcc_lo
	v_add_co_u32 v31, vcc_lo, s2, v31
	s_wait_alu 0xfffd
	v_add_co_ci_u32_e64 v32, null, s3, v32, vcc_lo
	global_load_b64 v[33:34], v[33:34], off
	global_load_b64 v[31:32], v[31:32], off
	;; [unrolled: 11-line block ×4, first 2 shown]
	v_add_co_u32 v43, vcc_lo, s0, v18
	s_wait_alu 0xfffd
	v_add_co_ci_u32_e64 v44, null, s1, v19, vcc_lo
	v_add_co_u32 v18, vcc_lo, s2, v18
	v_lshlrev_b64_e32 v[47:48], 3, v[0:1]
	s_wait_alu 0xfffd
	v_add_co_ci_u32_e64 v19, null, s3, v19, vcc_lo
	v_add_co_u32 v45, vcc_lo, s0, v20
	s_wait_alu 0xfffd
	v_add_co_ci_u32_e64 v46, null, s1, v21, vcc_lo
	v_add_co_u32 v20, vcc_lo, s2, v20
	;; [unrolled: 3-line block ×4, first 2 shown]
	s_wait_alu 0xfffd
	v_add_co_ci_u32_e64 v48, null, s3, v48, vcc_lo
	global_load_b64 v[43:44], v[43:44], off
	global_load_b64 v[18:19], v[18:19], off
	;; [unrolled: 1-line block ×6, first 2 shown]
	s_wait_alu 0xfffe
	v_add_nc_u32_e32 v0, s12, v0
	s_wait_loadcnt 0x14
	v_add_f64_e64 v[2:3], v[6:7], -v[2:3]
	s_wait_loadcnt 0x12
	v_add_f64_e64 v[4:5], v[8:9], -v[4:5]
	;; [unrolled: 2-line block ×3, first 2 shown]
	s_delay_alu instid0(VALU_DEP_2) | instskip(SKIP_4) | instid1(VALU_DEP_3)
	v_add_f64_e32 v[2:3], v[2:3], v[4:5]
	v_lshlrev_b64_e32 v[4:5], 3, v[0:1]
	s_wait_loadcnt 0xe
	v_add_f64_e64 v[14:15], v[16:17], -v[14:15]
	v_lshl_add_u32 v0, s10, 1, v0
	v_add_co_u32 v8, vcc_lo, s0, v4
	s_wait_alu 0xfffd
	v_add_co_ci_u32_e64 v9, null, s1, v5, vcc_lo
	v_add_co_u32 v4, vcc_lo, s2, v4
	s_wait_alu 0xfffd
	v_add_co_ci_u32_e64 v5, null, s3, v5, vcc_lo
	global_load_b64 v[8:9], v[8:9], off
	global_load_b64 v[4:5], v[4:5], off
	v_add_co_u32 v10, vcc_lo, s0, v22
	s_wait_alu 0xfffd
	v_add_co_ci_u32_e64 v11, null, s1, v23, vcc_lo
	v_add_co_u32 v12, vcc_lo, s2, v22
	v_lshlrev_b64_e32 v[16:17], 3, v[0:1]
	s_wait_alu 0xfffd
	v_add_co_ci_u32_e64 v13, null, s3, v23, vcc_lo
	global_load_b64 v[10:11], v[10:11], off
	v_add_nc_u32_e32 v0, s13, v0
	s_lshl_b32 s13, s10, 3
	v_add_f64_e32 v[2:3], v[2:3], v[6:7]
	v_add_co_u32 v6, vcc_lo, s0, v29
	s_wait_alu 0xfffd
	v_add_co_ci_u32_e64 v7, null, s1, v30, vcc_lo
	v_add_co_u32 v22, vcc_lo, s2, v29
	s_wait_alu 0xfffd
	v_add_co_ci_u32_e64 v23, null, s3, v30, vcc_lo
	v_add_co_u32 v29, vcc_lo, s0, v16
	s_wait_alu 0xfffd
	v_add_co_ci_u32_e64 v30, null, s1, v17, vcc_lo
	v_add_co_u32 v16, vcc_lo, s2, v16
	s_wait_alu 0xfffd
	v_add_co_ci_u32_e64 v17, null, s3, v17, vcc_lo
	global_load_b64 v[12:13], v[12:13], off
	global_load_b64 v[6:7], v[6:7], off
	;; [unrolled: 1-line block ×5, first 2 shown]
	s_wait_loadcnt 0x14
	v_add_f64_e64 v[24:25], v[27:28], -v[25:26]
	v_add_f64_e32 v[2:3], v[2:3], v[14:15]
	s_wait_loadcnt 0x12
	v_add_f64_e64 v[14:15], v[33:34], -v[31:32]
	v_mad_co_u64_u32 v[31:32], null, s10, 14, v[0:1]
	s_wait_loadcnt 0x10
	v_add_f64_e64 v[33:34], v[37:38], -v[35:36]
	v_mov_b32_e32 v32, v1
	v_add_f64_e64 v[2:3], v[2:3], -v[24:25]
	v_lshlrev_b64_e32 v[24:25], 3, v[0:1]
	s_wait_alu 0xfffe
	v_add_nc_u32_e32 v0, s13, v31
	s_wait_loadcnt 0xa
	v_add_f64_e64 v[20:21], v[45:46], -v[20:21]
	s_delay_alu instid0(VALU_DEP_3)
	v_add_co_u32 v26, vcc_lo, s0, v24
	s_wait_alu 0xfffd
	v_add_co_ci_u32_e64 v27, null, s1, v25, vcc_lo
	v_add_co_u32 v24, vcc_lo, s2, v24
	s_wait_alu 0xfffd
	v_add_co_ci_u32_e64 v25, null, s3, v25, vcc_lo
	global_load_b64 v[26:27], v[26:27], off
	global_load_b64 v[24:25], v[24:25], off
	v_add_f64_e64 v[18:19], v[43:44], -v[18:19]
	v_add_f64_e64 v[2:3], v[2:3], -v[14:15]
	v_lshlrev_b64_e32 v[14:15], 3, v[31:32]
	v_add_f64_e64 v[31:32], v[41:42], -v[39:40]
	v_mad_co_u64_u32 v[39:40], null, s10, 20, v[0:1]
	s_wait_loadcnt 0xa
	v_add_f64_e64 v[41:42], v[49:50], -v[47:48]
	v_mov_b32_e32 v40, v1
	v_add_co_u32 v35, vcc_lo, s0, v14
	s_wait_alu 0xfffd
	v_add_co_ci_u32_e64 v36, null, s1, v15, vcc_lo
	v_add_co_u32 v14, vcc_lo, s2, v14
	s_wait_alu 0xfffd
	v_add_co_ci_u32_e64 v15, null, s3, v15, vcc_lo
	global_load_b64 v[35:36], v[35:36], off
	global_load_b64 v[14:15], v[14:15], off
	v_add_f64_e64 v[2:3], v[2:3], -v[33:34]
	v_lshlrev_b64_e32 v[33:34], 3, v[0:1]
	v_add_nc_u32_e32 v0, s10, v39
	s_delay_alu instid0(VALU_DEP_2) | instskip(SKIP_1) | instid1(VALU_DEP_3)
	v_add_co_u32 v37, vcc_lo, s0, v33
	s_wait_alu 0xfffd
	v_add_co_ci_u32_e64 v38, null, s1, v34, vcc_lo
	v_add_co_u32 v33, vcc_lo, s2, v33
	s_wait_alu 0xfffd
	v_add_co_ci_u32_e64 v34, null, s3, v34, vcc_lo
	global_load_b64 v[37:38], v[37:38], off
	global_load_b64 v[33:34], v[33:34], off
	v_add_f64_e64 v[31:32], v[2:3], -v[31:32]
	v_lshlrev_b64_e32 v[2:3], 3, v[39:40]
	s_delay_alu instid0(VALU_DEP_1) | instskip(SKIP_1) | instid1(VALU_DEP_2)
	v_add_co_u32 v43, vcc_lo, s0, v2
	s_wait_alu 0xfffd
	v_add_co_ci_u32_e64 v44, null, s1, v3, vcc_lo
	v_add_co_u32 v2, vcc_lo, s2, v2
	s_wait_alu 0xfffd
	v_add_co_ci_u32_e64 v3, null, s3, v3, vcc_lo
	global_load_b64 v[43:44], v[43:44], off
	global_load_b64 v[45:46], v[2:3], off
	v_add_f64_e32 v[2:3], v[18:19], v[20:21]
	v_lshlrev_b64_e32 v[20:21], 3, v[0:1]
	v_add_nc_u32_e32 v0, s13, v0
	s_delay_alu instid0(VALU_DEP_1)
	v_lshlrev_b64_e32 v[39:40], 3, v[0:1]
	v_add_nc_u32_e32 v0, s10, v0
	v_add_f64_e64 v[18:19], v[31:32], -v[41:42]
	v_add_co_u32 v31, vcc_lo, s0, v20
	s_wait_alu 0xfffd
	v_add_co_ci_u32_e64 v32, null, s1, v21, vcc_lo
	v_add_co_u32 v20, vcc_lo, s2, v20
	s_wait_alu 0xfffd
	v_add_co_ci_u32_e64 v21, null, s3, v21, vcc_lo
	global_load_b64 v[31:32], v[31:32], off
	global_load_b64 v[20:21], v[20:21], off
	v_add_co_u32 v41, vcc_lo, s0, v39
	s_wait_alu 0xfffd
	v_add_co_ci_u32_e64 v42, null, s1, v40, vcc_lo
	v_add_co_u32 v39, vcc_lo, s2, v39
	s_wait_alu 0xfffd
	v_add_co_ci_u32_e64 v40, null, s3, v40, vcc_lo
	global_load_b64 v[41:42], v[41:42], off
	global_load_b64 v[39:40], v[39:40], off
	v_add_f64_e64 v[18:19], v[18:19], -v[2:3]
	s_wait_loadcnt 0x12
	v_add_f64_e64 v[4:5], v[8:9], -v[4:5]
	s_delay_alu instid0(VALU_DEP_2) | instskip(SKIP_2) | instid1(VALU_DEP_2)
	v_add_f64_e64 v[8:9], v[18:19], -v[2:3]
	v_lshlrev_b64_e32 v[18:19], 3, v[0:1]
	v_add_nc_u32_e32 v0, s10, v0
	v_add_co_u32 v47, vcc_lo, s0, v18
	s_wait_alu 0xfffd
	s_delay_alu instid0(VALU_DEP_3)
	v_add_co_ci_u32_e64 v48, null, s1, v19, vcc_lo
	v_add_co_u32 v18, vcc_lo, s2, v18
	s_wait_alu 0xfffd
	v_add_co_ci_u32_e64 v19, null, s3, v19, vcc_lo
	global_load_b64 v[47:48], v[47:48], off
	global_load_b64 v[18:19], v[18:19], off
	v_mad_co_u64_u32 v[49:50], null, s10, 15, v[0:1]
	v_mov_b32_e32 v50, v1
	s_wait_loadcnt 0x12
	v_add_f64_e64 v[10:11], v[10:11], -v[12:13]
	s_wait_loadcnt 0x10
	v_add_f64_e64 v[12:13], v[6:7], -v[22:23]
	;; [unrolled: 2-line block ×3, first 2 shown]
	v_add_f64_e32 v[16:17], v[4:5], v[8:9]
	v_lshlrev_b64_e32 v[8:9], 3, v[0:1]
	s_delay_alu instid0(VALU_DEP_1) | instskip(SKIP_1) | instid1(VALU_DEP_2)
	v_add_co_u32 v22, vcc_lo, s0, v8
	s_wait_alu 0xfffd
	v_add_co_ci_u32_e64 v23, null, s1, v9, vcc_lo
	v_add_co_u32 v8, vcc_lo, s2, v8
	s_wait_alu 0xfffd
	v_add_co_ci_u32_e64 v9, null, s3, v9, vcc_lo
	global_load_b64 v[22:23], v[22:23], off
	global_load_b64 v[28:29], v[8:9], off
	v_add_f64_e32 v[8:9], v[10:11], v[12:13]
	v_lshlrev_b64_e32 v[12:13], 3, v[49:50]
	v_mad_co_u64_u32 v[49:50], null, s10, 37, v[49:50]
	v_mov_b32_e32 v50, v1
	v_add_f64_e32 v[10:11], v[16:17], v[6:7]
	s_delay_alu instid0(VALU_DEP_4)
	v_add_co_u32 v16, vcc_lo, s0, v12
	s_wait_alu 0xfffd
	v_add_co_ci_u32_e64 v17, null, s1, v13, vcc_lo
	v_add_co_u32 v12, vcc_lo, s2, v12
	s_wait_alu 0xfffd
	v_add_co_ci_u32_e64 v13, null, s3, v13, vcc_lo
	global_load_b64 v[16:17], v[16:17], off
	global_load_b64 v[12:13], v[12:13], off
	v_add_nc_u32_e32 v0, s12, v49
	s_mul_i32 s12, s10, 9
	s_wait_loadcnt 0x10
	v_add_f64_e64 v[24:25], v[26:27], -v[24:25]
	v_lshlrev_b64_e32 v[26:27], 3, v[49:50]
	v_add_f64_e32 v[10:11], v[8:9], v[10:11]
	s_delay_alu instid0(VALU_DEP_2) | instskip(SKIP_1) | instid1(VALU_DEP_3)
	v_add_co_u32 v50, vcc_lo, s0, v26
	s_wait_alu 0xfffd
	v_add_co_ci_u32_e64 v51, null, s1, v27, vcc_lo
	v_add_co_u32 v26, vcc_lo, s2, v26
	s_wait_alu 0xfffd
	v_add_co_ci_u32_e64 v27, null, s3, v27, vcc_lo
	global_load_b64 v[50:51], v[50:51], off
	global_load_b64 v[26:27], v[26:27], off
	s_wait_loadcnt 0x10
	v_add_f64_e64 v[14:15], v[35:36], -v[14:15]
	v_add_f64_e64 v[10:11], v[10:11], -v[24:25]
	v_lshlrev_b64_e32 v[24:25], 3, v[0:1]
	v_add_nc_u32_e32 v0, s10, v0
	s_delay_alu instid0(VALU_DEP_2) | instskip(SKIP_1) | instid1(VALU_DEP_3)
	v_add_co_u32 v35, vcc_lo, s0, v24
	s_wait_alu 0xfffd
	v_add_co_ci_u32_e64 v36, null, s1, v25, vcc_lo
	v_add_co_u32 v24, vcc_lo, s2, v24
	s_wait_alu 0xfffd
	v_add_co_ci_u32_e64 v25, null, s3, v25, vcc_lo
	global_load_b64 v[35:36], v[35:36], off
	global_load_b64 v[24:25], v[24:25], off
	s_wait_loadcnt 0x10
	v_add_f64_e64 v[33:34], v[37:38], -v[33:34]
	v_add_f64_e32 v[10:11], v[10:11], v[14:15]
	v_lshlrev_b64_e32 v[14:15], 3, v[0:1]
	v_add_nc_u32_e32 v0, s11, v0
	s_delay_alu instid0(VALU_DEP_2) | instskip(SKIP_1) | instid1(VALU_DEP_3)
	v_add_co_u32 v37, vcc_lo, s0, v14
	s_wait_alu 0xfffd
	v_add_co_ci_u32_e64 v38, null, s1, v15, vcc_lo
	v_add_co_u32 v14, vcc_lo, s2, v14
	s_wait_alu 0xfffd
	v_add_co_ci_u32_e64 v15, null, s3, v15, vcc_lo
	global_load_b64 v[37:38], v[37:38], off
	global_load_b64 v[14:15], v[14:15], off
	v_lshlrev_b64_e32 v[52:53], 3, v[0:1]
	s_wait_alu 0xfffe
	v_add_nc_u32_e32 v0, s12, v0
	s_delay_alu instid0(VALU_DEP_1)
	v_lshlrev_b64_e32 v[54:55], 3, v[0:1]
	v_add_nc_u32_e32 v0, s10, v0
	s_wait_loadcnt 0x10
	v_add_f64_e64 v[43:44], v[43:44], -v[45:46]
	v_add_co_u32 v45, vcc_lo, s0, v52
	s_wait_alu 0xfffd
	v_add_co_ci_u32_e64 v46, null, s1, v53, vcc_lo
	v_add_f64_e64 v[10:11], v[10:11], -v[33:34]
	v_add_co_u32 v52, vcc_lo, s2, v52
	s_wait_alu 0xfffd
	v_add_co_ci_u32_e64 v53, null, s3, v53, vcc_lo
	v_lshlrev_b64_e32 v[33:34], 3, v[0:1]
	v_add_nc_u32_e32 v0, s11, v0
	global_load_b64 v[45:46], v[45:46], off
	global_load_b64 v[52:53], v[52:53], off
	v_lshlrev_b64_e32 v[56:57], 3, v[0:1]
	v_add_nc_u32_e32 v0, s10, v0
	s_delay_alu instid0(VALU_DEP_1) | instskip(SKIP_1) | instid1(VALU_DEP_1)
	v_lshlrev_b64_e32 v[58:59], 3, v[0:1]
	v_add_nc_u32_e32 v0, s10, v0
	v_lshlrev_b64_e32 v[60:61], 3, v[0:1]
	v_add_nc_u32_e32 v0, s10, v0
	s_wait_loadcnt 0x10
	v_add_f64_e64 v[20:21], v[31:32], -v[20:21]
	s_delay_alu instid0(VALU_DEP_2) | instskip(SKIP_1) | instid1(VALU_DEP_1)
	v_lshlrev_b64_e32 v[62:63], 3, v[0:1]
	v_add_nc_u32_e32 v0, s10, v0
	v_lshlrev_b64_e32 v[64:65], 3, v[0:1]
	v_add_nc_u32_e32 v0, s12, v0
	v_add_f64_e32 v[10:11], v[10:11], v[43:44]
	v_add_co_u32 v43, vcc_lo, s0, v54
	s_delay_alu instid0(VALU_DEP_3) | instskip(SKIP_4) | instid1(VALU_DEP_3)
	v_lshlrev_b64_e32 v[30:31], 3, v[0:1]
	v_add_nc_u32_e32 v0, s10, v0
	s_wait_alu 0xfffd
	v_add_co_ci_u32_e64 v44, null, s1, v55, vcc_lo
	v_add_co_u32 v54, vcc_lo, s2, v54
	v_lshlrev_b64_e32 v[66:67], 3, v[0:1]
	v_add_nc_u32_e32 v0, s12, v0
	s_wait_alu 0xfffd
	v_add_co_ci_u32_e64 v55, null, s3, v55, vcc_lo
	global_load_b64 v[43:44], v[43:44], off
	global_load_b64 v[54:55], v[54:55], off
	v_mad_co_u64_u32 v[68:69], null, s10, 6, v[0:1]
	v_lshlrev_b64_e32 v[69:70], 3, v[0:1]
	s_wait_loadcnt 0x10
	v_add_f64_e64 v[39:40], v[41:42], -v[39:40]
	s_delay_alu instid0(VALU_DEP_3) | instskip(NEXT) | instid1(VALU_DEP_1)
	v_add_nc_u32_e32 v0, s10, v68
	v_mad_co_u64_u32 v[71:72], null, 0xffffff3b, s10, v[0:1]
	v_lshlrev_b64_e32 v[41:42], 3, v[0:1]
	v_add_co_u32 v72, vcc_lo, s0, v33
	s_wait_alu 0xfffd
	v_add_co_ci_u32_e64 v73, null, s1, v34, vcc_lo
	v_add_co_u32 v32, vcc_lo, s2, v33
	v_add_f64_e64 v[10:11], v[10:11], -v[20:21]
	v_add_nc_u32_e32 v0, s12, v71
	s_wait_alu 0xfffd
	v_add_co_ci_u32_e64 v33, null, s3, v34, vcc_lo
	s_delay_alu instid0(VALU_DEP_2) | instskip(SKIP_1) | instid1(VALU_DEP_2)
	v_lshlrev_b64_e32 v[74:75], 3, v[0:1]
	v_add_nc_u32_e32 v0, s12, v0
	v_add_co_u32 v76, vcc_lo, s0, v74
	s_wait_alu 0xfffd
	s_delay_alu instid0(VALU_DEP_3)
	v_add_co_ci_u32_e64 v77, null, s1, v75, vcc_lo
	v_add_co_u32 v74, vcc_lo, s2, v74
	s_wait_alu 0xfffd
	v_add_co_ci_u32_e64 v75, null, s3, v75, vcc_lo
	global_load_b64 v[72:73], v[72:73], off
	global_load_b64 v[32:33], v[32:33], off
	;; [unrolled: 1-line block ×4, first 2 shown]
	s_wait_loadcnt 0x12
	v_add_f64_e64 v[18:19], v[47:48], -v[18:19]
	v_add_f64_e64 v[10:11], v[10:11], -v[39:40]
	v_add_co_u32 v39, vcc_lo, s0, v56
	s_wait_alu 0xfffd
	v_add_co_ci_u32_e64 v40, null, s1, v57, vcc_lo
	v_add_co_u32 v47, vcc_lo, s2, v56
	s_wait_alu 0xfffd
	v_add_co_ci_u32_e64 v48, null, s3, v57, vcc_lo
	global_load_b64 v[39:40], v[39:40], off
	global_load_b64 v[47:48], v[47:48], off
	s_wait_loadcnt 0x12
	v_add_f64_e64 v[22:23], v[22:23], -v[28:29]
	v_lshlrev_b64_e32 v[28:29], 3, v[0:1]
	v_add_f64_e64 v[10:11], v[10:11], -v[18:19]
	v_add_co_u32 v18, vcc_lo, s0, v58
	s_wait_alu 0xfffd
	v_add_co_ci_u32_e64 v19, null, s1, v59, vcc_lo
	v_add_co_u32 v56, vcc_lo, s2, v58
	s_wait_alu 0xfffd
	v_add_co_ci_u32_e64 v57, null, s3, v59, vcc_lo
	;; [unrolled: 3-line block ×4, first 2 shown]
	global_load_b64 v[18:19], v[18:19], off
	global_load_b64 v[56:57], v[56:57], off
	;; [unrolled: 1-line block ×4, first 2 shown]
	s_wait_loadcnt 0x14
	v_add_f64_e64 v[12:13], v[16:17], -v[12:13]
	v_add_co_u32 v16, vcc_lo, s0, v60
	s_wait_alu 0xfffd
	v_add_co_ci_u32_e64 v17, null, s1, v61, vcc_lo
	v_add_co_u32 v60, vcc_lo, s2, v60
	s_wait_alu 0xfffd
	v_add_co_ci_u32_e64 v61, null, s3, v61, vcc_lo
	global_load_b64 v[16:17], v[16:17], off
	global_load_b64 v[60:61], v[60:61], off
	v_add_f64_e32 v[10:11], v[10:11], v[22:23]
	s_wait_loadcnt 0x14
	v_add_f64_e64 v[26:27], v[50:51], -v[26:27]
	s_delay_alu instid0(VALU_DEP_2)
	v_add_f64_e32 v[10:11], v[10:11], v[12:13]
	v_add_co_u32 v12, vcc_lo, s0, v62
	s_wait_alu 0xfffd
	v_add_co_ci_u32_e64 v13, null, s1, v63, vcc_lo
	v_add_co_u32 v49, vcc_lo, s2, v62
	s_wait_alu 0xfffd
	v_add_co_ci_u32_e64 v50, null, s3, v63, vcc_lo
	global_load_b64 v[12:13], v[12:13], off
	global_load_b64 v[49:50], v[49:50], off
	s_wait_loadcnt 0x14
	v_add_f64_e64 v[24:25], v[35:36], -v[24:25]
	v_add_f64_e32 v[10:11], v[10:11], v[26:27]
	v_add_co_u32 v26, vcc_lo, s0, v64
	s_wait_alu 0xfffd
	v_add_co_ci_u32_e64 v27, null, s1, v65, vcc_lo
	v_add_co_u32 v34, vcc_lo, s2, v64
	s_wait_alu 0xfffd
	v_add_co_ci_u32_e64 v35, null, s3, v65, vcc_lo
	global_load_b64 v[26:27], v[26:27], off
	global_load_b64 v[34:35], v[34:35], off
	s_wait_loadcnt 0x14
	v_add_f64_e64 v[14:15], v[37:38], -v[14:15]
	v_add_f64_e64 v[10:11], v[10:11], -v[24:25]
	v_add_co_u32 v24, vcc_lo, s0, v30
	s_wait_alu 0xfffd
	v_add_co_ci_u32_e64 v25, null, s1, v31, vcc_lo
	v_add_co_u32 v30, vcc_lo, s2, v30
	s_wait_alu 0xfffd
	v_add_co_ci_u32_e64 v31, null, s3, v31, vcc_lo
	global_load_b64 v[24:25], v[24:25], off
	global_load_b64 v[30:31], v[30:31], off
	s_wait_loadcnt 0x14
	v_add_f64_e64 v[36:37], v[45:46], -v[52:53]
	v_add_co_u32 v45, vcc_lo, s0, v66
	s_wait_alu 0xfffd
	v_add_co_ci_u32_e64 v46, null, s1, v67, vcc_lo
	v_add_co_u32 v51, vcc_lo, s2, v66
	s_wait_alu 0xfffd
	v_add_co_ci_u32_e64 v52, null, s3, v67, vcc_lo
	global_load_b64 v[45:46], v[45:46], off
	global_load_b64 v[51:52], v[51:52], off
	v_add_f64_e32 v[10:11], v[10:11], v[14:15]
	s_wait_loadcnt 0x14
	v_add_f64_e64 v[43:44], v[43:44], -v[54:55]
	s_delay_alu instid0(VALU_DEP_2)
	v_add_f64_e32 v[10:11], v[10:11], v[36:37]
	v_add_co_u32 v36, vcc_lo, s0, v69
	s_wait_alu 0xfffd
	v_add_co_ci_u32_e64 v37, null, s1, v70, vcc_lo
	v_add_co_u32 v53, vcc_lo, s2, v69
	s_wait_alu 0xfffd
	v_add_co_ci_u32_e64 v54, null, s3, v70, vcc_lo
	global_load_b64 v[36:37], v[36:37], off
	global_load_b64 v[53:54], v[53:54], off
	v_mov_b32_e32 v69, v1
	s_delay_alu instid0(VALU_DEP_1) | instskip(NEXT) | instid1(VALU_DEP_1)
	v_lshlrev_b64_e32 v[62:63], 3, v[68:69]
	v_add_co_u32 v64, vcc_lo, s0, v62
	s_wait_alu 0xfffd
	s_delay_alu instid0(VALU_DEP_2)
	v_add_co_ci_u32_e64 v65, null, s1, v63, vcc_lo
	v_add_co_u32 v62, vcc_lo, s2, v62
	s_wait_alu 0xfffd
	v_add_co_ci_u32_e64 v63, null, s3, v63, vcc_lo
	global_load_b64 v[64:65], v[64:65], off
	global_load_b64 v[62:63], v[62:63], off
	s_wait_loadcnt 0x16
	v_add_f64_e64 v[32:33], v[72:73], -v[32:33]
	v_mov_b32_e32 v72, v1
	v_add_f64_e32 v[10:11], v[10:11], v[43:44]
	s_wait_loadcnt 0x14
	v_add_f64_e64 v[43:44], v[76:77], -v[74:75]
	s_wait_loadcnt 0x12
	v_add_f64_e64 v[38:39], v[39:40], -v[47:48]
	s_delay_alu instid0(VALU_DEP_3) | instskip(NEXT) | instid1(VALU_DEP_3)
	v_add_f64_e64 v[10:11], v[10:11], -v[32:33]
	v_add_f64_e32 v[2:3], v[2:3], v[43:44]
	v_add_co_u32 v32, vcc_lo, s0, v41
	s_wait_alu 0xfffd
	v_add_co_ci_u32_e64 v33, null, s1, v42, vcc_lo
	v_add_co_u32 v40, vcc_lo, s2, v41
	s_wait_alu 0xfffd
	v_add_co_ci_u32_e64 v41, null, s3, v42, vcc_lo
	global_load_b64 v[32:33], v[32:33], off
	global_load_b64 v[40:41], v[40:41], off
	s_load_b128 s[0:3], s[8:9], 0x30
	s_wait_loadcnt 0x12
	v_add_f64_e64 v[18:19], v[18:19], -v[56:57]
	s_wait_loadcnt 0x10
	v_add_f64_e64 v[28:29], v[58:59], -v[28:29]
	v_add_f64_e32 v[10:11], v[10:11], v[38:39]
	v_add_f64_e64 v[2:3], v[2:3], -v[4:5]
	s_wait_loadcnt 0xe
	v_add_f64_e64 v[4:5], v[16:17], -v[60:61]
	s_delay_alu instid0(VALU_DEP_3) | instskip(NEXT) | instid1(VALU_DEP_3)
	v_add_f64_e64 v[10:11], v[10:11], -v[18:19]
	v_add_f64_e64 v[2:3], v[2:3], -v[28:29]
	s_wait_loadcnt 0xc
	v_add_f64_e64 v[12:13], v[12:13], -v[49:50]
	s_delay_alu instid0(VALU_DEP_3) | instskip(NEXT) | instid1(VALU_DEP_3)
	v_add_f64_e64 v[10:11], v[10:11], -v[4:5]
	;; [unrolled: 5-line block ×3, first 2 shown]
	v_add_f64_e64 v[2:3], v[2:3], -v[8:9]
	s_wait_loadcnt 0x8
	v_add_f64_e64 v[8:9], v[24:25], -v[30:31]
	s_delay_alu instid0(VALU_DEP_3) | instskip(NEXT) | instid1(VALU_DEP_3)
	v_add_f64_e32 v[10:11], v[10:11], v[6:7]
	v_add_f64_e32 v[2:3], v[20:21], v[2:3]
	s_wait_loadcnt 0x6
	v_add_f64_e64 v[12:13], v[45:46], -v[51:52]
	s_delay_alu instid0(VALU_DEP_3) | instskip(NEXT) | instid1(VALU_DEP_3)
	v_add_f64_e64 v[8:9], v[10:11], -v[8:9]
	v_add_f64_e64 v[2:3], v[2:3], -v[22:23]
	s_wait_loadcnt 0x4
	v_add_f64_e64 v[10:11], v[36:37], -v[53:54]
	s_delay_alu instid0(VALU_DEP_3) | instskip(NEXT) | instid1(VALU_DEP_3)
	v_add_f64_e64 v[8:9], v[8:9], -v[12:13]
	v_add_f64_e64 v[2:3], v[2:3], -v[14:15]
	s_wait_loadcnt 0x2
	v_add_f64_e64 v[12:13], v[64:65], -v[62:63]
	s_delay_alu instid0(VALU_DEP_3) | instskip(NEXT) | instid1(VALU_DEP_3)
	v_add_f64_e64 v[8:9], v[8:9], -v[10:11]
	v_add_f64_e32 v[2:3], v[4:5], v[2:3]
	s_wait_loadcnt 0x0
	v_add_f64_e64 v[4:5], v[32:33], -v[40:41]
	s_delay_alu instid0(VALU_DEP_3) | instskip(NEXT) | instid1(VALU_DEP_3)
	v_add_f64_e32 v[8:9], v[8:9], v[12:13]
	v_add_f64_e64 v[2:3], v[2:3], -v[6:7]
	v_mad_co_u64_u32 v[6:7], null, 0xffffffef, s10, v[0:1]
	v_mov_b32_e32 v7, v1
	v_lshlrev_b64_e32 v[0:1], 3, v[71:72]
	s_delay_alu instid0(VALU_DEP_2) | instskip(NEXT) | instid1(VALU_DEP_2)
	v_lshlrev_b64_e32 v[6:7], 3, v[6:7]
	v_add_co_u32 v0, vcc_lo, s4, v0
	s_wait_alu 0xfffd
	s_delay_alu instid0(VALU_DEP_3) | instskip(NEXT) | instid1(VALU_DEP_3)
	v_add_co_ci_u32_e64 v1, null, s5, v1, vcc_lo
	v_add_co_u32 v6, vcc_lo, s4, v6
	s_wait_alu 0xfffd
	v_add_co_ci_u32_e64 v7, null, s5, v7, vcc_lo
	v_add_f64_e64 v[4:5], v[8:9], -v[4:5]
	v_add_f64_e32 v[2:3], v[10:11], v[2:3]
	s_delay_alu instid0(VALU_DEP_2) | instskip(NEXT) | instid1(VALU_DEP_2)
	v_mul_f64_e32 v[4:5], s[6:7], v[4:5]
	v_mul_f64_e32 v[2:3], s[6:7], v[2:3]
	s_wait_kmcnt 0x0
	s_delay_alu instid0(VALU_DEP_2) | instskip(NEXT) | instid1(VALU_DEP_2)
	v_mul_f64_e32 v[4:5], s[0:1], v[4:5]
	v_mul_f64_e32 v[2:3], s[2:3], v[2:3]
	s_clause 0x1
	global_store_b64 v[0:1], v[4:5], off
	global_store_b64 v[6:7], v[2:3], off
	s_endpgm
	.section	.rodata,"a",@progbits
	.p2align	6, 0x0
	.amdhsa_kernel _Z14rdwdot8_kernelIdEvPKT_S2_PS0_S0_S2_
		.amdhsa_group_segment_fixed_size 0
		.amdhsa_private_segment_fixed_size 0
		.amdhsa_kernarg_size 296
		.amdhsa_user_sgpr_count 2
		.amdhsa_user_sgpr_dispatch_ptr 0
		.amdhsa_user_sgpr_queue_ptr 0
		.amdhsa_user_sgpr_kernarg_segment_ptr 1
		.amdhsa_user_sgpr_dispatch_id 0
		.amdhsa_user_sgpr_private_segment_size 0
		.amdhsa_wavefront_size32 1
		.amdhsa_uses_dynamic_stack 0
		.amdhsa_enable_private_segment 0
		.amdhsa_system_sgpr_workgroup_id_x 1
		.amdhsa_system_sgpr_workgroup_id_y 0
		.amdhsa_system_sgpr_workgroup_id_z 0
		.amdhsa_system_sgpr_workgroup_info 0
		.amdhsa_system_vgpr_workitem_id 0
		.amdhsa_next_free_vgpr 78
		.amdhsa_next_free_sgpr 14
		.amdhsa_reserve_vcc 1
		.amdhsa_float_round_mode_32 0
		.amdhsa_float_round_mode_16_64 0
		.amdhsa_float_denorm_mode_32 3
		.amdhsa_float_denorm_mode_16_64 3
		.amdhsa_fp16_overflow 0
		.amdhsa_workgroup_processor_mode 1
		.amdhsa_memory_ordered 1
		.amdhsa_forward_progress 1
		.amdhsa_inst_pref_size 34
		.amdhsa_round_robin_scheduling 0
		.amdhsa_exception_fp_ieee_invalid_op 0
		.amdhsa_exception_fp_denorm_src 0
		.amdhsa_exception_fp_ieee_div_zero 0
		.amdhsa_exception_fp_ieee_overflow 0
		.amdhsa_exception_fp_ieee_underflow 0
		.amdhsa_exception_fp_ieee_inexact 0
		.amdhsa_exception_int_div_zero 0
	.end_amdhsa_kernel
	.section	.text._Z14rdwdot8_kernelIdEvPKT_S2_PS0_S0_S2_,"axG",@progbits,_Z14rdwdot8_kernelIdEvPKT_S2_PS0_S0_S2_,comdat
.Lfunc_end51:
	.size	_Z14rdwdot8_kernelIdEvPKT_S2_PS0_S0_S2_, .Lfunc_end51-_Z14rdwdot8_kernelIdEvPKT_S2_PS0_S0_S2_
                                        ; -- End function
	.set _Z14rdwdot8_kernelIdEvPKT_S2_PS0_S0_S2_.num_vgpr, 78
	.set _Z14rdwdot8_kernelIdEvPKT_S2_PS0_S0_S2_.num_agpr, 0
	.set _Z14rdwdot8_kernelIdEvPKT_S2_PS0_S0_S2_.numbered_sgpr, 14
	.set _Z14rdwdot8_kernelIdEvPKT_S2_PS0_S0_S2_.num_named_barrier, 0
	.set _Z14rdwdot8_kernelIdEvPKT_S2_PS0_S0_S2_.private_seg_size, 0
	.set _Z14rdwdot8_kernelIdEvPKT_S2_PS0_S0_S2_.uses_vcc, 1
	.set _Z14rdwdot8_kernelIdEvPKT_S2_PS0_S0_S2_.uses_flat_scratch, 0
	.set _Z14rdwdot8_kernelIdEvPKT_S2_PS0_S0_S2_.has_dyn_sized_stack, 0
	.set _Z14rdwdot8_kernelIdEvPKT_S2_PS0_S0_S2_.has_recursion, 0
	.set _Z14rdwdot8_kernelIdEvPKT_S2_PS0_S0_S2_.has_indirect_call, 0
	.section	.AMDGPU.csdata,"",@progbits
; Kernel info:
; codeLenInByte = 4308
; TotalNumSgprs: 16
; NumVgprs: 78
; ScratchSize: 0
; MemoryBound: 0
; FloatMode: 240
; IeeeMode: 1
; LDSByteSize: 0 bytes/workgroup (compile time only)
; SGPRBlocks: 0
; VGPRBlocks: 9
; NumSGPRsForWavesPerEU: 16
; NumVGPRsForWavesPerEU: 78
; Occupancy: 16
; WaveLimiterHint : 0
; COMPUTE_PGM_RSRC2:SCRATCH_EN: 0
; COMPUTE_PGM_RSRC2:USER_SGPR: 2
; COMPUTE_PGM_RSRC2:TRAP_HANDLER: 0
; COMPUTE_PGM_RSRC2:TGID_X_EN: 1
; COMPUTE_PGM_RSRC2:TGID_Y_EN: 0
; COMPUTE_PGM_RSRC2:TGID_Z_EN: 0
; COMPUTE_PGM_RSRC2:TIDIG_COMP_CNT: 0
	.section	.text._Z14rdwdot9_kernelIdEvPKT_S2_PS0_S0_S2_,"axG",@progbits,_Z14rdwdot9_kernelIdEvPKT_S2_PS0_S0_S2_,comdat
	.protected	_Z14rdwdot9_kernelIdEvPKT_S2_PS0_S0_S2_ ; -- Begin function _Z14rdwdot9_kernelIdEvPKT_S2_PS0_S0_S2_
	.globl	_Z14rdwdot9_kernelIdEvPKT_S2_PS0_S0_S2_
	.p2align	8
	.type	_Z14rdwdot9_kernelIdEvPKT_S2_PS0_S0_S2_,@function
_Z14rdwdot9_kernelIdEvPKT_S2_PS0_S0_S2_: ; @_Z14rdwdot9_kernelIdEvPKT_S2_PS0_S0_S2_
; %bb.0:
	s_clause 0x1
	s_load_b32 s2, s[0:1], 0x34
	s_load_b96 s[8:10], s[0:1], 0x20
	s_wait_kmcnt 0x0
	s_and_b32 s11, s2, 0xffff
	s_load_b256 s[0:7], s[0:1], 0x0
	v_mad_co_u64_u32 v[2:3], null, ttmp9, s11, v[0:1]
	s_mul_i32 s10, s10, s11
	s_wait_alu 0xfffe
	s_mul_i32 s15, s10, 5
	s_mul_i32 s11, s10, 6
	s_mul_i32 s13, s10, 3
	s_lshl_b32 s14, s10, 2
	v_mad_co_u64_u32 v[0:1], null, s10, 26, v[2:3]
	v_mov_b32_e32 v1, 0
	s_lshl_b32 s12, s10, 1
	s_lshl_b32 s16, s10, 3
	s_delay_alu instid0(VALU_DEP_1) | instskip(SKIP_1) | instid1(VALU_DEP_1)
	v_lshlrev_b64_e32 v[4:5], 3, v[0:1]
	v_dual_mov_b32 v3, v1 :: v_dual_add_nc_u32 v0, s10, v0
	v_lshlrev_b64_e32 v[8:9], 3, v[0:1]
	v_add_nc_u32_e32 v0, s10, v2
	s_delay_alu instid0(VALU_DEP_3) | instskip(NEXT) | instid1(VALU_DEP_2)
	v_lshlrev_b64_e32 v[6:7], 3, v[2:3]
	v_lshlrev_b64_e32 v[10:11], 3, v[0:1]
	v_add_nc_u32_e32 v0, s10, v0
	s_wait_kmcnt 0x0
	s_delay_alu instid0(VALU_DEP_3) | instskip(NEXT) | instid1(VALU_DEP_1)
	v_add_co_u32 v2, vcc_lo, s0, v6
	v_add_co_ci_u32_e64 v3, null, s1, v7, vcc_lo
	v_add_co_u32 v6, vcc_lo, s2, v6
	s_wait_alu 0xfffd
	v_add_co_ci_u32_e64 v7, null, s3, v7, vcc_lo
	v_add_co_u32 v12, vcc_lo, s0, v10
	s_wait_alu 0xfffd
	;; [unrolled: 3-line block ×3, first 2 shown]
	v_add_co_ci_u32_e64 v11, null, s3, v11, vcc_lo
	global_load_b64 v[2:3], v[2:3], off
	global_load_b64 v[6:7], v[6:7], off
	;; [unrolled: 1-line block ×4, first 2 shown]
	v_lshlrev_b64_e32 v[14:15], 3, v[0:1]
	v_add_nc_u32_e32 v0, s10, v0
	s_delay_alu instid0(VALU_DEP_2) | instskip(SKIP_1) | instid1(VALU_DEP_3)
	v_add_co_u32 v16, vcc_lo, s0, v14
	s_wait_alu 0xfffd
	v_add_co_ci_u32_e64 v17, null, s1, v15, vcc_lo
	v_add_co_u32 v14, vcc_lo, s2, v14
	s_wait_alu 0xfffd
	v_add_co_ci_u32_e64 v15, null, s3, v15, vcc_lo
	global_load_b64 v[16:17], v[16:17], off
	global_load_b64 v[14:15], v[14:15], off
	v_lshlrev_b64_e32 v[18:19], 3, v[0:1]
	v_add_nc_u32_e32 v0, s15, v0
	s_delay_alu instid0(VALU_DEP_2) | instskip(SKIP_1) | instid1(VALU_DEP_3)
	v_add_co_u32 v20, vcc_lo, s0, v18
	s_wait_alu 0xfffd
	v_add_co_ci_u32_e64 v21, null, s1, v19, vcc_lo
	v_add_co_u32 v18, vcc_lo, s2, v18
	s_wait_alu 0xfffd
	v_add_co_ci_u32_e64 v19, null, s3, v19, vcc_lo
	global_load_b64 v[20:21], v[20:21], off
	global_load_b64 v[18:19], v[18:19], off
	;; [unrolled: 11-line block ×3, first 2 shown]
	v_lshlrev_b64_e32 v[26:27], 3, v[0:1]
	s_wait_alu 0xfffe
	v_add_nc_u32_e32 v0, s11, v0
	s_delay_alu instid0(VALU_DEP_2) | instskip(SKIP_1) | instid1(VALU_DEP_3)
	v_add_co_u32 v28, vcc_lo, s0, v26
	s_wait_alu 0xfffd
	v_add_co_ci_u32_e64 v29, null, s1, v27, vcc_lo
	v_add_co_u32 v26, vcc_lo, s2, v26
	s_wait_alu 0xfffd
	v_add_co_ci_u32_e64 v27, null, s3, v27, vcc_lo
	global_load_b64 v[28:29], v[28:29], off
	global_load_b64 v[26:27], v[26:27], off
	v_lshlrev_b64_e32 v[30:31], 3, v[0:1]
	v_add_nc_u32_e32 v0, s13, v0
	s_delay_alu instid0(VALU_DEP_2) | instskip(SKIP_1) | instid1(VALU_DEP_3)
	v_add_co_u32 v32, vcc_lo, s0, v30
	s_wait_alu 0xfffd
	v_add_co_ci_u32_e64 v33, null, s1, v31, vcc_lo
	v_add_co_u32 v30, vcc_lo, s2, v30
	s_wait_alu 0xfffd
	v_add_co_ci_u32_e64 v31, null, s3, v31, vcc_lo
	global_load_b64 v[32:33], v[32:33], off
	global_load_b64 v[30:31], v[30:31], off
	v_lshlrev_b64_e32 v[34:35], 3, v[0:1]
	v_add_nc_u32_e32 v0, s10, v0
	s_delay_alu instid0(VALU_DEP_2) | instskip(SKIP_1) | instid1(VALU_DEP_3)
	v_add_co_u32 v36, vcc_lo, s0, v34
	s_wait_alu 0xfffd
	v_add_co_ci_u32_e64 v37, null, s1, v35, vcc_lo
	v_add_co_u32 v34, vcc_lo, s2, v34
	s_wait_alu 0xfffd
	v_add_co_ci_u32_e64 v35, null, s3, v35, vcc_lo
	global_load_b64 v[36:37], v[36:37], off
	global_load_b64 v[34:35], v[34:35], off
	s_wait_loadcnt 0xe
	v_add_f64_e64 v[2:3], v[2:3], -v[6:7]
	s_wait_loadcnt 0xc
	v_add_f64_e64 v[6:7], v[12:13], -v[10:11]
	s_wait_loadcnt 0xa
	v_add_f64_e64 v[10:11], v[16:17], -v[14:15]
	s_wait_loadcnt 0x8
	v_add_f64_e64 v[14:15], v[20:21], -v[18:19]
	s_delay_alu instid0(VALU_DEP_3) | instskip(SKIP_2) | instid1(VALU_DEP_2)
	v_add_f64_e32 v[2:3], v[2:3], v[6:7]
	v_lshlrev_b64_e32 v[6:7], 3, v[0:1]
	v_add_nc_u32_e32 v0, s10, v0
	v_add_co_u32 v12, vcc_lo, s0, v6
	s_wait_alu 0xfffd
	s_delay_alu instid0(VALU_DEP_3)
	v_add_co_ci_u32_e64 v13, null, s1, v7, vcc_lo
	v_add_co_u32 v6, vcc_lo, s2, v6
	s_wait_alu 0xfffd
	v_add_co_ci_u32_e64 v7, null, s3, v7, vcc_lo
	global_load_b64 v[12:13], v[12:13], off
	global_load_b64 v[6:7], v[6:7], off
	s_wait_loadcnt 0x8
	v_add_f64_e64 v[22:23], v[24:25], -v[22:23]
	s_wait_loadcnt 0x6
	v_add_f64_e64 v[26:27], v[28:29], -v[26:27]
	v_add_f64_e64 v[2:3], v[2:3], -v[10:11]
	v_lshlrev_b64_e32 v[10:11], 3, v[0:1]
	v_add_nc_u32_e32 v0, s14, v0
	s_delay_alu instid0(VALU_DEP_2) | instskip(SKIP_1) | instid1(VALU_DEP_3)
	v_add_co_u32 v16, vcc_lo, s0, v10
	s_wait_alu 0xfffd
	v_add_co_ci_u32_e64 v17, null, s1, v11, vcc_lo
	v_add_co_u32 v10, vcc_lo, s2, v10
	s_wait_alu 0xfffd
	v_add_co_ci_u32_e64 v11, null, s3, v11, vcc_lo
	global_load_b64 v[16:17], v[16:17], off
	global_load_b64 v[10:11], v[10:11], off
	v_lshlrev_b64_e32 v[18:19], 3, v[0:1]
	v_add_nc_u32_e32 v0, s10, v0
	s_delay_alu instid0(VALU_DEP_2) | instskip(SKIP_1) | instid1(VALU_DEP_3)
	v_add_co_u32 v20, vcc_lo, s0, v18
	s_wait_alu 0xfffd
	v_add_co_ci_u32_e64 v21, null, s1, v19, vcc_lo
	v_add_co_u32 v18, vcc_lo, s2, v18
	s_wait_alu 0xfffd
	v_add_co_ci_u32_e64 v19, null, s3, v19, vcc_lo
	global_load_b64 v[20:21], v[20:21], off
	global_load_b64 v[18:19], v[18:19], off
	v_add_co_u32 v38, vcc_lo, s0, v4
	s_wait_alu 0xfffd
	v_add_co_ci_u32_e64 v39, null, s1, v5, vcc_lo
	v_add_f64_e64 v[2:3], v[2:3], -v[14:15]
	v_add_co_u32 v4, vcc_lo, s2, v4
	v_lshlrev_b64_e32 v[24:25], 3, v[0:1]
	s_wait_alu 0xfffd
	v_add_co_ci_u32_e64 v5, null, s3, v5, vcc_lo
	global_load_b64 v[38:39], v[38:39], off
	v_add_nc_u32_e32 v0, s14, v0
	s_wait_loadcnt 0x7
	v_add_f64_e64 v[34:35], v[36:37], -v[34:35]
	v_add_f64_e64 v[2:3], v[2:3], -v[14:15]
	v_add_co_u32 v14, vcc_lo, s0, v8
	s_wait_alu 0xfffd
	v_add_co_ci_u32_e64 v15, null, s1, v9, vcc_lo
	v_add_co_u32 v8, vcc_lo, s2, v8
	s_wait_alu 0xfffd
	v_add_co_ci_u32_e64 v9, null, s3, v9, vcc_lo
	;; [unrolled: 3-line block ×4, first 2 shown]
	global_load_b64 v[4:5], v[4:5], off
	global_load_b64 v[14:15], v[14:15], off
	global_load_b64 v[8:9], v[8:9], off
	global_load_b64 v[40:41], v[40:41], off
	global_load_b64 v[24:25], v[24:25], off
	v_add_f64_e64 v[2:3], v[2:3], -v[22:23]
	v_add_f64_e64 v[22:23], v[32:33], -v[30:31]
	s_delay_alu instid0(VALU_DEP_2) | instskip(SKIP_2) | instid1(VALU_DEP_2)
	v_add_f64_e32 v[2:3], v[2:3], v[26:27]
	v_lshlrev_b64_e32 v[26:27], 3, v[0:1]
	v_add_nc_u32_e32 v0, s13, v0
	v_add_co_u32 v28, vcc_lo, s0, v26
	s_wait_alu 0xfffd
	s_delay_alu instid0(VALU_DEP_3)
	v_add_co_ci_u32_e64 v29, null, s1, v27, vcc_lo
	v_add_co_u32 v26, vcc_lo, s2, v26
	s_wait_alu 0xfffd
	v_add_co_ci_u32_e64 v27, null, s3, v27, vcc_lo
	global_load_b64 v[28:29], v[28:29], off
	global_load_b64 v[26:27], v[26:27], off
	v_lshlrev_b64_e32 v[30:31], 3, v[0:1]
	v_add_nc_u32_e32 v0, s12, v0
	s_delay_alu instid0(VALU_DEP_2) | instskip(SKIP_1) | instid1(VALU_DEP_3)
	v_add_co_u32 v32, vcc_lo, s0, v30
	s_wait_alu 0xfffd
	v_add_co_ci_u32_e64 v33, null, s1, v31, vcc_lo
	v_add_co_u32 v30, vcc_lo, s2, v30
	s_wait_alu 0xfffd
	v_add_co_ci_u32_e64 v31, null, s3, v31, vcc_lo
	global_load_b64 v[32:33], v[32:33], off
	global_load_b64 v[30:31], v[30:31], off
	v_add_f64_e64 v[2:3], v[2:3], -v[22:23]
	s_delay_alu instid0(VALU_DEP_1) | instskip(SKIP_2) | instid1(VALU_DEP_2)
	v_add_f64_e64 v[2:3], v[2:3], -v[22:23]
	v_lshlrev_b64_e32 v[22:23], 3, v[0:1]
	v_add_nc_u32_e32 v0, s16, v0
	v_add_co_u32 v36, vcc_lo, s0, v22
	s_wait_alu 0xfffd
	s_delay_alu instid0(VALU_DEP_3)
	v_add_co_ci_u32_e64 v37, null, s1, v23, vcc_lo
	v_add_co_u32 v22, vcc_lo, s2, v22
	s_wait_alu 0xfffd
	v_add_co_ci_u32_e64 v23, null, s3, v23, vcc_lo
	global_load_b64 v[36:37], v[36:37], off
	global_load_b64 v[22:23], v[22:23], off
	v_lshlrev_b64_e32 v[42:43], 3, v[0:1]
	v_add_nc_u32_e32 v0, s12, v0
	s_delay_alu instid0(VALU_DEP_2) | instskip(SKIP_1) | instid1(VALU_DEP_3)
	v_add_co_u32 v44, vcc_lo, s0, v42
	s_wait_alu 0xfffd
	v_add_co_ci_u32_e64 v45, null, s1, v43, vcc_lo
	v_add_co_u32 v42, vcc_lo, s2, v42
	s_wait_alu 0xfffd
	v_add_co_ci_u32_e64 v43, null, s3, v43, vcc_lo
	global_load_b64 v[44:45], v[44:45], off
	global_load_b64 v[42:43], v[42:43], off
	v_add_f64_e32 v[2:3], v[2:3], v[34:35]
	s_wait_loadcnt 0x12
	v_add_f64_e64 v[6:7], v[12:13], -v[6:7]
	v_lshlrev_b64_e32 v[12:13], 3, v[0:1]
	v_add_nc_u32_e32 v0, s11, v0
	s_delay_alu instid0(VALU_DEP_4) | instskip(NEXT) | instid1(VALU_DEP_3)
	v_add_f64_e32 v[2:3], v[34:35], v[2:3]
	v_add_co_u32 v34, vcc_lo, s0, v12
	s_wait_alu 0xfffd
	s_delay_alu instid0(VALU_DEP_4)
	v_add_co_ci_u32_e64 v35, null, s1, v13, vcc_lo
	v_add_co_u32 v12, vcc_lo, s2, v12
	s_wait_alu 0xfffd
	v_add_co_ci_u32_e64 v13, null, s3, v13, vcc_lo
	global_load_b64 v[34:35], v[34:35], off
	global_load_b64 v[12:13], v[12:13], off
	s_wait_loadcnt 0x12
	v_add_f64_e64 v[10:11], v[16:17], -v[10:11]
	v_add_f64_e32 v[2:3], v[2:3], v[6:7]
	v_lshlrev_b64_e32 v[6:7], 3, v[0:1]
	v_add_nc_u32_e32 v0, s12, v0
	s_delay_alu instid0(VALU_DEP_2) | instskip(SKIP_1) | instid1(VALU_DEP_3)
	v_add_co_u32 v16, vcc_lo, s0, v6
	s_wait_alu 0xfffd
	v_add_co_ci_u32_e64 v17, null, s1, v7, vcc_lo
	v_add_co_u32 v6, vcc_lo, s2, v6
	s_wait_alu 0xfffd
	v_add_co_ci_u32_e64 v7, null, s3, v7, vcc_lo
	global_load_b64 v[16:17], v[16:17], off
	global_load_b64 v[6:7], v[6:7], off
	s_wait_loadcnt 0x12
	v_add_f64_e64 v[18:19], v[20:21], -v[18:19]
	v_add_f64_e64 v[2:3], v[2:3], -v[10:11]
	v_lshlrev_b64_e32 v[10:11], 3, v[0:1]
	v_add_nc_u32_e32 v0, s10, v0
	s_delay_alu instid0(VALU_DEP_2) | instskip(SKIP_1) | instid1(VALU_DEP_3)
	v_add_co_u32 v20, vcc_lo, s0, v10
	s_wait_alu 0xfffd
	v_add_co_ci_u32_e64 v21, null, s1, v11, vcc_lo
	v_add_co_u32 v10, vcc_lo, s2, v10
	s_wait_alu 0xfffd
	v_add_co_ci_u32_e64 v11, null, s3, v11, vcc_lo
	global_load_b64 v[20:21], v[20:21], off
	global_load_b64 v[10:11], v[10:11], off
	s_wait_loadcnt 0x12
	v_add_f64_e64 v[4:5], v[38:39], -v[4:5]
	s_wait_loadcnt 0x10
	v_add_f64_e64 v[8:9], v[14:15], -v[8:9]
	;; [unrolled: 2-line block ×3, first 2 shown]
	v_add_f64_e32 v[2:3], v[2:3], v[18:19]
	v_lshlrev_b64_e32 v[18:19], 3, v[0:1]
	v_add_nc_u32_e32 v0, s10, v0
	s_delay_alu instid0(VALU_DEP_2) | instskip(SKIP_1) | instid1(VALU_DEP_3)
	v_add_co_u32 v24, vcc_lo, s0, v18
	s_wait_alu 0xfffd
	v_add_co_ci_u32_e64 v25, null, s1, v19, vcc_lo
	v_add_co_u32 v18, vcc_lo, s2, v18
	s_wait_alu 0xfffd
	v_add_co_ci_u32_e64 v19, null, s3, v19, vcc_lo
	global_load_b64 v[24:25], v[24:25], off
	global_load_b64 v[18:19], v[18:19], off
	v_add_f64_e32 v[4:5], v[4:5], v[8:9]
	v_lshlrev_b64_e32 v[8:9], 3, v[0:1]
	v_add_nc_u32_e32 v0, s16, v0
	v_add_f64_e32 v[2:3], v[2:3], v[14:15]
	s_delay_alu instid0(VALU_DEP_3) | instskip(SKIP_1) | instid1(VALU_DEP_4)
	v_add_co_u32 v14, vcc_lo, s0, v8
	s_wait_alu 0xfffd
	v_add_co_ci_u32_e64 v15, null, s1, v9, vcc_lo
	v_add_co_u32 v8, vcc_lo, s2, v8
	s_wait_alu 0xfffd
	v_add_co_ci_u32_e64 v9, null, s3, v9, vcc_lo
	global_load_b64 v[14:15], v[14:15], off
	global_load_b64 v[8:9], v[8:9], off
	s_wait_loadcnt 0x10
	v_add_f64_e64 v[26:27], v[28:29], -v[26:27]
	v_add_f64_e64 v[2:3], v[2:3], -v[4:5]
	v_lshlrev_b64_e32 v[4:5], 3, v[0:1]
	v_add_nc_u32_e32 v0, s12, v0
	s_delay_alu instid0(VALU_DEP_2) | instskip(SKIP_1) | instid1(VALU_DEP_3)
	v_add_co_u32 v28, vcc_lo, s0, v4
	s_wait_alu 0xfffd
	v_add_co_ci_u32_e64 v29, null, s1, v5, vcc_lo
	v_add_co_u32 v4, vcc_lo, s2, v4
	s_wait_alu 0xfffd
	v_add_co_ci_u32_e64 v5, null, s3, v5, vcc_lo
	global_load_b64 v[28:29], v[28:29], off
	global_load_b64 v[4:5], v[4:5], off
	s_wait_loadcnt 0x10
	v_add_f64_e64 v[30:31], v[32:33], -v[30:31]
	v_add_f64_e64 v[2:3], v[2:3], -v[26:27]
	v_lshlrev_b64_e32 v[26:27], 3, v[0:1]
	v_add_nc_u32_e32 v0, s16, v0
	s_delay_alu instid0(VALU_DEP_2) | instskip(SKIP_1) | instid1(VALU_DEP_3)
	v_add_co_u32 v32, vcc_lo, s0, v26
	s_wait_alu 0xfffd
	v_add_co_ci_u32_e64 v33, null, s1, v27, vcc_lo
	v_add_co_u32 v26, vcc_lo, s2, v26
	s_wait_alu 0xfffd
	v_add_co_ci_u32_e64 v27, null, s3, v27, vcc_lo
	global_load_b64 v[32:33], v[32:33], off
	global_load_b64 v[26:27], v[26:27], off
	s_wait_loadcnt 0x10
	v_add_f64_e64 v[22:23], v[36:37], -v[22:23]
	v_add_f64_e32 v[2:3], v[2:3], v[30:31]
	v_lshlrev_b64_e32 v[30:31], 3, v[0:1]
	v_add_nc_u32_e32 v0, s10, v0
	s_delay_alu instid0(VALU_DEP_2) | instskip(SKIP_1) | instid1(VALU_DEP_3)
	v_add_co_u32 v36, vcc_lo, s0, v30
	s_wait_alu 0xfffd
	v_add_co_ci_u32_e64 v37, null, s1, v31, vcc_lo
	v_add_co_u32 v30, vcc_lo, s2, v30
	s_wait_alu 0xfffd
	v_add_co_ci_u32_e64 v31, null, s3, v31, vcc_lo
	global_load_b64 v[36:37], v[36:37], off
	global_load_b64 v[30:31], v[30:31], off
	s_wait_loadcnt 0x10
	v_add_f64_e64 v[38:39], v[44:45], -v[42:43]
	v_add_f64_e64 v[2:3], v[2:3], -v[22:23]
	v_lshlrev_b64_e32 v[22:23], 3, v[0:1]
	v_add_nc_u32_e32 v0, s11, v0
	s_delay_alu instid0(VALU_DEP_2) | instskip(SKIP_1) | instid1(VALU_DEP_3)
	v_add_co_u32 v40, vcc_lo, s0, v22
	s_wait_alu 0xfffd
	v_add_co_ci_u32_e64 v41, null, s1, v23, vcc_lo
	v_add_co_u32 v22, vcc_lo, s2, v22
	s_wait_alu 0xfffd
	v_add_co_ci_u32_e64 v23, null, s3, v23, vcc_lo
	global_load_b64 v[40:41], v[40:41], off
	global_load_b64 v[22:23], v[22:23], off
	s_wait_loadcnt 0x10
	v_add_f64_e64 v[12:13], v[34:35], -v[12:13]
	v_lshlrev_b64_e32 v[34:35], 3, v[0:1]
	v_add_nc_u32_e32 v0, s10, v0
	v_add_f64_e32 v[2:3], v[2:3], v[38:39]
	s_delay_alu instid0(VALU_DEP_3) | instskip(SKIP_1) | instid1(VALU_DEP_4)
	v_add_co_u32 v38, vcc_lo, s0, v34
	s_wait_alu 0xfffd
	v_add_co_ci_u32_e64 v39, null, s1, v35, vcc_lo
	v_add_co_u32 v34, vcc_lo, s2, v34
	s_wait_alu 0xfffd
	v_add_co_ci_u32_e64 v35, null, s3, v35, vcc_lo
	global_load_b64 v[38:39], v[38:39], off
	global_load_b64 v[34:35], v[34:35], off
	s_wait_loadcnt 0x10
	v_add_f64_e64 v[6:7], v[16:17], -v[6:7]
	v_add_f64_e64 v[2:3], v[2:3], -v[12:13]
	v_lshlrev_b64_e32 v[12:13], 3, v[0:1]
	v_add_nc_u32_e32 v0, s12, v0
	s_delay_alu instid0(VALU_DEP_2) | instskip(SKIP_1) | instid1(VALU_DEP_3)
	v_add_co_u32 v16, vcc_lo, s0, v12
	s_wait_alu 0xfffd
	v_add_co_ci_u32_e64 v17, null, s1, v13, vcc_lo
	v_add_co_u32 v12, vcc_lo, s2, v12
	s_wait_alu 0xfffd
	v_add_co_ci_u32_e64 v13, null, s3, v13, vcc_lo
	global_load_b64 v[16:17], v[16:17], off
	global_load_b64 v[12:13], v[12:13], off
	s_wait_loadcnt 0x10
	v_add_f64_e64 v[10:11], v[20:21], -v[10:11]
	v_add_f64_e32 v[2:3], v[2:3], v[6:7]
	v_lshlrev_b64_e32 v[6:7], 3, v[0:1]
	v_add_nc_u32_e32 v0, s12, v0
	s_delay_alu instid0(VALU_DEP_2) | instskip(SKIP_1) | instid1(VALU_DEP_3)
	v_add_co_u32 v20, vcc_lo, s0, v6
	s_wait_alu 0xfffd
	v_add_co_ci_u32_e64 v21, null, s1, v7, vcc_lo
	v_add_co_u32 v6, vcc_lo, s2, v6
	s_wait_alu 0xfffd
	v_add_co_ci_u32_e64 v7, null, s3, v7, vcc_lo
	global_load_b64 v[20:21], v[20:21], off
	global_load_b64 v[6:7], v[6:7], off
	v_mad_co_u64_u32 v[42:43], null, s10, 12, v[0:1]
	v_mov_b32_e32 v43, v1
	s_wait_loadcnt 0x10
	v_add_f64_e64 v[18:19], v[24:25], -v[18:19]
	v_add_f64_e64 v[2:3], v[2:3], -v[10:11]
	v_lshlrev_b64_e32 v[10:11], 3, v[0:1]
	v_add_nc_u32_e32 v0, s12, v42
	s_delay_alu instid0(VALU_DEP_2) | instskip(SKIP_1) | instid1(VALU_DEP_3)
	v_add_co_u32 v24, vcc_lo, s0, v10
	s_wait_alu 0xfffd
	v_add_co_ci_u32_e64 v25, null, s1, v11, vcc_lo
	v_add_co_u32 v10, vcc_lo, s2, v10
	s_wait_alu 0xfffd
	v_add_co_ci_u32_e64 v11, null, s3, v11, vcc_lo
	global_load_b64 v[24:25], v[24:25], off
	global_load_b64 v[10:11], v[10:11], off
	s_wait_loadcnt 0x10
	v_add_f64_e64 v[8:9], v[14:15], -v[8:9]
	v_lshlrev_b64_e32 v[14:15], 3, v[42:43]
	v_add_f64_e64 v[2:3], v[2:3], -v[18:19]
	s_delay_alu instid0(VALU_DEP_2) | instskip(SKIP_1) | instid1(VALU_DEP_3)
	v_add_co_u32 v18, vcc_lo, s0, v14
	s_wait_alu 0xfffd
	v_add_co_ci_u32_e64 v19, null, s1, v15, vcc_lo
	v_add_co_u32 v14, vcc_lo, s2, v14
	s_wait_alu 0xfffd
	v_add_co_ci_u32_e64 v15, null, s3, v15, vcc_lo
	global_load_b64 v[18:19], v[18:19], off
	global_load_b64 v[14:15], v[14:15], off
	s_wait_loadcnt 0x10
	v_add_f64_e64 v[4:5], v[28:29], -v[4:5]
	v_add_f64_e32 v[2:3], v[2:3], v[8:9]
	v_lshlrev_b64_e32 v[8:9], 3, v[0:1]
	v_add_nc_u32_e32 v0, s10, v0
	s_delay_alu instid0(VALU_DEP_2) | instskip(SKIP_1) | instid1(VALU_DEP_3)
	v_add_co_u32 v28, vcc_lo, s0, v8
	s_wait_alu 0xfffd
	v_add_co_ci_u32_e64 v29, null, s1, v9, vcc_lo
	v_add_co_u32 v8, vcc_lo, s2, v8
	s_wait_alu 0xfffd
	v_add_co_ci_u32_e64 v9, null, s3, v9, vcc_lo
	global_load_b64 v[28:29], v[28:29], off
	global_load_b64 v[8:9], v[8:9], off
	s_wait_loadcnt 0x10
	v_add_f64_e64 v[26:27], v[32:33], -v[26:27]
	v_add_f64_e64 v[2:3], v[2:3], -v[4:5]
	v_lshlrev_b64_e32 v[4:5], 3, v[0:1]
	v_add_nc_u32_e32 v0, s13, v0
	s_delay_alu instid0(VALU_DEP_2) | instskip(SKIP_1) | instid1(VALU_DEP_3)
	v_add_co_u32 v32, vcc_lo, s0, v4
	s_wait_alu 0xfffd
	v_add_co_ci_u32_e64 v33, null, s1, v5, vcc_lo
	v_add_co_u32 v4, vcc_lo, s2, v4
	s_wait_alu 0xfffd
	v_add_co_ci_u32_e64 v5, null, s3, v5, vcc_lo
	global_load_b64 v[32:33], v[32:33], off
	global_load_b64 v[4:5], v[4:5], off
	s_wait_loadcnt 0x10
	v_add_f64_e64 v[30:31], v[36:37], -v[30:31]
	v_add_f64_e32 v[2:3], v[2:3], v[26:27]
	v_lshlrev_b64_e32 v[26:27], 3, v[0:1]
	v_add_nc_u32_e32 v0, s10, v0
	s_delay_alu instid0(VALU_DEP_2) | instskip(SKIP_1) | instid1(VALU_DEP_3)
	v_add_co_u32 v36, vcc_lo, s0, v26
	s_wait_alu 0xfffd
	v_add_co_ci_u32_e64 v37, null, s1, v27, vcc_lo
	v_add_co_u32 v26, vcc_lo, s2, v26
	s_wait_alu 0xfffd
	v_add_co_ci_u32_e64 v27, null, s3, v27, vcc_lo
	global_load_b64 v[36:37], v[36:37], off
	global_load_b64 v[26:27], v[26:27], off
	s_wait_loadcnt 0x10
	v_add_f64_e64 v[22:23], v[40:41], -v[22:23]
	v_add_f64_e32 v[2:3], v[2:3], v[30:31]
	v_lshlrev_b64_e32 v[30:31], 3, v[0:1]
	v_add_nc_u32_e32 v0, s11, v0
	s_delay_alu instid0(VALU_DEP_2) | instskip(SKIP_1) | instid1(VALU_DEP_3)
	v_add_co_u32 v40, vcc_lo, s0, v30
	s_wait_alu 0xfffd
	v_add_co_ci_u32_e64 v41, null, s1, v31, vcc_lo
	v_add_co_u32 v30, vcc_lo, s2, v30
	s_wait_alu 0xfffd
	v_add_co_ci_u32_e64 v31, null, s3, v31, vcc_lo
	global_load_b64 v[40:41], v[40:41], off
	global_load_b64 v[30:31], v[30:31], off
	s_wait_loadcnt 0x10
	v_add_f64_e64 v[34:35], v[38:39], -v[34:35]
	v_add_f64_e64 v[2:3], v[2:3], -v[22:23]
	v_lshlrev_b64_e32 v[22:23], 3, v[0:1]
	v_add_nc_u32_e32 v0, s16, v0
	s_delay_alu instid0(VALU_DEP_2) | instskip(SKIP_1) | instid1(VALU_DEP_3)
	v_add_co_u32 v38, vcc_lo, s0, v22
	s_wait_alu 0xfffd
	v_add_co_ci_u32_e64 v39, null, s1, v23, vcc_lo
	v_add_co_u32 v22, vcc_lo, s2, v22
	s_wait_alu 0xfffd
	v_add_co_ci_u32_e64 v23, null, s3, v23, vcc_lo
	global_load_b64 v[38:39], v[38:39], off
	global_load_b64 v[22:23], v[22:23], off
	s_wait_loadcnt 0x10
	v_add_f64_e64 v[12:13], v[16:17], -v[12:13]
	v_lshlrev_b64_e32 v[16:17], 3, v[0:1]
	v_add_nc_u32_e32 v0, s10, v0
	v_add_f64_e64 v[2:3], v[2:3], -v[34:35]
	s_delay_alu instid0(VALU_DEP_3) | instskip(SKIP_1) | instid1(VALU_DEP_4)
	v_add_co_u32 v34, vcc_lo, s0, v16
	s_wait_alu 0xfffd
	v_add_co_ci_u32_e64 v35, null, s1, v17, vcc_lo
	v_add_co_u32 v16, vcc_lo, s2, v16
	s_wait_alu 0xfffd
	v_add_co_ci_u32_e64 v17, null, s3, v17, vcc_lo
	global_load_b64 v[34:35], v[34:35], off
	global_load_b64 v[16:17], v[16:17], off
	s_wait_loadcnt 0x10
	v_add_f64_e64 v[6:7], v[20:21], -v[6:7]
	v_add_f64_e64 v[2:3], v[2:3], -v[12:13]
	v_lshlrev_b64_e32 v[12:13], 3, v[0:1]
	v_add_nc_u32_e32 v0, s15, v0
	s_delay_alu instid0(VALU_DEP_2) | instskip(SKIP_1) | instid1(VALU_DEP_3)
	v_add_co_u32 v20, vcc_lo, s0, v12
	s_wait_alu 0xfffd
	v_add_co_ci_u32_e64 v21, null, s1, v13, vcc_lo
	v_add_co_u32 v12, vcc_lo, s2, v12
	s_wait_alu 0xfffd
	v_add_co_ci_u32_e64 v13, null, s3, v13, vcc_lo
	global_load_b64 v[20:21], v[20:21], off
	global_load_b64 v[12:13], v[12:13], off
	s_wait_loadcnt 0x10
	v_add_f64_e64 v[10:11], v[24:25], -v[10:11]
	v_add_f64_e32 v[2:3], v[2:3], v[6:7]
	v_lshlrev_b64_e32 v[6:7], 3, v[0:1]
	v_add_nc_u32_e32 v0, s15, v0
	s_delay_alu instid0(VALU_DEP_2) | instskip(SKIP_1) | instid1(VALU_DEP_3)
	v_add_co_u32 v24, vcc_lo, s0, v6
	s_wait_alu 0xfffd
	v_add_co_ci_u32_e64 v25, null, s1, v7, vcc_lo
	v_add_co_u32 v6, vcc_lo, s2, v6
	s_wait_alu 0xfffd
	v_add_co_ci_u32_e64 v7, null, s3, v7, vcc_lo
	global_load_b64 v[24:25], v[24:25], off
	global_load_b64 v[6:7], v[6:7], off
	s_wait_loadcnt 0x10
	v_add_f64_e64 v[14:15], v[18:19], -v[14:15]
	v_add_f64_e32 v[2:3], v[2:3], v[10:11]
	;; [unrolled: 14-line block ×4, first 2 shown]
	v_lshlrev_b64_e32 v[8:9], 3, v[0:1]
	v_add_nc_u32_e32 v0, s14, v0
	s_delay_alu instid0(VALU_DEP_2) | instskip(SKIP_1) | instid1(VALU_DEP_3)
	v_add_co_u32 v32, vcc_lo, s0, v8
	s_wait_alu 0xfffd
	v_add_co_ci_u32_e64 v33, null, s1, v9, vcc_lo
	v_add_co_u32 v8, vcc_lo, s2, v8
	s_wait_alu 0xfffd
	v_add_co_ci_u32_e64 v9, null, s3, v9, vcc_lo
	global_load_b64 v[32:33], v[32:33], off
	global_load_b64 v[8:9], v[8:9], off
	v_mad_co_u64_u32 v[42:43], null, s10, 10, v[0:1]
	v_mov_b32_e32 v43, v1
	s_wait_loadcnt 0x10
	v_add_f64_e64 v[26:27], v[36:37], -v[26:27]
	v_add_f64_e64 v[2:3], v[2:3], -v[4:5]
	v_lshlrev_b64_e32 v[4:5], 3, v[0:1]
	v_add_nc_u32_e32 v0, s10, v42
	s_delay_alu instid0(VALU_DEP_2) | instskip(SKIP_1) | instid1(VALU_DEP_3)
	v_add_co_u32 v36, vcc_lo, s0, v4
	s_wait_alu 0xfffd
	v_add_co_ci_u32_e64 v37, null, s1, v5, vcc_lo
	v_add_co_u32 v4, vcc_lo, s2, v4
	s_wait_alu 0xfffd
	v_add_co_ci_u32_e64 v5, null, s3, v5, vcc_lo
	global_load_b64 v[36:37], v[36:37], off
	global_load_b64 v[4:5], v[4:5], off
	s_wait_loadcnt 0x10
	v_add_f64_e64 v[30:31], v[40:41], -v[30:31]
	v_add_f64_e32 v[2:3], v[2:3], v[26:27]
	v_lshlrev_b64_e32 v[26:27], 3, v[42:43]
	s_delay_alu instid0(VALU_DEP_1) | instskip(SKIP_1) | instid1(VALU_DEP_2)
	v_add_co_u32 v40, vcc_lo, s0, v26
	s_wait_alu 0xfffd
	v_add_co_ci_u32_e64 v41, null, s1, v27, vcc_lo
	v_add_co_u32 v26, vcc_lo, s2, v26
	s_wait_alu 0xfffd
	v_add_co_ci_u32_e64 v27, null, s3, v27, vcc_lo
	global_load_b64 v[40:41], v[40:41], off
	global_load_b64 v[26:27], v[26:27], off
	s_wait_loadcnt 0x10
	v_add_f64_e64 v[22:23], v[38:39], -v[22:23]
	v_add_f64_e64 v[2:3], v[2:3], -v[30:31]
	v_lshlrev_b64_e32 v[30:31], 3, v[0:1]
	v_add_nc_u32_e32 v0, s12, v0
	s_delay_alu instid0(VALU_DEP_2) | instskip(SKIP_1) | instid1(VALU_DEP_3)
	v_add_co_u32 v38, vcc_lo, s0, v30
	s_wait_alu 0xfffd
	v_add_co_ci_u32_e64 v39, null, s1, v31, vcc_lo
	v_add_co_u32 v30, vcc_lo, s2, v30
	s_wait_alu 0xfffd
	v_add_co_ci_u32_e64 v31, null, s3, v31, vcc_lo
	global_load_b64 v[38:39], v[38:39], off
	global_load_b64 v[30:31], v[30:31], off
	s_wait_loadcnt 0x10
	v_add_f64_e64 v[16:17], v[34:35], -v[16:17]
	v_add_f64_e32 v[2:3], v[2:3], v[22:23]
	v_lshlrev_b64_e32 v[22:23], 3, v[0:1]
	v_add_nc_u32_e32 v0, s14, v0
	s_delay_alu instid0(VALU_DEP_2) | instskip(SKIP_1) | instid1(VALU_DEP_3)
	v_add_co_u32 v34, vcc_lo, s0, v22
	s_wait_alu 0xfffd
	v_add_co_ci_u32_e64 v35, null, s1, v23, vcc_lo
	v_add_co_u32 v22, vcc_lo, s2, v22
	s_wait_alu 0xfffd
	v_add_co_ci_u32_e64 v23, null, s3, v23, vcc_lo
	global_load_b64 v[34:35], v[34:35], off
	global_load_b64 v[22:23], v[22:23], off
	s_wait_loadcnt 0x10
	v_add_f64_e64 v[12:13], v[20:21], -v[12:13]
	v_add_f64_e64 v[2:3], v[2:3], -v[16:17]
	v_lshlrev_b64_e32 v[16:17], 3, v[0:1]
	v_add_nc_u32_e32 v0, s13, v0
	s_delay_alu instid0(VALU_DEP_2) | instskip(SKIP_1) | instid1(VALU_DEP_3)
	v_add_co_u32 v20, vcc_lo, s0, v16
	s_wait_alu 0xfffd
	v_add_co_ci_u32_e64 v21, null, s1, v17, vcc_lo
	v_add_co_u32 v16, vcc_lo, s2, v16
	s_wait_alu 0xfffd
	v_add_co_ci_u32_e64 v17, null, s3, v17, vcc_lo
	global_load_b64 v[20:21], v[20:21], off
	global_load_b64 v[16:17], v[16:17], off
	s_wait_loadcnt 0x10
	v_add_f64_e64 v[6:7], v[24:25], -v[6:7]
	v_add_f64_e64 v[2:3], v[2:3], -v[12:13]
	v_lshlrev_b64_e32 v[12:13], 3, v[0:1]
	v_add_nc_u32_e32 v0, s12, v0
	s_delay_alu instid0(VALU_DEP_2) | instskip(SKIP_1) | instid1(VALU_DEP_3)
	v_add_co_u32 v24, vcc_lo, s0, v12
	s_wait_alu 0xfffd
	v_add_co_ci_u32_e64 v25, null, s1, v13, vcc_lo
	v_add_co_u32 v12, vcc_lo, s2, v12
	s_wait_alu 0xfffd
	v_add_co_ci_u32_e64 v13, null, s3, v13, vcc_lo
	global_load_b64 v[24:25], v[24:25], off
	global_load_b64 v[12:13], v[12:13], off
	v_mad_co_u64_u32 v[42:43], null, s10, 14, v[0:1]
	v_mov_b32_e32 v43, v1
	s_wait_loadcnt 0x10
	v_add_f64_e64 v[10:11], v[18:19], -v[10:11]
	v_add_f64_e64 v[2:3], v[2:3], -v[6:7]
	v_lshlrev_b64_e32 v[6:7], 3, v[0:1]
	v_add_nc_u32_e32 v0, s14, v42
	s_delay_alu instid0(VALU_DEP_2) | instskip(SKIP_1) | instid1(VALU_DEP_3)
	v_add_co_u32 v18, vcc_lo, s0, v6
	s_wait_alu 0xfffd
	v_add_co_ci_u32_e64 v19, null, s1, v7, vcc_lo
	v_add_co_u32 v6, vcc_lo, s2, v6
	s_wait_alu 0xfffd
	v_add_co_ci_u32_e64 v7, null, s3, v7, vcc_lo
	global_load_b64 v[18:19], v[18:19], off
	global_load_b64 v[6:7], v[6:7], off
	s_wait_loadcnt 0x10
	v_add_f64_e64 v[14:15], v[28:29], -v[14:15]
	v_add_f64_e32 v[2:3], v[2:3], v[10:11]
	v_lshlrev_b64_e32 v[10:11], 3, v[42:43]
	s_delay_alu instid0(VALU_DEP_1) | instskip(SKIP_1) | instid1(VALU_DEP_2)
	v_add_co_u32 v28, vcc_lo, s0, v10
	s_wait_alu 0xfffd
	v_add_co_ci_u32_e64 v29, null, s1, v11, vcc_lo
	v_add_co_u32 v10, vcc_lo, s2, v10
	s_wait_alu 0xfffd
	v_add_co_ci_u32_e64 v11, null, s3, v11, vcc_lo
	global_load_b64 v[28:29], v[28:29], off
	global_load_b64 v[10:11], v[10:11], off
	s_wait_loadcnt 0x10
	v_add_f64_e64 v[8:9], v[32:33], -v[8:9]
	v_add_f64_e64 v[2:3], v[2:3], -v[14:15]
	v_lshlrev_b64_e32 v[14:15], 3, v[0:1]
	v_add_nc_u32_e32 v0, s10, v0
	s_delay_alu instid0(VALU_DEP_2) | instskip(SKIP_1) | instid1(VALU_DEP_3)
	v_add_co_u32 v32, vcc_lo, s0, v14
	s_wait_alu 0xfffd
	v_add_co_ci_u32_e64 v33, null, s1, v15, vcc_lo
	v_add_co_u32 v14, vcc_lo, s2, v14
	s_wait_alu 0xfffd
	v_add_co_ci_u32_e64 v15, null, s3, v15, vcc_lo
	global_load_b64 v[32:33], v[32:33], off
	global_load_b64 v[14:15], v[14:15], off
	s_wait_loadcnt 0x10
	v_add_f64_e64 v[4:5], v[36:37], -v[4:5]
	v_add_f64_e64 v[2:3], v[2:3], -v[8:9]
	v_lshlrev_b64_e32 v[8:9], 3, v[0:1]
	v_add_nc_u32_e32 v0, s11, v0
	s_delay_alu instid0(VALU_DEP_2) | instskip(SKIP_1) | instid1(VALU_DEP_3)
	v_add_co_u32 v36, vcc_lo, s0, v8
	s_wait_alu 0xfffd
	v_add_co_ci_u32_e64 v37, null, s1, v9, vcc_lo
	v_add_co_u32 v8, vcc_lo, s2, v8
	s_wait_alu 0xfffd
	v_add_co_ci_u32_e64 v9, null, s3, v9, vcc_lo
	global_load_b64 v[36:37], v[36:37], off
	global_load_b64 v[8:9], v[8:9], off
	v_mad_co_u64_u32 v[42:43], null, s10, 7, v[0:1]
	v_mov_b32_e32 v43, v1
	s_wait_loadcnt 0x10
	v_add_f64_e64 v[26:27], v[40:41], -v[26:27]
	v_add_f64_e32 v[2:3], v[2:3], v[4:5]
	v_lshlrev_b64_e32 v[4:5], 3, v[0:1]
	v_add_nc_u32_e32 v0, s10, v42
	s_delay_alu instid0(VALU_DEP_2) | instskip(SKIP_1) | instid1(VALU_DEP_3)
	v_add_co_u32 v40, vcc_lo, s0, v4
	s_wait_alu 0xfffd
	v_add_co_ci_u32_e64 v41, null, s1, v5, vcc_lo
	v_add_co_u32 v4, vcc_lo, s2, v4
	s_wait_alu 0xfffd
	v_add_co_ci_u32_e64 v5, null, s3, v5, vcc_lo
	global_load_b64 v[40:41], v[40:41], off
	global_load_b64 v[4:5], v[4:5], off
	s_wait_loadcnt 0x10
	v_add_f64_e64 v[30:31], v[38:39], -v[30:31]
	v_add_f64_e32 v[2:3], v[2:3], v[26:27]
	v_lshlrev_b64_e32 v[26:27], 3, v[42:43]
	s_delay_alu instid0(VALU_DEP_1) | instskip(SKIP_1) | instid1(VALU_DEP_2)
	v_add_co_u32 v38, vcc_lo, s0, v26
	s_wait_alu 0xfffd
	v_add_co_ci_u32_e64 v39, null, s1, v27, vcc_lo
	v_add_co_u32 v26, vcc_lo, s2, v26
	s_wait_alu 0xfffd
	v_add_co_ci_u32_e64 v27, null, s3, v27, vcc_lo
	global_load_b64 v[38:39], v[38:39], off
	global_load_b64 v[26:27], v[26:27], off
	s_wait_loadcnt 0x10
	v_add_f64_e64 v[22:23], v[34:35], -v[22:23]
	v_add_f64_e64 v[2:3], v[2:3], -v[30:31]
	v_lshlrev_b64_e32 v[30:31], 3, v[0:1]
	v_add_nc_u32_e32 v0, s11, v0
	s_delay_alu instid0(VALU_DEP_2) | instskip(SKIP_1) | instid1(VALU_DEP_3)
	v_add_co_u32 v34, vcc_lo, s0, v30
	s_wait_alu 0xfffd
	v_add_co_ci_u32_e64 v35, null, s1, v31, vcc_lo
	v_add_co_u32 v30, vcc_lo, s2, v30
	s_wait_alu 0xfffd
	v_add_co_ci_u32_e64 v31, null, s3, v31, vcc_lo
	global_load_b64 v[34:35], v[34:35], off
	global_load_b64 v[30:31], v[30:31], off
	s_wait_loadcnt 0x10
	v_add_f64_e64 v[16:17], v[20:21], -v[16:17]
	v_lshlrev_b64_e32 v[20:21], 3, v[0:1]
	v_add_nc_u32_e32 v0, s12, v0
	v_add_f64_e32 v[2:3], v[2:3], v[22:23]
	s_delay_alu instid0(VALU_DEP_3) | instskip(SKIP_1) | instid1(VALU_DEP_4)
	v_add_co_u32 v22, vcc_lo, s0, v20
	s_wait_alu 0xfffd
	v_add_co_ci_u32_e64 v23, null, s1, v21, vcc_lo
	v_add_co_u32 v20, vcc_lo, s2, v20
	s_wait_alu 0xfffd
	v_add_co_ci_u32_e64 v21, null, s3, v21, vcc_lo
	global_load_b64 v[22:23], v[22:23], off
	global_load_b64 v[20:21], v[20:21], off
	s_wait_loadcnt 0x10
	v_add_f64_e64 v[12:13], v[24:25], -v[12:13]
	v_add_f64_e32 v[2:3], v[2:3], v[16:17]
	v_lshlrev_b64_e32 v[16:17], 3, v[0:1]
	s_delay_alu instid0(VALU_DEP_1) | instskip(SKIP_1) | instid1(VALU_DEP_2)
	v_add_co_u32 v24, vcc_lo, s0, v16
	s_wait_alu 0xfffd
	v_add_co_ci_u32_e64 v25, null, s1, v17, vcc_lo
	v_add_co_u32 v16, vcc_lo, s2, v16
	s_wait_alu 0xfffd
	v_add_co_ci_u32_e64 v17, null, s3, v17, vcc_lo
	global_load_b64 v[24:25], v[24:25], off
	global_load_b64 v[16:17], v[16:17], off
	s_load_b64 s[0:1], s[8:9], 0x20
	s_wait_loadcnt 0x10
	v_add_f64_e64 v[6:7], v[18:19], -v[6:7]
	v_add_f64_e64 v[2:3], v[2:3], -v[12:13]
	s_wait_loadcnt 0xe
	v_add_f64_e64 v[10:11], v[28:29], -v[10:11]
	s_delay_alu instid0(VALU_DEP_2) | instskip(SKIP_2) | instid1(VALU_DEP_2)
	v_add_f64_e32 v[2:3], v[2:3], v[6:7]
	s_wait_loadcnt 0xc
	v_add_f64_e64 v[6:7], v[32:33], -v[14:15]
	v_add_f64_e32 v[2:3], v[2:3], v[10:11]
	s_wait_loadcnt 0xa
	v_add_f64_e64 v[8:9], v[36:37], -v[8:9]
	s_delay_alu instid0(VALU_DEP_2) | instskip(SKIP_2) | instid1(VALU_DEP_2)
	v_add_f64_e32 v[2:3], v[2:3], v[6:7]
	s_wait_loadcnt 0x8
	v_add_f64_e64 v[4:5], v[40:41], -v[4:5]
	v_add_f64_e64 v[2:3], v[2:3], -v[8:9]
	s_wait_loadcnt 0x6
	v_add_f64_e64 v[6:7], v[38:39], -v[26:27]
	s_delay_alu instid0(VALU_DEP_2) | instskip(SKIP_2) | instid1(VALU_DEP_2)
	v_add_f64_e32 v[2:3], v[2:3], v[4:5]
	s_wait_loadcnt 0x4
	v_add_f64_e64 v[4:5], v[34:35], -v[30:31]
	v_add_f64_e32 v[2:3], v[2:3], v[6:7]
	s_wait_loadcnt 0x2
	v_add_f64_e64 v[6:7], v[22:23], -v[20:21]
	s_delay_alu instid0(VALU_DEP_2) | instskip(SKIP_2) | instid1(VALU_DEP_2)
	v_add_f64_e64 v[2:3], v[2:3], -v[4:5]
	s_wait_loadcnt 0x0
	v_add_f64_e64 v[4:5], v[24:25], -v[16:17]
	v_add_f64_e64 v[2:3], v[2:3], -v[6:7]
	s_delay_alu instid0(VALU_DEP_1) | instskip(SKIP_2) | instid1(VALU_DEP_1)
	v_add_f64_e32 v[2:3], v[2:3], v[4:5]
	v_mad_co_u64_u32 v[4:5], null, 0xffffff39, s10, v[0:1]
	v_mov_b32_e32 v5, v1
	v_lshlrev_b64_e32 v[0:1], 3, v[4:5]
	s_delay_alu instid0(VALU_DEP_1) | instskip(SKIP_1) | instid1(VALU_DEP_2)
	v_add_co_u32 v0, vcc_lo, s4, v0
	s_wait_alu 0xfffd
	v_add_co_ci_u32_e64 v1, null, s5, v1, vcc_lo
	v_mul_f64_e32 v[2:3], s[6:7], v[2:3]
	s_wait_kmcnt 0x0
	s_delay_alu instid0(VALU_DEP_1)
	v_mul_f64_e32 v[2:3], s[0:1], v[2:3]
	global_store_b64 v[0:1], v[2:3], off
	s_endpgm
	.section	.rodata,"a",@progbits
	.p2align	6, 0x0
	.amdhsa_kernel _Z14rdwdot9_kernelIdEvPKT_S2_PS0_S0_S2_
		.amdhsa_group_segment_fixed_size 0
		.amdhsa_private_segment_fixed_size 0
		.amdhsa_kernarg_size 296
		.amdhsa_user_sgpr_count 2
		.amdhsa_user_sgpr_dispatch_ptr 0
		.amdhsa_user_sgpr_queue_ptr 0
		.amdhsa_user_sgpr_kernarg_segment_ptr 1
		.amdhsa_user_sgpr_dispatch_id 0
		.amdhsa_user_sgpr_private_segment_size 0
		.amdhsa_wavefront_size32 1
		.amdhsa_uses_dynamic_stack 0
		.amdhsa_enable_private_segment 0
		.amdhsa_system_sgpr_workgroup_id_x 1
		.amdhsa_system_sgpr_workgroup_id_y 0
		.amdhsa_system_sgpr_workgroup_id_z 0
		.amdhsa_system_sgpr_workgroup_info 0
		.amdhsa_system_vgpr_workitem_id 0
		.amdhsa_next_free_vgpr 46
		.amdhsa_next_free_sgpr 17
		.amdhsa_reserve_vcc 1
		.amdhsa_float_round_mode_32 0
		.amdhsa_float_round_mode_16_64 0
		.amdhsa_float_denorm_mode_32 3
		.amdhsa_float_denorm_mode_16_64 3
		.amdhsa_fp16_overflow 0
		.amdhsa_workgroup_processor_mode 1
		.amdhsa_memory_ordered 1
		.amdhsa_forward_progress 1
		.amdhsa_inst_pref_size 45
		.amdhsa_round_robin_scheduling 0
		.amdhsa_exception_fp_ieee_invalid_op 0
		.amdhsa_exception_fp_denorm_src 0
		.amdhsa_exception_fp_ieee_div_zero 0
		.amdhsa_exception_fp_ieee_overflow 0
		.amdhsa_exception_fp_ieee_underflow 0
		.amdhsa_exception_fp_ieee_inexact 0
		.amdhsa_exception_int_div_zero 0
	.end_amdhsa_kernel
	.section	.text._Z14rdwdot9_kernelIdEvPKT_S2_PS0_S0_S2_,"axG",@progbits,_Z14rdwdot9_kernelIdEvPKT_S2_PS0_S0_S2_,comdat
.Lfunc_end52:
	.size	_Z14rdwdot9_kernelIdEvPKT_S2_PS0_S0_S2_, .Lfunc_end52-_Z14rdwdot9_kernelIdEvPKT_S2_PS0_S0_S2_
                                        ; -- End function
	.set _Z14rdwdot9_kernelIdEvPKT_S2_PS0_S0_S2_.num_vgpr, 46
	.set _Z14rdwdot9_kernelIdEvPKT_S2_PS0_S0_S2_.num_agpr, 0
	.set _Z14rdwdot9_kernelIdEvPKT_S2_PS0_S0_S2_.numbered_sgpr, 17
	.set _Z14rdwdot9_kernelIdEvPKT_S2_PS0_S0_S2_.num_named_barrier, 0
	.set _Z14rdwdot9_kernelIdEvPKT_S2_PS0_S0_S2_.private_seg_size, 0
	.set _Z14rdwdot9_kernelIdEvPKT_S2_PS0_S0_S2_.uses_vcc, 1
	.set _Z14rdwdot9_kernelIdEvPKT_S2_PS0_S0_S2_.uses_flat_scratch, 0
	.set _Z14rdwdot9_kernelIdEvPKT_S2_PS0_S0_S2_.has_dyn_sized_stack, 0
	.set _Z14rdwdot9_kernelIdEvPKT_S2_PS0_S0_S2_.has_recursion, 0
	.set _Z14rdwdot9_kernelIdEvPKT_S2_PS0_S0_S2_.has_indirect_call, 0
	.section	.AMDGPU.csdata,"",@progbits
; Kernel info:
; codeLenInByte = 5692
; TotalNumSgprs: 19
; NumVgprs: 46
; ScratchSize: 0
; MemoryBound: 0
; FloatMode: 240
; IeeeMode: 1
; LDSByteSize: 0 bytes/workgroup (compile time only)
; SGPRBlocks: 0
; VGPRBlocks: 5
; NumSGPRsForWavesPerEU: 19
; NumVGPRsForWavesPerEU: 46
; Occupancy: 16
; WaveLimiterHint : 0
; COMPUTE_PGM_RSRC2:SCRATCH_EN: 0
; COMPUTE_PGM_RSRC2:USER_SGPR: 2
; COMPUTE_PGM_RSRC2:TRAP_HANDLER: 0
; COMPUTE_PGM_RSRC2:TGID_X_EN: 1
; COMPUTE_PGM_RSRC2:TGID_Y_EN: 0
; COMPUTE_PGM_RSRC2:TGID_Z_EN: 0
; COMPUTE_PGM_RSRC2:TIDIG_COMP_CNT: 0
	.section	.text._Z15rdwdot10_kernelIdEvPKT_S2_PS0_S0_S2_,"axG",@progbits,_Z15rdwdot10_kernelIdEvPKT_S2_PS0_S0_S2_,comdat
	.protected	_Z15rdwdot10_kernelIdEvPKT_S2_PS0_S0_S2_ ; -- Begin function _Z15rdwdot10_kernelIdEvPKT_S2_PS0_S0_S2_
	.globl	_Z15rdwdot10_kernelIdEvPKT_S2_PS0_S0_S2_
	.p2align	8
	.type	_Z15rdwdot10_kernelIdEvPKT_S2_PS0_S0_S2_,@function
_Z15rdwdot10_kernelIdEvPKT_S2_PS0_S0_S2_: ; @_Z15rdwdot10_kernelIdEvPKT_S2_PS0_S0_S2_
; %bb.0:
	s_clause 0x2
	s_load_b256 s[4:11], s[0:1], 0x0
	s_load_b96 s[12:14], s[0:1], 0x20
	s_load_b32 s0, s[0:1], 0x34
	s_wait_kmcnt 0x0
	s_load_b64 s[26:27], s[12:13], 0x0
	s_and_b32 s0, s0, 0xffff
	s_delay_alu instid0(SALU_CYCLE_1)
	v_mad_co_u64_u32 v[10:11], null, ttmp9, s0, v[0:1]
	s_mul_i32 s14, s14, s0
	v_mov_b32_e32 v1, 0
	s_mul_i32 s1, s14, 11
	s_mul_i32 s0, s14, 7
	s_lshl_b32 s17, s14, 2
	s_mul_i32 s16, s14, 15
	s_wait_alu 0xfffe
	v_add_nc_u32_e32 v0, s1, v10
	s_mul_i32 s15, s14, 6
	s_mul_i32 s2, s14, 5
	;; [unrolled: 1-line block ×3, first 2 shown]
	s_lshl_b32 s20, s14, 1
	v_lshlrev_b64_e32 v[2:3], 3, v[0:1]
	v_add_nc_u32_e32 v0, s14, v0
	s_mul_i32 s3, s14, 3
	s_lshl_b32 s21, s14, 3
	s_lshl_b32 s22, s14, 4
	s_mul_i32 s19, s14, 14
	v_add_co_u32 v4, vcc_lo, s4, v2
	s_delay_alu instid0(VALU_DEP_1)
	v_add_co_ci_u32_e64 v5, null, s5, v3, vcc_lo
	v_add_co_u32 v2, vcc_lo, s6, v2
	s_wait_alu 0xfffd
	v_add_co_ci_u32_e64 v3, null, s7, v3, vcc_lo
	global_load_b64 v[4:5], v[4:5], off
	s_mul_i32 s24, s14, 12
	s_mul_i32 s23, s14, 17
	global_load_b64 v[2:3], v[2:3], off
	s_wait_loadcnt 0x0
	v_add_f64_e64 v[2:3], v[4:5], -v[2:3]
	v_lshlrev_b64_e32 v[4:5], 3, v[0:1]
	v_add_nc_u32_e32 v0, s14, v0
	s_delay_alu instid0(VALU_DEP_2) | instskip(SKIP_1) | instid1(VALU_DEP_3)
	v_add_co_u32 v6, vcc_lo, s4, v4
	s_wait_alu 0xfffd
	v_add_co_ci_u32_e64 v7, null, s5, v5, vcc_lo
	v_add_co_u32 v4, vcc_lo, s6, v4
	s_wait_alu 0xfffd
	v_add_co_ci_u32_e64 v5, null, s7, v5, vcc_lo
	global_load_b64 v[6:7], v[6:7], off
	global_load_b64 v[4:5], v[4:5], off
	s_wait_loadcnt 0x0
	v_add_f64_e64 v[4:5], v[6:7], -v[4:5]
	s_delay_alu instid0(VALU_DEP_1) | instskip(SKIP_2) | instid1(VALU_DEP_2)
	v_add_f64_e32 v[2:3], v[2:3], v[4:5]
	v_lshlrev_b64_e32 v[4:5], 3, v[0:1]
	v_add_nc_u32_e32 v0, s14, v0
	v_add_co_u32 v6, vcc_lo, s4, v4
	s_wait_alu 0xfffd
	s_delay_alu instid0(VALU_DEP_3)
	v_add_co_ci_u32_e64 v7, null, s5, v5, vcc_lo
	v_add_co_u32 v4, vcc_lo, s6, v4
	s_wait_alu 0xfffd
	v_add_co_ci_u32_e64 v5, null, s7, v5, vcc_lo
	global_load_b64 v[6:7], v[6:7], off
	global_load_b64 v[4:5], v[4:5], off
	s_wait_loadcnt 0x0
	v_add_f64_e64 v[4:5], v[6:7], -v[4:5]
	s_delay_alu instid0(VALU_DEP_1) | instskip(SKIP_2) | instid1(VALU_DEP_2)
	v_add_f64_e32 v[2:3], v[2:3], v[4:5]
	v_lshlrev_b64_e32 v[4:5], 3, v[0:1]
	v_add_nc_u32_e32 v0, s0, v0
	v_add_co_u32 v6, vcc_lo, s4, v4
	s_wait_alu 0xfffd
	s_delay_alu instid0(VALU_DEP_3)
	;; [unrolled: 15-line block ×3, first 2 shown]
	v_add_co_ci_u32_e64 v5, null, s5, v3, vcc_lo
	v_add_co_u32 v2, vcc_lo, s6, v2
	s_wait_alu 0xfffd
	v_add_co_ci_u32_e64 v3, null, s7, v3, vcc_lo
	global_load_b64 v[4:5], v[4:5], off
	global_load_b64 v[2:3], v[2:3], off
	s_wait_loadcnt 0x0
	v_add_f64_e64 v[2:3], v[4:5], -v[2:3]
	v_lshlrev_b64_e32 v[4:5], 3, v[0:1]
	v_add_nc_u32_e32 v0, s17, v0
	s_delay_alu instid0(VALU_DEP_2) | instskip(SKIP_1) | instid1(VALU_DEP_3)
	v_add_co_u32 v6, vcc_lo, s4, v4
	s_wait_alu 0xfffd
	v_add_co_ci_u32_e64 v7, null, s5, v5, vcc_lo
	v_add_co_u32 v4, vcc_lo, s6, v4
	s_wait_alu 0xfffd
	v_add_co_ci_u32_e64 v5, null, s7, v5, vcc_lo
	global_load_b64 v[6:7], v[6:7], off
	global_load_b64 v[4:5], v[4:5], off
	s_wait_loadcnt 0x0
	v_add_f64_e64 v[4:5], v[6:7], -v[4:5]
	s_delay_alu instid0(VALU_DEP_1) | instskip(SKIP_2) | instid1(VALU_DEP_2)
	v_add_f64_e32 v[16:17], v[2:3], v[4:5]
	v_lshlrev_b64_e32 v[2:3], 3, v[0:1]
	v_add_nc_u32_e32 v0, s14, v0
	v_add_co_u32 v4, vcc_lo, s4, v2
	s_wait_alu 0xfffd
	s_delay_alu instid0(VALU_DEP_3)
	v_add_co_ci_u32_e64 v5, null, s5, v3, vcc_lo
	v_add_co_u32 v2, vcc_lo, s6, v2
	s_wait_alu 0xfffd
	v_add_co_ci_u32_e64 v3, null, s7, v3, vcc_lo
	global_load_b64 v[4:5], v[4:5], off
	global_load_b64 v[2:3], v[2:3], off
	s_wait_loadcnt 0x0
	v_add_f64_e64 v[2:3], v[4:5], -v[2:3]
	v_lshlrev_b64_e32 v[4:5], 3, v[0:1]
	s_delay_alu instid0(VALU_DEP_1) | instskip(SKIP_1) | instid1(VALU_DEP_2)
	v_add_co_u32 v6, vcc_lo, s4, v4
	s_wait_alu 0xfffd
	v_add_co_ci_u32_e64 v7, null, s5, v5, vcc_lo
	v_add_co_u32 v4, vcc_lo, s6, v4
	s_wait_alu 0xfffd
	v_add_co_ci_u32_e64 v5, null, s7, v5, vcc_lo
	global_load_b64 v[6:7], v[6:7], off
	global_load_b64 v[4:5], v[4:5], off
	s_wait_loadcnt 0x0
	v_add_f64_e64 v[4:5], v[6:7], -v[4:5]
	s_delay_alu instid0(VALU_DEP_1) | instskip(SKIP_2) | instid1(VALU_DEP_1)
	v_add_f64_e32 v[4:5], v[2:3], v[4:5]
	v_mad_co_u64_u32 v[2:3], null, 0xffffffe9, s14, v[0:1]
	v_mov_b32_e32 v3, v1
	v_lshlrev_b64_e32 v[6:7], 3, v[2:3]
	v_add_nc_u32_e32 v0, s14, v2
	s_delay_alu instid0(VALU_DEP_2) | instskip(SKIP_1) | instid1(VALU_DEP_3)
	v_add_co_u32 v8, vcc_lo, s4, v6
	s_wait_alu 0xfffd
	v_add_co_ci_u32_e64 v9, null, s5, v7, vcc_lo
	v_add_co_u32 v6, vcc_lo, s6, v6
	s_wait_alu 0xfffd
	v_add_co_ci_u32_e64 v7, null, s7, v7, vcc_lo
	global_load_b64 v[8:9], v[8:9], off
	v_lshlrev_b64_e32 v[2:3], 3, v[0:1]
	v_add_nc_u32_e32 v0, s14, v0
	global_load_b64 v[6:7], v[6:7], off
	s_wait_loadcnt 0x0
	v_add_f64_e64 v[6:7], v[8:9], -v[6:7]
	v_add_co_u32 v8, vcc_lo, s4, v2
	s_wait_alu 0xfffd
	v_add_co_ci_u32_e64 v9, null, s5, v3, vcc_lo
	v_add_co_u32 v11, vcc_lo, s6, v2
	s_wait_alu 0xfffd
	v_add_co_ci_u32_e64 v12, null, s7, v3, vcc_lo
	global_load_b64 v[8:9], v[8:9], off
	global_load_b64 v[11:12], v[11:12], off
	s_wait_loadcnt 0x0
	v_add_f64_e64 v[8:9], v[8:9], -v[11:12]
	s_delay_alu instid0(VALU_DEP_1) | instskip(SKIP_2) | instid1(VALU_DEP_2)
	v_add_f64_e32 v[6:7], v[6:7], v[8:9]
	v_lshlrev_b64_e32 v[8:9], 3, v[0:1]
	v_add_nc_u32_e32 v0, s14, v0
	v_add_co_u32 v11, vcc_lo, s4, v8
	s_wait_alu 0xfffd
	s_delay_alu instid0(VALU_DEP_3)
	v_add_co_ci_u32_e64 v12, null, s5, v9, vcc_lo
	v_add_co_u32 v8, vcc_lo, s6, v8
	s_wait_alu 0xfffd
	v_add_co_ci_u32_e64 v9, null, s7, v9, vcc_lo
	global_load_b64 v[11:12], v[11:12], off
	global_load_b64 v[8:9], v[8:9], off
	s_wait_loadcnt 0x0
	v_add_f64_e64 v[8:9], v[11:12], -v[8:9]
	s_delay_alu instid0(VALU_DEP_1) | instskip(SKIP_2) | instid1(VALU_DEP_2)
	v_add_f64_e32 v[6:7], v[6:7], v[8:9]
	v_lshlrev_b64_e32 v[8:9], 3, v[0:1]
	v_add_nc_u32_e32 v0, s14, v10
	v_add_co_u32 v11, vcc_lo, s4, v8
	s_wait_alu 0xfffd
	s_delay_alu instid0(VALU_DEP_3)
	v_add_co_ci_u32_e64 v12, null, s5, v9, vcc_lo
	v_add_co_u32 v8, vcc_lo, s6, v8
	s_wait_alu 0xfffd
	v_add_co_ci_u32_e64 v9, null, s7, v9, vcc_lo
	global_load_b64 v[11:12], v[11:12], off
	global_load_b64 v[8:9], v[8:9], off
	s_wait_loadcnt 0x0
	v_add_f64_e64 v[8:9], v[11:12], -v[8:9]
	v_mov_b32_e32 v11, v1
	s_delay_alu instid0(VALU_DEP_1) | instskip(NEXT) | instid1(VALU_DEP_3)
	v_lshlrev_b64_e32 v[10:11], 3, v[10:11]
	v_add_f64_e32 v[18:19], v[6:7], v[8:9]
	v_lshlrev_b64_e32 v[6:7], 3, v[0:1]
	v_add_nc_u32_e32 v0, s14, v0
	s_delay_alu instid0(VALU_DEP_2) | instskip(SKIP_1) | instid1(VALU_DEP_3)
	v_add_co_u32 v8, vcc_lo, s4, v6
	s_wait_alu 0xfffd
	v_add_co_ci_u32_e64 v9, null, s5, v7, vcc_lo
	v_add_co_u32 v6, vcc_lo, s6, v6
	s_wait_alu 0xfffd
	v_add_co_ci_u32_e64 v7, null, s7, v7, vcc_lo
	global_load_b64 v[8:9], v[8:9], off
	v_lshlrev_b64_e32 v[22:23], 3, v[0:1]
	v_add_nc_u32_e32 v0, s16, v0
	global_load_b64 v[6:7], v[6:7], off
	s_wait_loadcnt 0x0
	v_add_f64_e64 v[12:13], v[8:9], -v[6:7]
	v_add_co_u32 v6, vcc_lo, s4, v22
	s_wait_alu 0xfffd
	v_add_co_ci_u32_e64 v7, null, s5, v23, vcc_lo
	v_add_co_u32 v8, vcc_lo, s6, v22
	s_wait_alu 0xfffd
	v_add_co_ci_u32_e64 v9, null, s7, v23, vcc_lo
	global_load_b64 v[20:21], v[6:7], off
	global_load_b64 v[24:25], v[8:9], off
	s_wait_loadcnt 0x0
	v_add_f64_e64 v[20:21], v[20:21], -v[24:25]
	s_delay_alu instid0(VALU_DEP_1) | instskip(NEXT) | instid1(VALU_DEP_1)
	v_add_f64_e64 v[20:21], -v[12:13], -v[20:21]
	v_add_f64_e32 v[18:19], v[18:19], v[20:21]
	v_lshlrev_b64_e32 v[20:21], 3, v[0:1]
	v_add_nc_u32_e32 v0, s15, v0
	s_delay_alu instid0(VALU_DEP_2) | instskip(SKIP_1) | instid1(VALU_DEP_3)
	v_add_co_u32 v24, vcc_lo, s4, v20
	s_wait_alu 0xfffd
	v_add_co_ci_u32_e64 v25, null, s5, v21, vcc_lo
	v_add_co_u32 v20, vcc_lo, s6, v20
	s_wait_alu 0xfffd
	v_add_co_ci_u32_e64 v21, null, s7, v21, vcc_lo
	global_load_b64 v[24:25], v[24:25], off
	global_load_b64 v[20:21], v[20:21], off
	s_wait_loadcnt 0x0
	v_add_f64_e64 v[24:25], v[24:25], -v[20:21]
	v_lshlrev_b64_e32 v[20:21], 3, v[0:1]
	v_add_nc_u32_e32 v0, s0, v0
	s_delay_alu instid0(VALU_DEP_2) | instskip(SKIP_1) | instid1(VALU_DEP_3)
	v_add_co_u32 v26, vcc_lo, s4, v20
	s_wait_alu 0xfffd
	v_add_co_ci_u32_e64 v27, null, s5, v21, vcc_lo
	v_add_co_u32 v20, vcc_lo, s6, v20
	s_wait_alu 0xfffd
	v_add_co_ci_u32_e64 v21, null, s7, v21, vcc_lo
	global_load_b64 v[26:27], v[26:27], off
	global_load_b64 v[20:21], v[20:21], off
	v_add_f64_e32 v[18:19], v[18:19], v[24:25]
	s_wait_loadcnt 0x0
	v_add_f64_e64 v[20:21], v[26:27], -v[20:21]
	s_delay_alu instid0(VALU_DEP_1) | instskip(SKIP_2) | instid1(VALU_DEP_2)
	v_add_f64_e32 v[18:19], v[18:19], v[20:21]
	v_lshlrev_b64_e32 v[20:21], 3, v[0:1]
	v_add_nc_u32_e32 v0, s2, v0
	v_add_co_u32 v26, vcc_lo, s4, v20
	s_wait_alu 0xfffd
	s_delay_alu instid0(VALU_DEP_3)
	v_add_co_ci_u32_e64 v27, null, s5, v21, vcc_lo
	v_add_co_u32 v20, vcc_lo, s6, v20
	s_wait_alu 0xfffd
	v_add_co_ci_u32_e64 v21, null, s7, v21, vcc_lo
	global_load_b64 v[26:27], v[26:27], off
	global_load_b64 v[20:21], v[20:21], off
	s_wait_loadcnt 0x0
	v_add_f64_e64 v[20:21], v[26:27], -v[20:21]
	s_delay_alu instid0(VALU_DEP_1) | instskip(SKIP_2) | instid1(VALU_DEP_2)
	v_add_f64_e64 v[18:19], v[18:19], -v[20:21]
	v_lshlrev_b64_e32 v[20:21], 3, v[0:1]
	v_add_nc_u32_e32 v0, s15, v0
	v_add_co_u32 v26, vcc_lo, s4, v20
	s_wait_alu 0xfffd
	s_delay_alu instid0(VALU_DEP_3)
	v_add_co_ci_u32_e64 v27, null, s5, v21, vcc_lo
	v_add_co_u32 v20, vcc_lo, s6, v20
	s_wait_alu 0xfffd
	v_add_co_ci_u32_e64 v21, null, s7, v21, vcc_lo
	global_load_b64 v[26:27], v[26:27], off
	global_load_b64 v[20:21], v[20:21], off
	s_wait_loadcnt 0x0
	v_add_f64_e64 v[20:21], v[26:27], -v[20:21]
	s_delay_alu instid0(VALU_DEP_1) | instskip(SKIP_2) | instid1(VALU_DEP_2)
	v_add_f64_e64 v[18:19], v[18:19], -v[20:21]
	v_lshlrev_b64_e32 v[20:21], 3, v[0:1]
	v_add_nc_u32_e32 v0, s0, v0
	v_add_co_u32 v26, vcc_lo, s4, v20
	s_wait_alu 0xfffd
	s_delay_alu instid0(VALU_DEP_3)
	v_add_co_ci_u32_e64 v27, null, s5, v21, vcc_lo
	v_add_co_u32 v20, vcc_lo, s6, v20
	s_wait_alu 0xfffd
	v_add_co_ci_u32_e64 v21, null, s7, v21, vcc_lo
	global_load_b64 v[26:27], v[26:27], off
	global_load_b64 v[20:21], v[20:21], off
	s_wait_loadcnt 0x0
	v_add_f64_e64 v[20:21], v[26:27], -v[20:21]
	s_delay_alu instid0(VALU_DEP_1) | instskip(SKIP_2) | instid1(VALU_DEP_2)
	v_add_f64_e32 v[18:19], v[18:19], v[20:21]
	v_lshlrev_b64_e32 v[20:21], 3, v[0:1]
	v_add_nc_u32_e32 v0, s18, v0
	v_add_co_u32 v26, vcc_lo, s4, v20
	s_wait_alu 0xfffd
	s_delay_alu instid0(VALU_DEP_3)
	v_add_co_ci_u32_e64 v27, null, s5, v21, vcc_lo
	v_add_co_u32 v20, vcc_lo, s6, v20
	s_wait_alu 0xfffd
	v_add_co_ci_u32_e64 v21, null, s7, v21, vcc_lo
	global_load_b64 v[26:27], v[26:27], off
	global_load_b64 v[20:21], v[20:21], off
	s_wait_loadcnt 0x0
	v_add_f64_e64 v[20:21], v[26:27], -v[20:21]
	s_delay_alu instid0(VALU_DEP_1) | instskip(SKIP_2) | instid1(VALU_DEP_2)
	v_add_f64_e64 v[18:19], v[18:19], -v[20:21]
	v_lshlrev_b64_e32 v[20:21], 3, v[0:1]
	v_add_nc_u32_e32 v0, s20, v0
	v_add_co_u32 v26, vcc_lo, s4, v20
	s_wait_alu 0xfffd
	s_delay_alu instid0(VALU_DEP_3)
	v_add_co_ci_u32_e64 v27, null, s5, v21, vcc_lo
	v_add_co_u32 v20, vcc_lo, s6, v20
	s_wait_alu 0xfffd
	v_add_co_ci_u32_e64 v21, null, s7, v21, vcc_lo
	global_load_b64 v[26:27], v[26:27], off
	global_load_b64 v[20:21], v[20:21], off
	s_wait_loadcnt 0x0
	v_add_f64_e64 v[20:21], v[26:27], -v[20:21]
	s_delay_alu instid0(VALU_DEP_1) | instskip(SKIP_2) | instid1(VALU_DEP_2)
	v_add_f64_e32 v[18:19], v[18:19], v[20:21]
	v_lshlrev_b64_e32 v[20:21], 3, v[0:1]
	v_add_nc_u32_e32 v0, s14, v0
	v_add_co_u32 v26, vcc_lo, s4, v20
	s_wait_alu 0xfffd
	s_delay_alu instid0(VALU_DEP_3)
	v_add_co_ci_u32_e64 v27, null, s5, v21, vcc_lo
	v_add_co_u32 v20, vcc_lo, s6, v20
	s_wait_alu 0xfffd
	v_add_co_ci_u32_e64 v21, null, s7, v21, vcc_lo
	global_load_b64 v[26:27], v[26:27], off
	global_load_b64 v[20:21], v[20:21], off
	s_wait_loadcnt 0x0
	v_add_f64_e64 v[20:21], v[26:27], -v[20:21]
	s_delay_alu instid0(VALU_DEP_1) | instskip(SKIP_2) | instid1(VALU_DEP_2)
	v_add_f64_e32 v[18:19], v[18:19], v[20:21]
	v_lshlrev_b64_e32 v[20:21], 3, v[0:1]
	v_add_nc_u32_e32 v0, s3, v0
	v_add_co_u32 v26, vcc_lo, s4, v20
	s_wait_alu 0xfffd
	s_delay_alu instid0(VALU_DEP_3)
	v_add_co_ci_u32_e64 v27, null, s5, v21, vcc_lo
	v_add_co_u32 v20, vcc_lo, s6, v20
	s_wait_alu 0xfffd
	v_add_co_ci_u32_e64 v21, null, s7, v21, vcc_lo
	global_load_b64 v[26:27], v[26:27], off
	global_load_b64 v[20:21], v[20:21], off
	s_wait_loadcnt 0x0
	v_add_f64_e64 v[28:29], v[26:27], -v[20:21]
	v_lshlrev_b64_e32 v[20:21], 3, v[0:1]
	v_add_nc_u32_e32 v0, s21, v0
	s_delay_alu instid0(VALU_DEP_2) | instskip(SKIP_1) | instid1(VALU_DEP_3)
	v_add_co_u32 v26, vcc_lo, s4, v20
	s_wait_alu 0xfffd
	v_add_co_ci_u32_e64 v27, null, s5, v21, vcc_lo
	v_add_co_u32 v20, vcc_lo, s6, v20
	s_wait_alu 0xfffd
	v_add_co_ci_u32_e64 v21, null, s7, v21, vcc_lo
	global_load_b64 v[26:27], v[26:27], off
	global_load_b64 v[20:21], v[20:21], off
	v_add_f64_e32 v[18:19], v[18:19], v[28:29]
	s_wait_loadcnt 0x0
	v_add_f64_e64 v[20:21], v[26:27], -v[20:21]
	s_delay_alu instid0(VALU_DEP_1) | instskip(SKIP_1) | instid1(VALU_DEP_1)
	v_add_f64_e64 v[18:19], v[18:19], -v[20:21]
	v_lshlrev_b64_e32 v[20:21], 3, v[0:1]
	v_add_co_u32 v26, vcc_lo, s4, v20
	s_wait_alu 0xfffd
	s_delay_alu instid0(VALU_DEP_2)
	v_add_co_ci_u32_e64 v27, null, s5, v21, vcc_lo
	v_add_co_u32 v20, vcc_lo, s6, v20
	s_wait_alu 0xfffd
	v_add_co_ci_u32_e64 v21, null, s7, v21, vcc_lo
	global_load_b64 v[26:27], v[26:27], off
	global_load_b64 v[20:21], v[20:21], off
	s_wait_loadcnt 0x0
	v_add_f64_e64 v[20:21], v[26:27], -v[20:21]
	s_delay_alu instid0(VALU_DEP_1) | instskip(SKIP_2) | instid1(VALU_DEP_1)
	v_add_f64_e32 v[18:19], v[18:19], v[20:21]
	v_mad_co_u64_u32 v[20:21], null, s14, 24, v[0:1]
	v_mov_b32_e32 v21, v1
	v_lshlrev_b64_e32 v[26:27], 3, v[20:21]
	v_add_nc_u32_e32 v0, s15, v20
	s_delay_alu instid0(VALU_DEP_2) | instskip(SKIP_1) | instid1(VALU_DEP_3)
	v_add_co_u32 v30, vcc_lo, s4, v26
	s_wait_alu 0xfffd
	v_add_co_ci_u32_e64 v31, null, s5, v27, vcc_lo
	v_add_co_u32 v26, vcc_lo, s6, v26
	s_wait_alu 0xfffd
	v_add_co_ci_u32_e64 v27, null, s7, v27, vcc_lo
	global_load_b64 v[30:31], v[30:31], off
	v_lshlrev_b64_e32 v[20:21], 3, v[0:1]
	global_load_b64 v[26:27], v[26:27], off
	s_wait_loadcnt 0x0
	v_add_f64_e64 v[26:27], v[30:31], -v[26:27]
	s_delay_alu instid0(VALU_DEP_1)
	v_add_f64_e32 v[18:19], v[18:19], v[26:27]
	v_add_co_u32 v26, vcc_lo, s4, v20
	s_wait_alu 0xfffd
	v_add_co_ci_u32_e64 v27, null, s5, v21, vcc_lo
	v_add_co_u32 v20, vcc_lo, s6, v20
	s_wait_alu 0xfffd
	v_add_co_ci_u32_e64 v21, null, s7, v21, vcc_lo
	global_load_b64 v[26:27], v[26:27], off
	global_load_b64 v[20:21], v[20:21], off
	s_wait_loadcnt 0x0
	v_add_f64_e64 v[20:21], v[26:27], -v[20:21]
	s_delay_alu instid0(VALU_DEP_1) | instskip(SKIP_2) | instid1(VALU_DEP_1)
	v_add_f64_e32 v[18:19], v[18:19], v[20:21]
	v_mad_co_u64_u32 v[20:21], null, s14, 25, v[0:1]
	v_mov_b32_e32 v21, v1
	v_lshlrev_b64_e32 v[26:27], 3, v[20:21]
	v_add_nc_u32_e32 v0, s15, v20
	s_delay_alu instid0(VALU_DEP_2) | instskip(SKIP_1) | instid1(VALU_DEP_3)
	v_add_co_u32 v30, vcc_lo, s4, v26
	s_wait_alu 0xfffd
	v_add_co_ci_u32_e64 v31, null, s5, v27, vcc_lo
	v_add_co_u32 v26, vcc_lo, s6, v26
	s_wait_alu 0xfffd
	v_add_co_ci_u32_e64 v27, null, s7, v27, vcc_lo
	global_load_b64 v[30:31], v[30:31], off
	v_lshlrev_b64_e32 v[20:21], 3, v[0:1]
	v_add_nc_u32_e32 v0, s14, v0
	global_load_b64 v[26:27], v[26:27], off
	s_wait_loadcnt 0x0
	v_add_f64_e64 v[26:27], v[30:31], -v[26:27]
	s_delay_alu instid0(VALU_DEP_1)
	v_add_f64_e32 v[18:19], v[18:19], v[26:27]
	v_add_co_u32 v26, vcc_lo, s4, v20
	s_wait_alu 0xfffd
	v_add_co_ci_u32_e64 v27, null, s5, v21, vcc_lo
	v_add_co_u32 v20, vcc_lo, s6, v20
	s_wait_alu 0xfffd
	v_add_co_ci_u32_e64 v21, null, s7, v21, vcc_lo
	global_load_b64 v[26:27], v[26:27], off
	global_load_b64 v[20:21], v[20:21], off
	s_wait_loadcnt 0x0
	v_add_f64_e64 v[20:21], v[26:27], -v[20:21]
	s_delay_alu instid0(VALU_DEP_1) | instskip(SKIP_2) | instid1(VALU_DEP_2)
	v_add_f64_e32 v[18:19], v[18:19], v[20:21]
	v_lshlrev_b64_e32 v[20:21], 3, v[0:1]
	v_add_nc_u32_e32 v0, s22, v0
	v_add_co_u32 v26, vcc_lo, s4, v20
	s_wait_alu 0xfffd
	s_delay_alu instid0(VALU_DEP_3)
	v_add_co_ci_u32_e64 v27, null, s5, v21, vcc_lo
	v_add_co_u32 v20, vcc_lo, s6, v20
	s_wait_alu 0xfffd
	v_add_co_ci_u32_e64 v21, null, s7, v21, vcc_lo
	global_load_b64 v[26:27], v[26:27], off
	global_load_b64 v[20:21], v[20:21], off
	s_wait_loadcnt 0x0
	v_add_f64_e64 v[20:21], v[26:27], -v[20:21]
	s_delay_alu instid0(VALU_DEP_1) | instskip(SKIP_2) | instid1(VALU_DEP_2)
	v_add_f64_e32 v[18:19], v[18:19], v[20:21]
	v_lshlrev_b64_e32 v[20:21], 3, v[0:1]
	v_add_nc_u32_e32 v0, s2, v0
	v_add_co_u32 v26, vcc_lo, s4, v20
	s_wait_alu 0xfffd
	s_delay_alu instid0(VALU_DEP_3)
	;; [unrolled: 15-line block ×7, first 2 shown]
	v_add_co_ci_u32_e64 v27, null, s5, v21, vcc_lo
	v_add_co_u32 v20, vcc_lo, s6, v20
	s_wait_alu 0xfffd
	v_add_co_ci_u32_e64 v21, null, s7, v21, vcc_lo
	global_load_b64 v[26:27], v[26:27], off
	global_load_b64 v[20:21], v[20:21], off
	s_wait_loadcnt 0x0
	v_add_f64_e64 v[20:21], v[26:27], -v[20:21]
	s_delay_alu instid0(VALU_DEP_1) | instskip(SKIP_1) | instid1(VALU_DEP_1)
	v_add_f64_e32 v[18:19], v[18:19], v[20:21]
	v_lshlrev_b64_e32 v[20:21], 3, v[0:1]
	v_add_co_u32 v26, vcc_lo, s4, v20
	s_wait_alu 0xfffd
	s_delay_alu instid0(VALU_DEP_2)
	v_add_co_ci_u32_e64 v27, null, s5, v21, vcc_lo
	v_add_co_u32 v20, vcc_lo, s6, v20
	s_wait_alu 0xfffd
	v_add_co_ci_u32_e64 v21, null, s7, v21, vcc_lo
	global_load_b64 v[26:27], v[26:27], off
	global_load_b64 v[20:21], v[20:21], off
	s_wait_loadcnt 0x0
	v_add_f64_e64 v[20:21], v[26:27], -v[20:21]
	s_delay_alu instid0(VALU_DEP_1) | instskip(SKIP_3) | instid1(VALU_DEP_3)
	v_add_f64_e32 v[18:19], v[18:19], v[20:21]
	v_add_co_u32 v20, vcc_lo, s8, v10
	s_wait_alu 0xfffd
	v_add_co_ci_u32_e64 v21, null, s9, v11, vcc_lo
	v_mul_f64_e32 v[18:19], s[10:11], v[18:19]
	s_wait_kmcnt 0x0
	s_delay_alu instid0(VALU_DEP_1)
	v_mul_f64_e32 v[18:19], s[26:27], v[18:19]
	global_store_b64 v[20:21], v[18:19], off
	v_add_co_u32 v18, vcc_lo, s4, v10
	s_wait_alu 0xfffd
	v_add_co_ci_u32_e64 v19, null, s5, v11, vcc_lo
	v_add_co_u32 v10, vcc_lo, s6, v10
	s_wait_alu 0xfffd
	v_add_co_ci_u32_e64 v11, null, s7, v11, vcc_lo
	global_load_b64 v[18:19], v[18:19], off
	global_load_b64 v[10:11], v[10:11], off
	s_wait_loadcnt 0x0
	v_add_f64_e64 v[30:31], v[18:19], -v[10:11]
	s_delay_alu instid0(VALU_DEP_1) | instskip(SKIP_2) | instid1(VALU_DEP_1)
	v_add_f64_e64 v[10:11], v[30:31], -v[12:13]
	v_mad_co_u64_u32 v[12:13], null, 0xffffff3c, s14, v[0:1]
	v_mov_b32_e32 v13, v1
	v_lshlrev_b64_e32 v[26:27], 3, v[12:13]
	v_add_nc_u32_e32 v0, s15, v12
	s_delay_alu instid0(VALU_DEP_2) | instskip(SKIP_1) | instid1(VALU_DEP_3)
	v_add_co_u32 v18, vcc_lo, s4, v26
	s_wait_alu 0xfffd
	v_add_co_ci_u32_e64 v19, null, s5, v27, vcc_lo
	v_add_co_u32 v20, vcc_lo, s6, v26
	s_wait_alu 0xfffd
	v_add_co_ci_u32_e64 v21, null, s7, v27, vcc_lo
	global_load_b64 v[32:33], v[18:19], off
	v_lshlrev_b64_e32 v[12:13], 3, v[0:1]
	v_add_nc_u32_e32 v0, s14, v0
	global_load_b64 v[34:35], v[20:21], off
	s_wait_loadcnt 0x0
	v_add_f64_e64 v[32:33], v[32:33], -v[34:35]
	s_delay_alu instid0(VALU_DEP_1)
	v_add_f64_e32 v[10:11], v[10:11], v[32:33]
	v_add_co_u32 v32, vcc_lo, s4, v12
	s_wait_alu 0xfffd
	v_add_co_ci_u32_e64 v33, null, s5, v13, vcc_lo
	v_add_co_u32 v12, vcc_lo, s6, v12
	s_wait_alu 0xfffd
	v_add_co_ci_u32_e64 v13, null, s7, v13, vcc_lo
	global_load_b64 v[32:33], v[32:33], off
	global_load_b64 v[12:13], v[12:13], off
	s_wait_loadcnt 0x0
	v_add_f64_e64 v[12:13], v[32:33], -v[12:13]
	s_delay_alu instid0(VALU_DEP_1) | instskip(SKIP_2) | instid1(VALU_DEP_2)
	v_add_f64_e64 v[10:11], v[10:11], -v[12:13]
	v_lshlrev_b64_e32 v[12:13], 3, v[0:1]
	v_add_nc_u32_e32 v0, s15, v0
	v_add_co_u32 v32, vcc_lo, s4, v12
	s_wait_alu 0xfffd
	s_delay_alu instid0(VALU_DEP_3)
	v_add_co_ci_u32_e64 v33, null, s5, v13, vcc_lo
	v_add_co_u32 v12, vcc_lo, s6, v12
	s_wait_alu 0xfffd
	v_add_co_ci_u32_e64 v13, null, s7, v13, vcc_lo
	global_load_b64 v[32:33], v[32:33], off
	global_load_b64 v[12:13], v[12:13], off
	s_wait_loadcnt 0x0
	v_add_f64_e64 v[32:33], v[32:33], -v[12:13]
	v_lshlrev_b64_e32 v[12:13], 3, v[0:1]
	v_add_nc_u32_e32 v0, s3, v0
	s_delay_alu instid0(VALU_DEP_3) | instskip(NEXT) | instid1(VALU_DEP_1)
	v_add_f64_e64 v[10:11], v[10:11], -v[32:33]
	v_add_f64_e64 v[34:35], v[10:11], -v[32:33]
	s_delay_alu instid0(VALU_DEP_4)
	v_add_co_u32 v10, vcc_lo, s4, v12
	s_wait_alu 0xfffd
	v_add_co_ci_u32_e64 v11, null, s5, v13, vcc_lo
	v_add_co_u32 v12, vcc_lo, s6, v12
	s_wait_alu 0xfffd
	v_add_co_ci_u32_e64 v13, null, s7, v13, vcc_lo
	global_load_b64 v[36:37], v[10:11], off
	global_load_b64 v[38:39], v[12:13], off
	s_wait_loadcnt 0x0
	v_add_f64_e64 v[36:37], v[36:37], -v[38:39]
	s_delay_alu instid0(VALU_DEP_1) | instskip(SKIP_2) | instid1(VALU_DEP_2)
	v_add_f64_e32 v[36:37], v[34:35], v[36:37]
	v_lshlrev_b64_e32 v[34:35], 3, v[0:1]
	v_add_nc_u32_e32 v0, s15, v0
	v_add_co_u32 v38, vcc_lo, s4, v34
	s_wait_alu 0xfffd
	s_delay_alu instid0(VALU_DEP_3)
	v_add_co_ci_u32_e64 v39, null, s5, v35, vcc_lo
	v_add_co_u32 v34, vcc_lo, s6, v34
	s_wait_alu 0xfffd
	v_add_co_ci_u32_e64 v35, null, s7, v35, vcc_lo
	global_load_b64 v[38:39], v[38:39], off
	global_load_b64 v[34:35], v[34:35], off
	s_wait_loadcnt 0x0
	v_add_f64_e64 v[34:35], v[38:39], -v[34:35]
	v_lshlrev_b64_e32 v[38:39], 3, v[0:1]
	v_add_nc_u32_e32 v0, s3, v0
	s_delay_alu instid0(VALU_DEP_2) | instskip(SKIP_1) | instid1(VALU_DEP_3)
	v_add_co_u32 v40, vcc_lo, s4, v38
	s_wait_alu 0xfffd
	v_add_co_ci_u32_e64 v41, null, s5, v39, vcc_lo
	v_add_co_u32 v38, vcc_lo, s6, v38
	s_wait_alu 0xfffd
	v_add_co_ci_u32_e64 v39, null, s7, v39, vcc_lo
	global_load_b64 v[40:41], v[40:41], off
	global_load_b64 v[38:39], v[38:39], off
	v_add_f64_e64 v[36:37], v[36:37], -v[34:35]
	s_wait_loadcnt 0x0
	v_add_f64_e64 v[38:39], v[40:41], -v[38:39]
	s_delay_alu instid0(VALU_DEP_1) | instskip(SKIP_2) | instid1(VALU_DEP_2)
	v_add_f64_e64 v[36:37], v[36:37], -v[38:39]
	v_lshlrev_b64_e32 v[38:39], 3, v[0:1]
	v_add_nc_u32_e32 v0, s3, v0
	v_add_co_u32 v40, vcc_lo, s4, v38
	s_wait_alu 0xfffd
	s_delay_alu instid0(VALU_DEP_3)
	v_add_co_ci_u32_e64 v41, null, s5, v39, vcc_lo
	v_add_co_u32 v38, vcc_lo, s6, v38
	s_wait_alu 0xfffd
	v_add_co_ci_u32_e64 v39, null, s7, v39, vcc_lo
	global_load_b64 v[40:41], v[40:41], off
	global_load_b64 v[38:39], v[38:39], off
	s_wait_loadcnt 0x0
	v_add_f64_e64 v[38:39], v[40:41], -v[38:39]
	s_delay_alu instid0(VALU_DEP_1) | instskip(SKIP_2) | instid1(VALU_DEP_2)
	v_add_f64_e64 v[40:41], v[36:37], -v[38:39]
	v_lshlrev_b64_e32 v[38:39], 3, v[0:1]
	v_add_nc_u32_e32 v0, s20, v0
	v_add_co_u32 v36, vcc_lo, s4, v38
	s_wait_alu 0xfffd
	s_delay_alu instid0(VALU_DEP_3)
	v_add_co_ci_u32_e64 v37, null, s5, v39, vcc_lo
	v_add_co_u32 v38, vcc_lo, s6, v38
	s_wait_alu 0xfffd
	v_add_co_ci_u32_e64 v39, null, s7, v39, vcc_lo
	global_load_b64 v[42:43], v[36:37], off
	global_load_b64 v[44:45], v[38:39], off
	s_wait_loadcnt 0x0
	v_add_f64_e64 v[42:43], v[42:43], -v[44:45]
	s_delay_alu instid0(VALU_DEP_1) | instskip(SKIP_2) | instid1(VALU_DEP_2)
	v_add_f64_e32 v[40:41], v[40:41], v[42:43]
	v_lshlrev_b64_e32 v[42:43], 3, v[0:1]
	v_add_nc_u32_e32 v0, s17, v0
	v_add_co_u32 v44, vcc_lo, s4, v42
	s_wait_alu 0xfffd
	s_delay_alu instid0(VALU_DEP_3)
	v_add_co_ci_u32_e64 v45, null, s5, v43, vcc_lo
	v_add_co_u32 v42, vcc_lo, s6, v42
	s_wait_alu 0xfffd
	v_add_co_ci_u32_e64 v43, null, s7, v43, vcc_lo
	global_load_b64 v[44:45], v[44:45], off
	global_load_b64 v[42:43], v[42:43], off
	s_wait_loadcnt 0x0
	v_add_f64_e64 v[42:43], v[44:45], -v[42:43]
	s_delay_alu instid0(VALU_DEP_1) | instskip(SKIP_2) | instid1(VALU_DEP_2)
	v_add_f64_e64 v[44:45], v[40:41], -v[42:43]
	v_lshlrev_b64_e32 v[42:43], 3, v[0:1]
	v_add_nc_u32_e32 v0, s2, v0
	v_add_co_u32 v40, vcc_lo, s4, v42
	s_wait_alu 0xfffd
	s_delay_alu instid0(VALU_DEP_3)
	v_add_co_ci_u32_e64 v41, null, s5, v43, vcc_lo
	v_add_co_u32 v42, vcc_lo, s6, v42
	s_wait_alu 0xfffd
	v_add_co_ci_u32_e64 v43, null, s7, v43, vcc_lo
	global_load_b64 v[46:47], v[40:41], off
	global_load_b64 v[48:49], v[42:43], off
	s_wait_loadcnt 0x0
	v_add_f64_e64 v[46:47], v[46:47], -v[48:49]
	s_delay_alu instid0(VALU_DEP_1) | instskip(SKIP_2) | instid1(VALU_DEP_2)
	v_add_f64_e32 v[44:45], v[44:45], v[46:47]
	v_lshlrev_b64_e32 v[46:47], 3, v[0:1]
	v_add_nc_u32_e32 v0, s14, v0
	v_add_co_u32 v48, vcc_lo, s4, v46
	s_wait_alu 0xfffd
	s_delay_alu instid0(VALU_DEP_3)
	v_add_co_ci_u32_e64 v49, null, s5, v47, vcc_lo
	v_add_co_u32 v46, vcc_lo, s6, v46
	s_wait_alu 0xfffd
	v_add_co_ci_u32_e64 v47, null, s7, v47, vcc_lo
	global_load_b64 v[48:49], v[48:49], off
	global_load_b64 v[46:47], v[46:47], off
	s_wait_loadcnt 0x0
	v_add_f64_e64 v[46:47], v[48:49], -v[46:47]
	s_delay_alu instid0(VALU_DEP_1) | instskip(SKIP_2) | instid1(VALU_DEP_2)
	v_add_f64_e64 v[44:45], v[44:45], -v[46:47]
	v_lshlrev_b64_e32 v[46:47], 3, v[0:1]
	v_add_nc_u32_e32 v0, s15, v0
	v_add_co_u32 v48, vcc_lo, s4, v46
	s_wait_alu 0xfffd
	s_delay_alu instid0(VALU_DEP_3)
	v_add_co_ci_u32_e64 v49, null, s5, v47, vcc_lo
	v_add_co_u32 v46, vcc_lo, s6, v46
	s_wait_alu 0xfffd
	v_add_co_ci_u32_e64 v47, null, s7, v47, vcc_lo
	global_load_b64 v[48:49], v[48:49], off
	global_load_b64 v[46:47], v[46:47], off
	s_wait_loadcnt 0x0
	v_add_f64_e64 v[46:47], v[48:49], -v[46:47]
	s_delay_alu instid0(VALU_DEP_1) | instskip(SKIP_2) | instid1(VALU_DEP_2)
	v_add_f64_e64 v[44:45], v[44:45], -v[46:47]
	v_lshlrev_b64_e32 v[46:47], 3, v[0:1]
	v_add_nc_u32_e32 v0, s24, v0
	v_add_co_u32 v48, vcc_lo, s4, v46
	s_wait_alu 0xfffd
	s_delay_alu instid0(VALU_DEP_3)
	v_add_co_ci_u32_e64 v49, null, s5, v47, vcc_lo
	v_add_co_u32 v46, vcc_lo, s6, v46
	s_wait_alu 0xfffd
	v_add_co_ci_u32_e64 v47, null, s7, v47, vcc_lo
	global_load_b64 v[48:49], v[48:49], off
	global_load_b64 v[46:47], v[46:47], off
	s_wait_loadcnt 0x0
	v_add_f64_e64 v[46:47], v[48:49], -v[46:47]
	s_delay_alu instid0(VALU_DEP_1) | instskip(NEXT) | instid1(VALU_DEP_1)
	v_add_f64_e64 v[44:45], v[44:45], -v[46:47]
	v_add_f64_e64 v[28:29], v[44:45], -v[28:29]
	v_lshlrev_b64_e32 v[44:45], 3, v[0:1]
	v_add_nc_u32_e32 v0, s1, v0
	s_delay_alu instid0(VALU_DEP_2) | instskip(SKIP_1) | instid1(VALU_DEP_3)
	v_add_co_u32 v46, vcc_lo, s4, v44
	s_wait_alu 0xfffd
	v_add_co_ci_u32_e64 v47, null, s5, v45, vcc_lo
	v_add_co_u32 v44, vcc_lo, s6, v44
	s_wait_alu 0xfffd
	v_add_co_ci_u32_e64 v45, null, s7, v45, vcc_lo
	global_load_b64 v[46:47], v[46:47], off
	global_load_b64 v[44:45], v[44:45], off
	s_wait_loadcnt 0x0
	v_add_f64_e64 v[44:45], v[46:47], -v[44:45]
	s_delay_alu instid0(VALU_DEP_1) | instskip(SKIP_2) | instid1(VALU_DEP_2)
	v_add_f64_e64 v[28:29], v[28:29], -v[44:45]
	v_lshlrev_b64_e32 v[44:45], 3, v[0:1]
	v_add_nc_u32_e32 v0, s15, v0
	v_add_co_u32 v46, vcc_lo, s4, v44
	s_wait_alu 0xfffd
	s_delay_alu instid0(VALU_DEP_3)
	v_add_co_ci_u32_e64 v47, null, s5, v45, vcc_lo
	v_add_co_u32 v44, vcc_lo, s6, v44
	s_wait_alu 0xfffd
	v_add_co_ci_u32_e64 v45, null, s7, v45, vcc_lo
	global_load_b64 v[46:47], v[46:47], off
	global_load_b64 v[44:45], v[44:45], off
	s_wait_loadcnt 0x0
	v_add_f64_e64 v[44:45], v[46:47], -v[44:45]
	s_delay_alu instid0(VALU_DEP_1) | instskip(SKIP_2) | instid1(VALU_DEP_2)
	v_add_f64_e64 v[28:29], v[28:29], -v[44:45]
	v_lshlrev_b64_e32 v[44:45], 3, v[0:1]
	v_add_nc_u32_e32 v0, s3, v0
	v_add_co_u32 v46, vcc_lo, s4, v44
	s_wait_alu 0xfffd
	s_delay_alu instid0(VALU_DEP_3)
	;; [unrolled: 15-line block ×3, first 2 shown]
	v_add_co_ci_u32_e64 v29, null, s5, v45, vcc_lo
	v_add_co_u32 v44, vcc_lo, s6, v44
	s_wait_alu 0xfffd
	v_add_co_ci_u32_e64 v45, null, s7, v45, vcc_lo
	global_load_b64 v[48:49], v[28:29], off
	global_load_b64 v[50:51], v[44:45], off
	s_wait_loadcnt 0x0
	v_add_f64_e64 v[48:49], v[48:49], -v[50:51]
	s_delay_alu instid0(VALU_DEP_1) | instskip(SKIP_2) | instid1(VALU_DEP_2)
	v_add_f64_e32 v[46:47], v[46:47], v[48:49]
	v_lshlrev_b64_e32 v[48:49], 3, v[0:1]
	v_add_nc_u32_e32 v0, s17, v0
	v_add_co_u32 v50, vcc_lo, s4, v48
	s_wait_alu 0xfffd
	s_delay_alu instid0(VALU_DEP_3)
	v_add_co_ci_u32_e64 v51, null, s5, v49, vcc_lo
	v_add_co_u32 v48, vcc_lo, s6, v48
	s_wait_alu 0xfffd
	v_add_co_ci_u32_e64 v49, null, s7, v49, vcc_lo
	global_load_b64 v[50:51], v[50:51], off
	global_load_b64 v[48:49], v[48:49], off
	s_wait_loadcnt 0x0
	v_add_f64_e64 v[48:49], v[50:51], -v[48:49]
	s_delay_alu instid0(VALU_DEP_1) | instskip(SKIP_2) | instid1(VALU_DEP_2)
	v_add_f64_e64 v[46:47], v[46:47], -v[48:49]
	v_lshlrev_b64_e32 v[48:49], 3, v[0:1]
	v_add_nc_u32_e32 v0, s15, v0
	v_add_co_u32 v50, vcc_lo, s4, v48
	s_wait_alu 0xfffd
	s_delay_alu instid0(VALU_DEP_3)
	v_add_co_ci_u32_e64 v51, null, s5, v49, vcc_lo
	v_add_co_u32 v48, vcc_lo, s6, v48
	s_wait_alu 0xfffd
	v_add_co_ci_u32_e64 v49, null, s7, v49, vcc_lo
	global_load_b64 v[50:51], v[50:51], off
	global_load_b64 v[48:49], v[48:49], off
	s_wait_loadcnt 0x0
	v_add_f64_e64 v[48:49], v[50:51], -v[48:49]
	s_delay_alu instid0(VALU_DEP_1) | instskip(SKIP_2) | instid1(VALU_DEP_2)
	v_add_f64_e64 v[46:47], v[46:47], -v[48:49]
	;; [unrolled: 15-line block ×10, first 2 shown]
	v_lshlrev_b64_e32 v[48:49], 3, v[0:1]
	v_add_nc_u32_e32 v0, s24, v0
	v_add_co_u32 v50, vcc_lo, s4, v48
	s_wait_alu 0xfffd
	s_delay_alu instid0(VALU_DEP_3)
	v_add_co_ci_u32_e64 v51, null, s5, v49, vcc_lo
	v_add_co_u32 v48, vcc_lo, s6, v48
	s_wait_alu 0xfffd
	v_add_co_ci_u32_e64 v49, null, s7, v49, vcc_lo
	global_load_b64 v[52:53], v[50:51], off
	global_load_b64 v[54:55], v[48:49], off
	s_wait_loadcnt 0x0
	v_add_f64_e64 v[52:53], v[52:53], -v[54:55]
	s_delay_alu instid0(VALU_DEP_1) | instskip(SKIP_3) | instid1(VALU_DEP_2)
	v_add_f64_e32 v[46:47], v[46:47], v[52:53]
	v_lshlrev_b64_e32 v[52:53], 3, v[0:1]
	v_add_nc_u32_e32 v0, s0, v0
	s_load_b128 s[0:3], s[12:13], 0x10
	v_add_co_u32 v54, vcc_lo, s4, v52
	s_wait_alu 0xfffd
	s_delay_alu instid0(VALU_DEP_3)
	v_add_co_ci_u32_e64 v55, null, s5, v53, vcc_lo
	v_add_co_u32 v52, vcc_lo, s6, v52
	s_wait_alu 0xfffd
	v_add_co_ci_u32_e64 v53, null, s7, v53, vcc_lo
	global_load_b64 v[54:55], v[54:55], off
	global_load_b64 v[52:53], v[52:53], off
	s_wait_loadcnt 0x0
	v_add_f64_e64 v[52:53], v[54:55], -v[52:53]
	s_delay_alu instid0(VALU_DEP_1) | instskip(SKIP_2) | instid1(VALU_DEP_2)
	v_add_f64_e64 v[46:47], v[46:47], -v[52:53]
	v_lshlrev_b64_e32 v[52:53], 3, v[0:1]
	v_add_nc_u32_e32 v0, s14, v0
	v_add_co_u32 v54, vcc_lo, s4, v52
	s_wait_alu 0xfffd
	s_delay_alu instid0(VALU_DEP_3)
	v_add_co_ci_u32_e64 v55, null, s5, v53, vcc_lo
	v_add_co_u32 v52, vcc_lo, s6, v52
	s_wait_alu 0xfffd
	v_add_co_ci_u32_e64 v53, null, s7, v53, vcc_lo
	global_load_b64 v[54:55], v[54:55], off
	global_load_b64 v[52:53], v[52:53], off
	s_wait_loadcnt 0x0
	v_add_f64_e64 v[52:53], v[54:55], -v[52:53]
	s_delay_alu instid0(VALU_DEP_1) | instskip(SKIP_2) | instid1(VALU_DEP_2)
	v_add_f64_e64 v[46:47], v[46:47], -v[52:53]
	v_lshlrev_b64_e32 v[52:53], 3, v[0:1]
	v_add_nc_u32_e32 v0, s14, v0
	;; [unrolled: 15-line block ×9, first 2 shown]
	v_add_co_u32 v54, vcc_lo, s4, v52
	s_wait_alu 0xfffd
	s_delay_alu instid0(VALU_DEP_3)
	v_add_co_ci_u32_e64 v55, null, s5, v53, vcc_lo
	v_add_co_u32 v52, vcc_lo, s6, v52
	s_wait_alu 0xfffd
	v_add_co_ci_u32_e64 v53, null, s7, v53, vcc_lo
	global_load_b64 v[54:55], v[54:55], off
	global_load_b64 v[52:53], v[52:53], off
	s_wait_loadcnt 0x0
	v_add_f64_e64 v[52:53], v[54:55], -v[52:53]
	s_delay_alu instid0(VALU_DEP_1) | instskip(SKIP_1) | instid1(VALU_DEP_1)
	v_add_f64_e64 v[46:47], v[46:47], -v[52:53]
	v_lshlrev_b64_e32 v[52:53], 3, v[0:1]
	v_add_co_u32 v54, vcc_lo, s4, v52
	s_wait_alu 0xfffd
	s_delay_alu instid0(VALU_DEP_2)
	v_add_co_ci_u32_e64 v55, null, s5, v53, vcc_lo
	v_add_co_u32 v52, vcc_lo, s6, v52
	s_wait_alu 0xfffd
	v_add_co_ci_u32_e64 v53, null, s7, v53, vcc_lo
	global_load_b64 v[54:55], v[54:55], off
	v_add_co_u32 v22, vcc_lo, s8, v22
	global_load_b64 v[52:53], v[52:53], off
	s_wait_alu 0xfffd
	v_add_co_ci_u32_e64 v23, null, s9, v23, vcc_lo
	s_wait_loadcnt 0x0
	v_add_f64_e64 v[52:53], v[54:55], -v[52:53]
	s_delay_alu instid0(VALU_DEP_1) | instskip(NEXT) | instid1(VALU_DEP_1)
	v_add_f64_e64 v[46:47], v[46:47], -v[52:53]
	v_mul_f64_e32 v[46:47], s[10:11], v[46:47]
	s_wait_kmcnt 0x0
	s_delay_alu instid0(VALU_DEP_1)
	v_mul_f64_e32 v[46:47], s[0:1], v[46:47]
	s_mul_i32 s0, s14, 13
	global_store_b64 v[22:23], v[46:47], off
	v_add_f64_e64 v[22:23], v[32:33], -v[30:31]
	v_mad_co_u64_u32 v[30:31], null, 0xffffff4c, s14, v[0:1]
	v_mov_b32_e32 v31, v1
	s_delay_alu instid0(VALU_DEP_3) | instskip(NEXT) | instid1(VALU_DEP_1)
	v_add_f64_e64 v[14:15], v[22:23], -v[14:15]
	v_add_f64_e32 v[14:15], v[24:25], v[14:15]
	s_delay_alu instid0(VALU_DEP_3) | instskip(NEXT) | instid1(VALU_DEP_1)
	v_lshlrev_b64_e32 v[24:25], 3, v[30:31]
	v_add_co_u32 v22, vcc_lo, s4, v24
	s_wait_alu 0xfffd
	s_delay_alu instid0(VALU_DEP_2)
	v_add_co_ci_u32_e64 v23, null, s5, v25, vcc_lo
	v_add_co_u32 v24, vcc_lo, s6, v24
	s_wait_alu 0xfffd
	v_add_co_ci_u32_e64 v25, null, s7, v25, vcc_lo
	global_load_b64 v[31:32], v[22:23], off
	v_add_f64_e32 v[14:15], v[14:15], v[34:35]
	global_load_b64 v[33:34], v[24:25], off
	s_wait_loadcnt 0x0
	v_add_f64_e64 v[31:32], v[31:32], -v[33:34]
	s_delay_alu instid0(VALU_DEP_1) | instskip(NEXT) | instid1(VALU_DEP_1)
	v_add_f64_e32 v[14:15], v[14:15], v[31:32]
	v_add_f64_e32 v[14:15], v[16:17], v[14:15]
	global_load_b64 v[16:17], v[36:37], off
	global_load_b64 v[31:32], v[38:39], off
	s_wait_loadcnt 0x0
	v_add_f64_e64 v[16:17], v[16:17], -v[31:32]
	s_delay_alu instid0(VALU_DEP_1) | instskip(SKIP_4) | instid1(VALU_DEP_1)
	v_add_f64_e64 v[14:15], v[14:15], -v[16:17]
	global_load_b64 v[16:17], v[40:41], off
	global_load_b64 v[31:32], v[42:43], off
	s_wait_loadcnt 0x0
	v_add_f64_e64 v[16:17], v[16:17], -v[31:32]
	v_add_f64_e64 v[14:15], v[14:15], -v[16:17]
	v_mad_co_u64_u32 v[16:17], null, s14, 26, v[30:31]
	v_mov_b32_e32 v17, v1
	s_delay_alu instid0(VALU_DEP_1) | instskip(SKIP_1) | instid1(VALU_DEP_2)
	v_lshlrev_b64_e32 v[30:31], 3, v[16:17]
	v_add_nc_u32_e32 v0, s17, v16
	v_add_co_u32 v32, vcc_lo, s4, v30
	s_wait_alu 0xfffd
	s_delay_alu instid0(VALU_DEP_3)
	v_add_co_ci_u32_e64 v33, null, s5, v31, vcc_lo
	v_add_co_u32 v30, vcc_lo, s6, v30
	s_wait_alu 0xfffd
	v_add_co_ci_u32_e64 v31, null, s7, v31, vcc_lo
	global_load_b64 v[32:33], v[32:33], off
	v_lshlrev_b64_e32 v[16:17], 3, v[0:1]
	v_add_nc_u32_e32 v0, s14, v0
	global_load_b64 v[30:31], v[30:31], off
	s_wait_loadcnt 0x0
	v_add_f64_e64 v[30:31], v[32:33], -v[30:31]
	s_delay_alu instid0(VALU_DEP_1)
	v_add_f64_e64 v[14:15], v[14:15], -v[30:31]
	v_add_co_u32 v30, vcc_lo, s4, v16
	s_wait_alu 0xfffd
	v_add_co_ci_u32_e64 v31, null, s5, v17, vcc_lo
	v_add_co_u32 v16, vcc_lo, s6, v16
	s_wait_alu 0xfffd
	v_add_co_ci_u32_e64 v17, null, s7, v17, vcc_lo
	global_load_b64 v[30:31], v[30:31], off
	global_load_b64 v[16:17], v[16:17], off
	s_wait_loadcnt 0x0
	v_add_f64_e64 v[16:17], v[30:31], -v[16:17]
	s_delay_alu instid0(VALU_DEP_1) | instskip(SKIP_3) | instid1(VALU_DEP_2)
	v_add_f64_e64 v[14:15], v[14:15], -v[16:17]
	v_lshlrev_b64_e32 v[16:17], 3, v[0:1]
	s_wait_alu 0xfffe
	v_add_nc_u32_e32 v0, s0, v0
	v_add_co_u32 v30, vcc_lo, s4, v16
	s_wait_alu 0xfffd
	s_delay_alu instid0(VALU_DEP_3)
	v_add_co_ci_u32_e64 v31, null, s5, v17, vcc_lo
	v_add_co_u32 v16, vcc_lo, s6, v16
	s_wait_alu 0xfffd
	v_add_co_ci_u32_e64 v17, null, s7, v17, vcc_lo
	global_load_b64 v[30:31], v[30:31], off
	global_load_b64 v[16:17], v[16:17], off
	s_wait_loadcnt 0x0
	v_add_f64_e64 v[16:17], v[30:31], -v[16:17]
	s_delay_alu instid0(VALU_DEP_1) | instskip(SKIP_2) | instid1(VALU_DEP_2)
	v_add_f64_e64 v[14:15], v[14:15], -v[16:17]
	v_lshlrev_b64_e32 v[16:17], 3, v[0:1]
	v_add_nc_u32_e32 v0, s14, v0
	v_add_co_u32 v30, vcc_lo, s4, v16
	s_wait_alu 0xfffd
	s_delay_alu instid0(VALU_DEP_3)
	v_add_co_ci_u32_e64 v31, null, s5, v17, vcc_lo
	v_add_co_u32 v16, vcc_lo, s6, v16
	s_wait_alu 0xfffd
	v_add_co_ci_u32_e64 v17, null, s7, v17, vcc_lo
	global_load_b64 v[30:31], v[30:31], off
	global_load_b64 v[16:17], v[16:17], off
	s_wait_loadcnt 0x0
	v_add_f64_e64 v[16:17], v[30:31], -v[16:17]
	s_delay_alu instid0(VALU_DEP_1) | instskip(SKIP_2) | instid1(VALU_DEP_2)
	v_add_f64_e64 v[30:31], v[14:15], -v[16:17]
	v_lshlrev_b64_e32 v[16:17], 3, v[0:1]
	;; [unrolled: 15-line block ×3, first 2 shown]
	v_add_nc_u32_e32 v0, s21, v0
	v_add_co_u32 v34, vcc_lo, s4, v32
	s_wait_alu 0xfffd
	s_delay_alu instid0(VALU_DEP_3)
	v_add_co_ci_u32_e64 v35, null, s5, v33, vcc_lo
	v_add_co_u32 v32, vcc_lo, s6, v32
	s_wait_alu 0xfffd
	v_add_co_ci_u32_e64 v33, null, s7, v33, vcc_lo
	global_load_b64 v[34:35], v[34:35], off
	global_load_b64 v[32:33], v[32:33], off
	s_wait_loadcnt 0x0
	v_add_f64_e64 v[32:33], v[34:35], -v[32:33]
	s_delay_alu instid0(VALU_DEP_1) | instskip(SKIP_4) | instid1(VALU_DEP_1)
	v_add_f64_e64 v[30:31], v[30:31], -v[32:33]
	global_load_b64 v[28:29], v[28:29], off
	global_load_b64 v[32:33], v[44:45], off
	s_wait_loadcnt 0x0
	v_add_f64_e64 v[28:29], v[28:29], -v[32:33]
	v_add_f64_e64 v[28:29], v[30:31], -v[28:29]
	v_lshlrev_b64_e32 v[30:31], 3, v[0:1]
	v_add_nc_u32_e32 v0, s14, v0
	s_delay_alu instid0(VALU_DEP_2) | instskip(SKIP_1) | instid1(VALU_DEP_3)
	v_add_co_u32 v32, vcc_lo, s4, v30
	s_wait_alu 0xfffd
	v_add_co_ci_u32_e64 v33, null, s5, v31, vcc_lo
	v_add_co_u32 v30, vcc_lo, s6, v30
	s_wait_alu 0xfffd
	v_add_co_ci_u32_e64 v31, null, s7, v31, vcc_lo
	global_load_b64 v[32:33], v[32:33], off
	global_load_b64 v[30:31], v[30:31], off
	s_wait_loadcnt 0x0
	v_add_f64_e64 v[30:31], v[32:33], -v[30:31]
	s_delay_alu instid0(VALU_DEP_1) | instskip(SKIP_2) | instid1(VALU_DEP_2)
	v_add_f64_e64 v[28:29], v[28:29], -v[30:31]
	v_lshlrev_b64_e32 v[30:31], 3, v[0:1]
	v_add_nc_u32_e32 v0, s23, v0
	v_add_co_u32 v32, vcc_lo, s4, v30
	s_wait_alu 0xfffd
	s_delay_alu instid0(VALU_DEP_3)
	v_add_co_ci_u32_e64 v33, null, s5, v31, vcc_lo
	v_add_co_u32 v30, vcc_lo, s6, v30
	s_wait_alu 0xfffd
	v_add_co_ci_u32_e64 v31, null, s7, v31, vcc_lo
	global_load_b64 v[32:33], v[32:33], off
	global_load_b64 v[30:31], v[30:31], off
	s_wait_loadcnt 0x0
	v_add_f64_e64 v[30:31], v[32:33], -v[30:31]
	s_delay_alu instid0(VALU_DEP_1) | instskip(SKIP_2) | instid1(VALU_DEP_2)
	v_add_f64_e32 v[28:29], v[28:29], v[30:31]
	v_lshlrev_b64_e32 v[30:31], 3, v[0:1]
	v_add_nc_u32_e32 v0, s18, v0
	v_add_co_u32 v32, vcc_lo, s4, v30
	s_wait_alu 0xfffd
	s_delay_alu instid0(VALU_DEP_3)
	v_add_co_ci_u32_e64 v33, null, s5, v31, vcc_lo
	v_add_co_u32 v30, vcc_lo, s6, v30
	s_wait_alu 0xfffd
	v_add_co_ci_u32_e64 v31, null, s7, v31, vcc_lo
	global_load_b64 v[32:33], v[32:33], off
	global_load_b64 v[30:31], v[30:31], off
	s_wait_loadcnt 0x0
	v_add_f64_e64 v[30:31], v[32:33], -v[30:31]
	s_delay_alu instid0(VALU_DEP_1) | instskip(SKIP_2) | instid1(VALU_DEP_2)
	v_add_f64_e64 v[28:29], v[28:29], -v[30:31]
	v_lshlrev_b64_e32 v[30:31], 3, v[0:1]
	v_add_nc_u32_e32 v0, s16, v0
	v_add_co_u32 v32, vcc_lo, s4, v30
	s_wait_alu 0xfffd
	s_delay_alu instid0(VALU_DEP_3)
	v_add_co_ci_u32_e64 v33, null, s5, v31, vcc_lo
	v_add_co_u32 v30, vcc_lo, s6, v30
	s_wait_alu 0xfffd
	v_add_co_ci_u32_e64 v31, null, s7, v31, vcc_lo
	global_load_b64 v[32:33], v[32:33], off
	global_load_b64 v[30:31], v[30:31], off
	s_wait_loadcnt 0x0
	v_add_f64_e64 v[30:31], v[32:33], -v[30:31]
	s_delay_alu instid0(VALU_DEP_1) | instskip(SKIP_2) | instid1(VALU_DEP_2)
	v_add_f64_e64 v[28:29], v[28:29], -v[30:31]
	;; [unrolled: 15-line block ×3, first 2 shown]
	v_lshlrev_b64_e32 v[30:31], 3, v[0:1]
	v_add_nc_u32_e32 v0, s20, v0
	v_add_co_u32 v32, vcc_lo, s4, v30
	s_wait_alu 0xfffd
	s_delay_alu instid0(VALU_DEP_3)
	v_add_co_ci_u32_e64 v33, null, s5, v31, vcc_lo
	v_add_co_u32 v30, vcc_lo, s6, v30
	s_wait_alu 0xfffd
	v_add_co_ci_u32_e64 v31, null, s7, v31, vcc_lo
	global_load_b64 v[32:33], v[32:33], off
	global_load_b64 v[30:31], v[30:31], off
	s_wait_loadcnt 0x0
	v_add_f64_e64 v[30:31], v[32:33], -v[30:31]
	s_delay_alu instid0(VALU_DEP_1) | instskip(SKIP_4) | instid1(VALU_DEP_1)
	v_add_f64_e64 v[28:29], v[28:29], -v[30:31]
	global_load_b64 v[30:31], v[50:51], off
	global_load_b64 v[32:33], v[48:49], off
	s_wait_loadcnt 0x0
	v_add_f64_e64 v[30:31], v[30:31], -v[32:33]
	v_add_f64_e64 v[28:29], v[28:29], -v[30:31]
	v_lshlrev_b64_e32 v[30:31], 3, v[0:1]
	v_add_nc_u32_e32 v0, s0, v0
	s_delay_alu instid0(VALU_DEP_2) | instskip(SKIP_1) | instid1(VALU_DEP_3)
	v_add_co_u32 v32, vcc_lo, s4, v30
	s_wait_alu 0xfffd
	v_add_co_ci_u32_e64 v33, null, s5, v31, vcc_lo
	v_add_co_u32 v30, vcc_lo, s6, v30
	s_wait_alu 0xfffd
	v_add_co_ci_u32_e64 v31, null, s7, v31, vcc_lo
	global_load_b64 v[32:33], v[32:33], off
	global_load_b64 v[30:31], v[30:31], off
	s_wait_loadcnt 0x0
	v_add_f64_e64 v[30:31], v[32:33], -v[30:31]
	s_delay_alu instid0(VALU_DEP_1) | instskip(SKIP_2) | instid1(VALU_DEP_2)
	v_add_f64_e64 v[28:29], v[28:29], -v[30:31]
	v_lshlrev_b64_e32 v[30:31], 3, v[0:1]
	v_add_nc_u32_e32 v0, s14, v0
	v_add_co_u32 v32, vcc_lo, s4, v30
	s_wait_alu 0xfffd
	s_delay_alu instid0(VALU_DEP_3)
	v_add_co_ci_u32_e64 v33, null, s5, v31, vcc_lo
	v_add_co_u32 v30, vcc_lo, s6, v30
	s_wait_alu 0xfffd
	v_add_co_ci_u32_e64 v31, null, s7, v31, vcc_lo
	global_load_b64 v[32:33], v[32:33], off
	global_load_b64 v[30:31], v[30:31], off
	s_wait_loadcnt 0x0
	v_add_f64_e64 v[30:31], v[32:33], -v[30:31]
	s_delay_alu instid0(VALU_DEP_1) | instskip(SKIP_2) | instid1(VALU_DEP_2)
	v_add_f64_e64 v[28:29], v[28:29], -v[30:31]
	v_lshlrev_b64_e32 v[30:31], 3, v[0:1]
	v_add_nc_u32_e32 v0, s21, v0
	v_add_co_u32 v32, vcc_lo, s4, v30
	s_wait_alu 0xfffd
	s_delay_alu instid0(VALU_DEP_3)
	;; [unrolled: 15-line block ×5, first 2 shown]
	v_add_co_ci_u32_e64 v33, null, s5, v31, vcc_lo
	v_add_co_u32 v30, vcc_lo, s6, v30
	s_wait_alu 0xfffd
	v_add_co_ci_u32_e64 v31, null, s7, v31, vcc_lo
	global_load_b64 v[32:33], v[32:33], off
	global_load_b64 v[30:31], v[30:31], off
	s_wait_loadcnt 0x0
	v_add_f64_e64 v[30:31], v[32:33], -v[30:31]
	s_delay_alu instid0(VALU_DEP_1) | instskip(SKIP_2) | instid1(VALU_DEP_2)
	v_add_f64_e32 v[28:29], v[28:29], v[30:31]
	v_lshlrev_b64_e32 v[30:31], 3, v[0:1]
	v_add_nc_u32_e32 v0, s22, v0
	v_add_co_u32 v32, vcc_lo, s4, v30
	s_wait_alu 0xfffd
	s_delay_alu instid0(VALU_DEP_3)
	v_add_co_ci_u32_e64 v33, null, s5, v31, vcc_lo
	v_add_co_u32 v30, vcc_lo, s6, v30
	s_wait_alu 0xfffd
	v_add_co_ci_u32_e64 v31, null, s7, v31, vcc_lo
	global_load_b64 v[32:33], v[32:33], off
	global_load_b64 v[30:31], v[30:31], off
	s_wait_loadcnt 0x0
	v_add_f64_e64 v[30:31], v[32:33], -v[30:31]
	s_delay_alu instid0(VALU_DEP_1) | instskip(SKIP_1) | instid1(VALU_DEP_1)
	v_add_f64_e32 v[28:29], v[28:29], v[30:31]
	v_lshlrev_b64_e32 v[30:31], 3, v[0:1]
	v_add_co_u32 v32, vcc_lo, s4, v30
	s_wait_alu 0xfffd
	s_delay_alu instid0(VALU_DEP_2)
	v_add_co_ci_u32_e64 v33, null, s5, v31, vcc_lo
	v_add_co_u32 v30, vcc_lo, s6, v30
	s_wait_alu 0xfffd
	v_add_co_ci_u32_e64 v31, null, s7, v31, vcc_lo
	global_load_b64 v[32:33], v[32:33], off
	v_add_co_u32 v26, vcc_lo, s8, v26
	global_load_b64 v[30:31], v[30:31], off
	s_wait_alu 0xfffd
	v_add_co_ci_u32_e64 v27, null, s9, v27, vcc_lo
	s_wait_loadcnt 0x0
	v_add_f64_e64 v[30:31], v[32:33], -v[30:31]
	s_delay_alu instid0(VALU_DEP_1) | instskip(NEXT) | instid1(VALU_DEP_1)
	v_add_f64_e64 v[28:29], v[28:29], -v[30:31]
	v_mul_f64_e32 v[28:29], s[10:11], v[28:29]
	s_delay_alu instid0(VALU_DEP_1)
	v_mul_f64_e32 v[28:29], s[2:3], v[28:29]
	global_store_b64 v[26:27], v[28:29], off
	global_load_b64 v[6:7], v[6:7], off
	global_load_b64 v[8:9], v[8:9], off
	s_wait_loadcnt 0x0
	v_add_f64_e64 v[6:7], v[6:7], -v[8:9]
	global_load_b64 v[8:9], v[18:19], off
	global_load_b64 v[18:19], v[20:21], off
	s_wait_loadcnt 0x0
	v_add_f64_e64 v[8:9], v[8:9], -v[18:19]
	s_delay_alu instid0(VALU_DEP_1) | instskip(SKIP_2) | instid1(VALU_DEP_1)
	v_add_f64_e32 v[8:9], v[6:7], v[8:9]
	v_mad_co_u64_u32 v[6:7], null, 0xffffff3e, s14, v[0:1]
	v_mov_b32_e32 v7, v1
	v_lshlrev_b64_e32 v[18:19], 3, v[6:7]
	v_add_nc_u32_e32 v0, s22, v6
	s_delay_alu instid0(VALU_DEP_2) | instskip(SKIP_1) | instid1(VALU_DEP_3)
	v_add_co_u32 v20, vcc_lo, s4, v18
	s_wait_alu 0xfffd
	v_add_co_ci_u32_e64 v21, null, s5, v19, vcc_lo
	v_add_co_u32 v18, vcc_lo, s6, v18
	s_wait_alu 0xfffd
	v_add_co_ci_u32_e64 v19, null, s7, v19, vcc_lo
	global_load_b64 v[20:21], v[20:21], off
	global_load_b64 v[18:19], v[18:19], off
	s_wait_loadcnt 0x0
	v_add_f64_e64 v[18:19], v[20:21], -v[18:19]
	s_delay_alu instid0(VALU_DEP_1) | instskip(SKIP_4) | instid1(VALU_DEP_1)
	v_add_f64_e32 v[7:8], v[8:9], v[18:19]
	global_load_b64 v[9:10], v[10:11], off
	global_load_b64 v[11:12], v[12:13], off
	s_wait_loadcnt 0x0
	v_add_f64_e64 v[9:10], v[9:10], -v[11:12]
	v_add_f64_e32 v[7:8], v[7:8], v[9:10]
	global_load_b64 v[9:10], v[22:23], off
	global_load_b64 v[11:12], v[24:25], off
	s_wait_loadcnt 0x0
	v_add_f64_e64 v[9:10], v[9:10], -v[11:12]
	s_delay_alu instid0(VALU_DEP_1) | instskip(SKIP_2) | instid1(VALU_DEP_2)
	v_add_f64_e32 v[7:8], v[7:8], v[9:10]
	v_lshlrev_b64_e32 v[9:10], 3, v[0:1]
	v_add_nc_u32_e32 v0, s24, v0
	v_add_co_u32 v11, vcc_lo, s4, v9
	s_wait_alu 0xfffd
	s_delay_alu instid0(VALU_DEP_3)
	v_add_co_ci_u32_e64 v12, null, s5, v10, vcc_lo
	v_add_co_u32 v9, vcc_lo, s6, v9
	s_wait_alu 0xfffd
	v_add_co_ci_u32_e64 v10, null, s7, v10, vcc_lo
	global_load_b64 v[11:12], v[11:12], off
	global_load_b64 v[9:10], v[9:10], off
	s_wait_loadcnt 0x0
	v_add_f64_e64 v[9:10], v[11:12], -v[9:10]
	s_delay_alu instid0(VALU_DEP_1) | instskip(NEXT) | instid1(VALU_DEP_1)
	v_add_f64_e32 v[6:7], v[7:8], v[9:10]
	v_add_f64_e32 v[4:5], v[4:5], v[6:7]
	v_lshlrev_b64_e32 v[6:7], 3, v[0:1]
	v_add_nc_u32_e32 v0, s21, v0
	s_delay_alu instid0(VALU_DEP_2) | instskip(SKIP_1) | instid1(VALU_DEP_3)
	v_add_co_u32 v8, vcc_lo, s4, v6
	s_wait_alu 0xfffd
	v_add_co_ci_u32_e64 v9, null, s5, v7, vcc_lo
	v_add_co_u32 v6, vcc_lo, s6, v6
	s_wait_alu 0xfffd
	v_add_co_ci_u32_e64 v7, null, s7, v7, vcc_lo
	global_load_b64 v[8:9], v[8:9], off
	global_load_b64 v[6:7], v[6:7], off
	s_wait_loadcnt 0x0
	v_add_f64_e64 v[6:7], v[8:9], -v[6:7]
	s_delay_alu instid0(VALU_DEP_1) | instskip(SKIP_2) | instid1(VALU_DEP_2)
	v_add_f64_e64 v[4:5], v[4:5], -v[6:7]
	v_lshlrev_b64_e32 v[6:7], 3, v[0:1]
	v_add_nc_u32_e32 v0, s18, v0
	v_add_co_u32 v8, vcc_lo, s4, v6
	s_wait_alu 0xfffd
	s_delay_alu instid0(VALU_DEP_3)
	v_add_co_ci_u32_e64 v9, null, s5, v7, vcc_lo
	v_add_co_u32 v6, vcc_lo, s6, v6
	s_wait_alu 0xfffd
	v_add_co_ci_u32_e64 v7, null, s7, v7, vcc_lo
	global_load_b64 v[8:9], v[8:9], off
	global_load_b64 v[6:7], v[6:7], off
	s_wait_loadcnt 0x0
	v_add_f64_e64 v[6:7], v[8:9], -v[6:7]
	s_delay_alu instid0(VALU_DEP_1) | instskip(SKIP_1) | instid1(VALU_DEP_1)
	v_add_f64_e32 v[4:5], v[4:5], v[6:7]
	v_lshlrev_b64_e32 v[6:7], 3, v[0:1]
	v_add_co_u32 v8, vcc_lo, s4, v6
	s_wait_alu 0xfffd
	s_delay_alu instid0(VALU_DEP_2)
	v_add_co_ci_u32_e64 v9, null, s5, v7, vcc_lo
	v_add_co_u32 v6, vcc_lo, s6, v6
	s_wait_alu 0xfffd
	v_add_co_ci_u32_e64 v7, null, s7, v7, vcc_lo
	global_load_b64 v[8:9], v[8:9], off
	global_load_b64 v[6:7], v[6:7], off
	s_wait_loadcnt 0x0
	v_add_f64_e64 v[6:7], v[8:9], -v[6:7]
	s_delay_alu instid0(VALU_DEP_1)
	v_add_f64_e32 v[4:5], v[4:5], v[6:7]
	global_load_b64 v[6:7], v[14:15], off
	global_load_b64 v[8:9], v[16:17], off
	s_load_b64 s[0:1], s[12:13], 0x28
	s_wait_loadcnt 0x0
	v_add_f64_e64 v[6:7], v[6:7], -v[8:9]
	s_delay_alu instid0(VALU_DEP_1) | instskip(SKIP_2) | instid1(VALU_DEP_1)
	v_add_f64_e32 v[4:5], v[4:5], v[6:7]
	v_mad_co_u64_u32 v[6:7], null, s14, 20, v[0:1]
	v_mov_b32_e32 v7, v1
	v_lshlrev_b64_e32 v[7:8], 3, v[6:7]
	v_add_nc_u32_e32 v0, s15, v6
	s_delay_alu instid0(VALU_DEP_2) | instskip(SKIP_1) | instid1(VALU_DEP_3)
	v_add_co_u32 v9, vcc_lo, s4, v7
	s_wait_alu 0xfffd
	v_add_co_ci_u32_e64 v10, null, s5, v8, vcc_lo
	v_add_co_u32 v7, vcc_lo, s6, v7
	s_wait_alu 0xfffd
	v_add_co_ci_u32_e64 v8, null, s7, v8, vcc_lo
	global_load_b64 v[9:10], v[9:10], off
	global_load_b64 v[7:8], v[7:8], off
	s_wait_loadcnt 0x0
	v_add_f64_e64 v[7:8], v[9:10], -v[7:8]
	s_delay_alu instid0(VALU_DEP_1) | instskip(SKIP_2) | instid1(VALU_DEP_2)
	v_add_f64_e32 v[4:5], v[4:5], v[7:8]
	v_lshlrev_b64_e32 v[6:7], 3, v[0:1]
	v_add_nc_u32_e32 v0, s14, v0
	v_add_co_u32 v8, vcc_lo, s4, v6
	s_wait_alu 0xfffd
	s_delay_alu instid0(VALU_DEP_3)
	v_add_co_ci_u32_e64 v9, null, s5, v7, vcc_lo
	v_add_co_u32 v6, vcc_lo, s6, v6
	s_wait_alu 0xfffd
	v_add_co_ci_u32_e64 v7, null, s7, v7, vcc_lo
	global_load_b64 v[8:9], v[8:9], off
	global_load_b64 v[6:7], v[6:7], off
	s_wait_loadcnt 0x0
	v_add_f64_e64 v[6:7], v[8:9], -v[6:7]
	s_delay_alu instid0(VALU_DEP_1) | instskip(SKIP_2) | instid1(VALU_DEP_2)
	v_add_f64_e32 v[4:5], v[4:5], v[6:7]
	v_lshlrev_b64_e32 v[6:7], 3, v[0:1]
	v_add_nc_u32_e32 v0, s23, v0
	v_add_co_u32 v8, vcc_lo, s4, v6
	s_wait_alu 0xfffd
	s_delay_alu instid0(VALU_DEP_3)
	v_add_co_ci_u32_e64 v9, null, s5, v7, vcc_lo
	v_add_co_u32 v6, vcc_lo, s6, v6
	s_wait_alu 0xfffd
	v_add_co_ci_u32_e64 v7, null, s7, v7, vcc_lo
	global_load_b64 v[8:9], v[8:9], off
	global_load_b64 v[6:7], v[6:7], off
	s_wait_loadcnt 0x0
	v_add_f64_e64 v[6:7], v[8:9], -v[6:7]
	s_delay_alu instid0(VALU_DEP_1) | instskip(SKIP_2) | instid1(VALU_DEP_2)
	v_add_f64_e32 v[4:5], v[4:5], v[6:7]
	v_lshlrev_b64_e32 v[6:7], 3, v[0:1]
	v_add_nc_u32_e32 v0, s20, v0
	v_add_co_u32 v8, vcc_lo, s4, v6
	s_wait_alu 0xfffd
	s_delay_alu instid0(VALU_DEP_3)
	v_add_co_ci_u32_e64 v9, null, s5, v7, vcc_lo
	v_add_co_u32 v6, vcc_lo, s6, v6
	s_wait_alu 0xfffd
	v_add_co_ci_u32_e64 v7, null, s7, v7, vcc_lo
	global_load_b64 v[8:9], v[8:9], off
	global_load_b64 v[6:7], v[6:7], off
	s_wait_loadcnt 0x0
	v_add_f64_e64 v[6:7], v[8:9], -v[6:7]
	s_delay_alu instid0(VALU_DEP_1) | instskip(SKIP_2) | instid1(VALU_DEP_2)
	v_add_f64_e32 v[4:5], v[4:5], v[6:7]
	v_lshlrev_b64_e32 v[6:7], 3, v[0:1]
	v_add_nc_u32_e32 v0, s17, v0
	v_add_co_u32 v8, vcc_lo, s4, v6
	s_wait_alu 0xfffd
	s_delay_alu instid0(VALU_DEP_3)
	v_add_co_ci_u32_e64 v9, null, s5, v7, vcc_lo
	v_add_co_u32 v6, vcc_lo, s6, v6
	s_wait_alu 0xfffd
	v_add_co_ci_u32_e64 v7, null, s7, v7, vcc_lo
	global_load_b64 v[8:9], v[8:9], off
	global_load_b64 v[6:7], v[6:7], off
	s_wait_loadcnt 0x0
	v_add_f64_e64 v[6:7], v[8:9], -v[6:7]
	s_delay_alu instid0(VALU_DEP_1) | instskip(SKIP_1) | instid1(VALU_DEP_1)
	v_add_f64_e32 v[4:5], v[4:5], v[6:7]
	v_lshlrev_b64_e32 v[6:7], 3, v[0:1]
	v_add_co_u32 v8, vcc_lo, s4, v6
	s_wait_alu 0xfffd
	s_delay_alu instid0(VALU_DEP_2)
	v_add_co_ci_u32_e64 v9, null, s5, v7, vcc_lo
	v_add_co_u32 v6, vcc_lo, s6, v6
	s_wait_alu 0xfffd
	v_add_co_ci_u32_e64 v7, null, s7, v7, vcc_lo
	global_load_b64 v[8:9], v[8:9], off
	global_load_b64 v[6:7], v[6:7], off
	s_wait_loadcnt 0x0
	v_add_f64_e64 v[6:7], v[8:9], -v[6:7]
	s_delay_alu instid0(VALU_DEP_1) | instskip(SKIP_2) | instid1(VALU_DEP_1)
	v_add_f64_e32 v[4:5], v[4:5], v[6:7]
	v_mad_co_u64_u32 v[6:7], null, s14, 27, v[0:1]
	v_mov_b32_e32 v7, v1
	v_lshlrev_b64_e32 v[7:8], 3, v[6:7]
	v_add_nc_u32_e32 v0, s15, v6
	s_delay_alu instid0(VALU_DEP_2) | instskip(SKIP_1) | instid1(VALU_DEP_3)
	v_add_co_u32 v9, vcc_lo, s4, v7
	s_wait_alu 0xfffd
	v_add_co_ci_u32_e64 v10, null, s5, v8, vcc_lo
	v_add_co_u32 v7, vcc_lo, s6, v7
	s_wait_alu 0xfffd
	v_add_co_ci_u32_e64 v8, null, s7, v8, vcc_lo
	global_load_b64 v[9:10], v[9:10], off
	global_load_b64 v[7:8], v[7:8], off
	s_wait_loadcnt 0x0
	v_add_f64_e64 v[7:8], v[9:10], -v[7:8]
	s_delay_alu instid0(VALU_DEP_1) | instskip(SKIP_2) | instid1(VALU_DEP_2)
	v_add_f64_e32 v[4:5], v[4:5], v[7:8]
	v_lshlrev_b64_e32 v[6:7], 3, v[0:1]
	v_add_nc_u32_e32 v0, s16, v0
	v_add_co_u32 v8, vcc_lo, s4, v6
	s_wait_alu 0xfffd
	s_delay_alu instid0(VALU_DEP_3)
	v_add_co_ci_u32_e64 v9, null, s5, v7, vcc_lo
	v_add_co_u32 v6, vcc_lo, s6, v6
	s_wait_alu 0xfffd
	v_add_co_ci_u32_e64 v7, null, s7, v7, vcc_lo
	global_load_b64 v[8:9], v[8:9], off
	global_load_b64 v[6:7], v[6:7], off
	s_wait_loadcnt 0x0
	v_add_f64_e64 v[6:7], v[8:9], -v[6:7]
	s_delay_alu instid0(VALU_DEP_1) | instskip(SKIP_2) | instid1(VALU_DEP_2)
	v_add_f64_e32 v[4:5], v[4:5], v[6:7]
	v_lshlrev_b64_e32 v[6:7], 3, v[0:1]
	v_add_nc_u32_e32 v0, s18, v0
	v_add_co_u32 v8, vcc_lo, s4, v6
	s_wait_alu 0xfffd
	s_delay_alu instid0(VALU_DEP_3)
	v_add_co_ci_u32_e64 v9, null, s5, v7, vcc_lo
	v_add_co_u32 v6, vcc_lo, s6, v6
	s_wait_alu 0xfffd
	v_add_co_ci_u32_e64 v7, null, s7, v7, vcc_lo
	global_load_b64 v[8:9], v[8:9], off
	global_load_b64 v[6:7], v[6:7], off
	s_wait_loadcnt 0x0
	v_add_f64_e64 v[6:7], v[8:9], -v[6:7]
	s_delay_alu instid0(VALU_DEP_1) | instskip(SKIP_1) | instid1(VALU_DEP_1)
	v_add_f64_e32 v[4:5], v[4:5], v[6:7]
	v_lshlrev_b64_e32 v[6:7], 3, v[0:1]
	v_add_co_u32 v8, vcc_lo, s4, v6
	s_wait_alu 0xfffd
	s_delay_alu instid0(VALU_DEP_2)
	v_add_co_ci_u32_e64 v9, null, s5, v7, vcc_lo
	v_add_co_u32 v6, vcc_lo, s6, v6
	s_wait_alu 0xfffd
	v_add_co_ci_u32_e64 v7, null, s7, v7, vcc_lo
	global_load_b64 v[8:9], v[8:9], off
	global_load_b64 v[6:7], v[6:7], off
	s_wait_loadcnt 0x0
	v_add_f64_e64 v[6:7], v[8:9], -v[6:7]
	s_delay_alu instid0(VALU_DEP_1) | instskip(SKIP_2) | instid1(VALU_DEP_1)
	v_add_f64_e32 v[4:5], v[4:5], v[6:7]
	v_mad_co_u64_u32 v[6:7], null, s14, 21, v[0:1]
	v_mov_b32_e32 v7, v1
	v_lshlrev_b64_e32 v[7:8], 3, v[6:7]
	v_add_nc_u32_e32 v0, s19, v6
	s_delay_alu instid0(VALU_DEP_2) | instskip(SKIP_1) | instid1(VALU_DEP_3)
	v_add_co_u32 v9, vcc_lo, s4, v7
	s_wait_alu 0xfffd
	v_add_co_ci_u32_e64 v10, null, s5, v8, vcc_lo
	v_add_co_u32 v7, vcc_lo, s6, v7
	s_wait_alu 0xfffd
	v_add_co_ci_u32_e64 v8, null, s7, v8, vcc_lo
	global_load_b64 v[9:10], v[9:10], off
	global_load_b64 v[7:8], v[7:8], off
	s_wait_loadcnt 0x0
	v_add_f64_e64 v[7:8], v[9:10], -v[7:8]
	s_delay_alu instid0(VALU_DEP_1) | instskip(SKIP_2) | instid1(VALU_DEP_2)
	v_add_f64_e32 v[4:5], v[4:5], v[7:8]
	v_lshlrev_b64_e32 v[6:7], 3, v[0:1]
	v_add_nc_u32_e32 v0, s15, v0
	v_add_co_u32 v8, vcc_lo, s4, v6
	s_wait_alu 0xfffd
	s_delay_alu instid0(VALU_DEP_3)
	v_add_co_ci_u32_e64 v9, null, s5, v7, vcc_lo
	v_add_co_u32 v6, vcc_lo, s6, v6
	s_wait_alu 0xfffd
	v_add_co_ci_u32_e64 v7, null, s7, v7, vcc_lo
	global_load_b64 v[8:9], v[8:9], off
	v_lshlrev_b64_e32 v[0:1], 3, v[0:1]
	global_load_b64 v[6:7], v[6:7], off
	s_wait_loadcnt 0x0
	v_add_f64_e64 v[6:7], v[8:9], -v[6:7]
	s_delay_alu instid0(VALU_DEP_1)
	v_add_f64_e32 v[4:5], v[4:5], v[6:7]
	v_add_co_u32 v6, vcc_lo, s4, v0
	s_wait_alu 0xfffd
	v_add_co_ci_u32_e64 v7, null, s5, v1, vcc_lo
	v_add_co_u32 v0, vcc_lo, s6, v0
	s_wait_alu 0xfffd
	v_add_co_ci_u32_e64 v1, null, s7, v1, vcc_lo
	global_load_b64 v[6:7], v[6:7], off
	v_add_co_u32 v2, vcc_lo, s8, v2
	global_load_b64 v[0:1], v[0:1], off
	s_wait_alu 0xfffd
	v_add_co_ci_u32_e64 v3, null, s9, v3, vcc_lo
	s_wait_loadcnt 0x0
	v_add_f64_e64 v[0:1], v[6:7], -v[0:1]
	s_delay_alu instid0(VALU_DEP_1) | instskip(NEXT) | instid1(VALU_DEP_1)
	v_add_f64_e32 v[0:1], v[4:5], v[0:1]
	v_mul_f64_e32 v[0:1], s[10:11], v[0:1]
	s_wait_kmcnt 0x0
	s_delay_alu instid0(VALU_DEP_1)
	v_mul_f64_e32 v[0:1], s[0:1], v[0:1]
	global_store_b64 v[2:3], v[0:1], off
	s_endpgm
	.section	.rodata,"a",@progbits
	.p2align	6, 0x0
	.amdhsa_kernel _Z15rdwdot10_kernelIdEvPKT_S2_PS0_S0_S2_
		.amdhsa_group_segment_fixed_size 0
		.amdhsa_private_segment_fixed_size 0
		.amdhsa_kernarg_size 296
		.amdhsa_user_sgpr_count 2
		.amdhsa_user_sgpr_dispatch_ptr 0
		.amdhsa_user_sgpr_queue_ptr 0
		.amdhsa_user_sgpr_kernarg_segment_ptr 1
		.amdhsa_user_sgpr_dispatch_id 0
		.amdhsa_user_sgpr_private_segment_size 0
		.amdhsa_wavefront_size32 1
		.amdhsa_uses_dynamic_stack 0
		.amdhsa_enable_private_segment 0
		.amdhsa_system_sgpr_workgroup_id_x 1
		.amdhsa_system_sgpr_workgroup_id_y 0
		.amdhsa_system_sgpr_workgroup_id_z 0
		.amdhsa_system_sgpr_workgroup_info 0
		.amdhsa_system_vgpr_workitem_id 0
		.amdhsa_next_free_vgpr 56
		.amdhsa_next_free_sgpr 28
		.amdhsa_reserve_vcc 1
		.amdhsa_float_round_mode_32 0
		.amdhsa_float_round_mode_16_64 0
		.amdhsa_float_denorm_mode_32 3
		.amdhsa_float_denorm_mode_16_64 3
		.amdhsa_fp16_overflow 0
		.amdhsa_workgroup_processor_mode 1
		.amdhsa_memory_ordered 1
		.amdhsa_forward_progress 1
		.amdhsa_inst_pref_size 96
		.amdhsa_round_robin_scheduling 0
		.amdhsa_exception_fp_ieee_invalid_op 0
		.amdhsa_exception_fp_denorm_src 0
		.amdhsa_exception_fp_ieee_div_zero 0
		.amdhsa_exception_fp_ieee_overflow 0
		.amdhsa_exception_fp_ieee_underflow 0
		.amdhsa_exception_fp_ieee_inexact 0
		.amdhsa_exception_int_div_zero 0
	.end_amdhsa_kernel
	.section	.text._Z15rdwdot10_kernelIdEvPKT_S2_PS0_S0_S2_,"axG",@progbits,_Z15rdwdot10_kernelIdEvPKT_S2_PS0_S0_S2_,comdat
.Lfunc_end53:
	.size	_Z15rdwdot10_kernelIdEvPKT_S2_PS0_S0_S2_, .Lfunc_end53-_Z15rdwdot10_kernelIdEvPKT_S2_PS0_S0_S2_
                                        ; -- End function
	.set _Z15rdwdot10_kernelIdEvPKT_S2_PS0_S0_S2_.num_vgpr, 56
	.set _Z15rdwdot10_kernelIdEvPKT_S2_PS0_S0_S2_.num_agpr, 0
	.set _Z15rdwdot10_kernelIdEvPKT_S2_PS0_S0_S2_.numbered_sgpr, 28
	.set _Z15rdwdot10_kernelIdEvPKT_S2_PS0_S0_S2_.num_named_barrier, 0
	.set _Z15rdwdot10_kernelIdEvPKT_S2_PS0_S0_S2_.private_seg_size, 0
	.set _Z15rdwdot10_kernelIdEvPKT_S2_PS0_S0_S2_.uses_vcc, 1
	.set _Z15rdwdot10_kernelIdEvPKT_S2_PS0_S0_S2_.uses_flat_scratch, 0
	.set _Z15rdwdot10_kernelIdEvPKT_S2_PS0_S0_S2_.has_dyn_sized_stack, 0
	.set _Z15rdwdot10_kernelIdEvPKT_S2_PS0_S0_S2_.has_recursion, 0
	.set _Z15rdwdot10_kernelIdEvPKT_S2_PS0_S0_S2_.has_indirect_call, 0
	.section	.AMDGPU.csdata,"",@progbits
; Kernel info:
; codeLenInByte = 12168
; TotalNumSgprs: 30
; NumVgprs: 56
; ScratchSize: 0
; MemoryBound: 0
; FloatMode: 240
; IeeeMode: 1
; LDSByteSize: 0 bytes/workgroup (compile time only)
; SGPRBlocks: 0
; VGPRBlocks: 6
; NumSGPRsForWavesPerEU: 30
; NumVGPRsForWavesPerEU: 56
; Occupancy: 16
; WaveLimiterHint : 0
; COMPUTE_PGM_RSRC2:SCRATCH_EN: 0
; COMPUTE_PGM_RSRC2:USER_SGPR: 2
; COMPUTE_PGM_RSRC2:TRAP_HANDLER: 0
; COMPUTE_PGM_RSRC2:TGID_X_EN: 1
; COMPUTE_PGM_RSRC2:TGID_Y_EN: 0
; COMPUTE_PGM_RSRC2:TGID_Z_EN: 0
; COMPUTE_PGM_RSRC2:TIDIG_COMP_CNT: 0
	.section	.AMDGPU.gpr_maximums,"",@progbits
	.set amdgpu.max_num_vgpr, 0
	.set amdgpu.max_num_agpr, 0
	.set amdgpu.max_num_sgpr, 0
	.section	.AMDGPU.csdata,"",@progbits
	.type	__hip_cuid_e86b5ee1ac186a7d,@object ; @__hip_cuid_e86b5ee1ac186a7d
	.section	.bss,"aw",@nobits
	.globl	__hip_cuid_e86b5ee1ac186a7d
__hip_cuid_e86b5ee1ac186a7d:
	.byte	0                               ; 0x0
	.size	__hip_cuid_e86b5ee1ac186a7d, 1

	.ident	"AMD clang version 22.0.0git (https://github.com/RadeonOpenCompute/llvm-project roc-7.2.4 26084 f58b06dce1f9c15707c5f808fd002e18c2accf7e)"
	.section	".note.GNU-stack","",@progbits
	.addrsig
	.addrsig_sym __hip_cuid_e86b5ee1ac186a7d
	.amdgpu_metadata
---
amdhsa.kernels:
  - .args:
      - .actual_access:  read_only
        .address_space:  global
        .offset:         0
        .size:           8
        .value_kind:     global_buffer
      - .actual_access:  write_only
        .address_space:  global
        .offset:         8
        .size:           8
        .value_kind:     global_buffer
      - .offset:         16
        .size:           4
        .value_kind:     by_value
      - .offset:         24
        .size:           4
        .value_kind:     hidden_block_count_x
      - .offset:         28
        .size:           4
        .value_kind:     hidden_block_count_y
      - .offset:         32
        .size:           4
        .value_kind:     hidden_block_count_z
      - .offset:         36
        .size:           2
        .value_kind:     hidden_group_size_x
      - .offset:         38
        .size:           2
        .value_kind:     hidden_group_size_y
      - .offset:         40
        .size:           2
        .value_kind:     hidden_group_size_z
      - .offset:         42
        .size:           2
        .value_kind:     hidden_remainder_x
      - .offset:         44
        .size:           2
        .value_kind:     hidden_remainder_y
      - .offset:         46
        .size:           2
        .value_kind:     hidden_remainder_z
      - .offset:         64
        .size:           8
        .value_kind:     hidden_global_offset_x
      - .offset:         72
        .size:           8
        .value_kind:     hidden_global_offset_y
      - .offset:         80
        .size:           8
        .value_kind:     hidden_global_offset_z
      - .offset:         88
        .size:           2
        .value_kind:     hidden_grid_dims
    .group_segment_fixed_size: 0
    .kernarg_segment_align: 8
    .kernarg_segment_size: 280
    .language:       OpenCL C
    .language_version:
      - 2
      - 0
    .max_flat_workgroup_size: 1024
    .name:           _Z11ratt_kernelIfEvPKT_PS0_S0_
    .private_segment_fixed_size: 0
    .sgpr_count:     10
    .sgpr_spill_count: 0
    .symbol:         _Z11ratt_kernelIfEvPKT_PS0_S0_.kd
    .uniform_work_group_size: 1
    .uses_dynamic_stack: false
    .vgpr_count:     15
    .vgpr_spill_count: 0
    .wavefront_size: 32
    .workgroup_processor_mode: 1
  - .args:
      - .actual_access:  read_only
        .address_space:  global
        .offset:         0
        .size:           8
        .value_kind:     global_buffer
      - .actual_access:  write_only
        .address_space:  global
        .offset:         8
        .size:           8
        .value_kind:     global_buffer
      - .offset:         16
        .size:           4
        .value_kind:     by_value
      - .offset:         24
        .size:           4
        .value_kind:     hidden_block_count_x
      - .offset:         28
        .size:           4
        .value_kind:     hidden_block_count_y
      - .offset:         32
        .size:           4
        .value_kind:     hidden_block_count_z
      - .offset:         36
        .size:           2
        .value_kind:     hidden_group_size_x
      - .offset:         38
        .size:           2
        .value_kind:     hidden_group_size_y
      - .offset:         40
        .size:           2
        .value_kind:     hidden_group_size_z
      - .offset:         42
        .size:           2
        .value_kind:     hidden_remainder_x
      - .offset:         44
        .size:           2
        .value_kind:     hidden_remainder_y
      - .offset:         46
        .size:           2
        .value_kind:     hidden_remainder_z
      - .offset:         64
        .size:           8
        .value_kind:     hidden_global_offset_x
      - .offset:         72
        .size:           8
        .value_kind:     hidden_global_offset_y
      - .offset:         80
        .size:           8
        .value_kind:     hidden_global_offset_z
      - .offset:         88
        .size:           2
        .value_kind:     hidden_grid_dims
    .group_segment_fixed_size: 0
    .kernarg_segment_align: 8
    .kernarg_segment_size: 280
    .language:       OpenCL C
    .language_version:
      - 2
      - 0
    .max_flat_workgroup_size: 1024
    .name:           _Z12rdsmh_kernelIfEvPKT_PS0_S0_
    .private_segment_fixed_size: 0
    .sgpr_count:     10
    .sgpr_spill_count: 0
    .symbol:         _Z12rdsmh_kernelIfEvPKT_PS0_S0_.kd
    .uniform_work_group_size: 1
    .uses_dynamic_stack: false
    .vgpr_count:     22
    .vgpr_spill_count: 0
    .wavefront_size: 32
    .workgroup_processor_mode: 1
  - .args:
      - .address_space:  global
        .offset:         0
        .size:           8
        .value_kind:     global_buffer
      - .address_space:  global
        .offset:         8
        .size:           8
        .value_kind:     global_buffer
      - .address_space:  global
        .offset:         16
        .size:           8
        .value_kind:     global_buffer
      - .address_space:  global
        .offset:         24
        .size:           8
        .value_kind:     global_buffer
      - .offset:         32
        .size:           4
        .value_kind:     by_value
      - .offset:         36
        .size:           4
        .value_kind:     by_value
      - .offset:         40
        .size:           4
        .value_kind:     hidden_block_count_x
      - .offset:         44
        .size:           4
        .value_kind:     hidden_block_count_y
      - .offset:         48
        .size:           4
        .value_kind:     hidden_block_count_z
      - .offset:         52
        .size:           2
        .value_kind:     hidden_group_size_x
      - .offset:         54
        .size:           2
        .value_kind:     hidden_group_size_y
      - .offset:         56
        .size:           2
        .value_kind:     hidden_group_size_z
      - .offset:         58
        .size:           2
        .value_kind:     hidden_remainder_x
      - .offset:         60
        .size:           2
        .value_kind:     hidden_remainder_y
      - .offset:         62
        .size:           2
        .value_kind:     hidden_remainder_z
      - .offset:         80
        .size:           8
        .value_kind:     hidden_global_offset_x
      - .offset:         88
        .size:           8
        .value_kind:     hidden_global_offset_y
      - .offset:         96
        .size:           8
        .value_kind:     hidden_global_offset_z
      - .offset:         104
        .size:           2
        .value_kind:     hidden_grid_dims
    .group_segment_fixed_size: 0
    .kernarg_segment_align: 8
    .kernarg_segment_size: 296
    .language:       OpenCL C
    .language_version:
      - 2
      - 0
    .max_flat_workgroup_size: 1024
    .name:           _Z7gr_baseIfEvPKT_S2_S2_PS0_S0_S0_
    .private_segment_fixed_size: 0
    .sgpr_count:     14
    .sgpr_spill_count: 0
    .symbol:         _Z7gr_baseIfEvPKT_S2_S2_PS0_S0_S0_.kd
    .uniform_work_group_size: 1
    .uses_dynamic_stack: false
    .vgpr_count:     64
    .vgpr_spill_count: 0
    .wavefront_size: 32
    .workgroup_processor_mode: 1
  - .args:
      - .actual_access:  read_only
        .address_space:  global
        .offset:         0
        .size:           8
        .value_kind:     global_buffer
      - .actual_access:  read_only
        .address_space:  global
        .offset:         8
        .size:           8
        .value_kind:     global_buffer
      - .actual_access:  write_only
        .address_space:  global
        .offset:         16
        .size:           8
        .value_kind:     global_buffer
      - .actual_access:  read_only
        .address_space:  global
        .offset:         24
        .size:           8
        .value_kind:     global_buffer
      - .offset:         32
        .size:           4
        .value_kind:     by_value
      - .offset:         40
        .size:           4
        .value_kind:     hidden_block_count_x
      - .offset:         44
        .size:           4
        .value_kind:     hidden_block_count_y
      - .offset:         48
        .size:           4
        .value_kind:     hidden_block_count_z
      - .offset:         52
        .size:           2
        .value_kind:     hidden_group_size_x
      - .offset:         54
        .size:           2
        .value_kind:     hidden_group_size_y
      - .offset:         56
        .size:           2
        .value_kind:     hidden_group_size_z
      - .offset:         58
        .size:           2
        .value_kind:     hidden_remainder_x
      - .offset:         60
        .size:           2
        .value_kind:     hidden_remainder_y
      - .offset:         62
        .size:           2
        .value_kind:     hidden_remainder_z
      - .offset:         80
        .size:           8
        .value_kind:     hidden_global_offset_x
      - .offset:         88
        .size:           8
        .value_kind:     hidden_global_offset_y
      - .offset:         96
        .size:           8
        .value_kind:     hidden_global_offset_z
      - .offset:         104
        .size:           2
        .value_kind:     hidden_grid_dims
    .group_segment_fixed_size: 0
    .kernarg_segment_align: 8
    .kernarg_segment_size: 296
    .language:       OpenCL C
    .language_version:
      - 2
      - 0
    .max_flat_workgroup_size: 1024
    .name:           _Z12ratt2_kernelIfEvPKT_S2_PS0_S2_S0_
    .private_segment_fixed_size: 0
    .sgpr_count:     14
    .sgpr_spill_count: 0
    .symbol:         _Z12ratt2_kernelIfEvPKT_S2_PS0_S2_S0_.kd
    .uniform_work_group_size: 1
    .uses_dynamic_stack: false
    .vgpr_count:     95
    .vgpr_spill_count: 0
    .wavefront_size: 32
    .workgroup_processor_mode: 1
  - .args:
      - .actual_access:  read_only
        .address_space:  global
        .offset:         0
        .size:           8
        .value_kind:     global_buffer
      - .actual_access:  read_only
        .address_space:  global
        .offset:         8
        .size:           8
        .value_kind:     global_buffer
      - .actual_access:  write_only
        .address_space:  global
        .offset:         16
        .size:           8
        .value_kind:     global_buffer
      - .actual_access:  read_only
        .address_space:  global
        .offset:         24
        .size:           8
        .value_kind:     global_buffer
      - .offset:         32
        .size:           4
        .value_kind:     by_value
      - .offset:         40
        .size:           4
        .value_kind:     hidden_block_count_x
      - .offset:         44
        .size:           4
        .value_kind:     hidden_block_count_y
      - .offset:         48
        .size:           4
        .value_kind:     hidden_block_count_z
      - .offset:         52
        .size:           2
        .value_kind:     hidden_group_size_x
      - .offset:         54
        .size:           2
        .value_kind:     hidden_group_size_y
      - .offset:         56
        .size:           2
        .value_kind:     hidden_group_size_z
      - .offset:         58
        .size:           2
        .value_kind:     hidden_remainder_x
      - .offset:         60
        .size:           2
        .value_kind:     hidden_remainder_y
      - .offset:         62
        .size:           2
        .value_kind:     hidden_remainder_z
      - .offset:         80
        .size:           8
        .value_kind:     hidden_global_offset_x
      - .offset:         88
        .size:           8
        .value_kind:     hidden_global_offset_y
      - .offset:         96
        .size:           8
        .value_kind:     hidden_global_offset_z
      - .offset:         104
        .size:           2
        .value_kind:     hidden_grid_dims
    .group_segment_fixed_size: 0
    .kernarg_segment_align: 8
    .kernarg_segment_size: 296
    .language:       OpenCL C
    .language_version:
      - 2
      - 0
    .max_flat_workgroup_size: 1024
    .name:           _Z12ratt3_kernelIfEvPKT_S2_PS0_S2_S0_
    .private_segment_fixed_size: 0
    .sgpr_count:     15
    .sgpr_spill_count: 0
    .symbol:         _Z12ratt3_kernelIfEvPKT_S2_PS0_S2_S0_.kd
    .uniform_work_group_size: 1
    .uses_dynamic_stack: false
    .vgpr_count:     95
    .vgpr_spill_count: 0
    .wavefront_size: 32
    .workgroup_processor_mode: 1
  - .args:
      - .actual_access:  read_only
        .address_space:  global
        .offset:         0
        .size:           8
        .value_kind:     global_buffer
      - .actual_access:  read_only
        .address_space:  global
        .offset:         8
        .size:           8
        .value_kind:     global_buffer
      - .actual_access:  write_only
        .address_space:  global
        .offset:         16
        .size:           8
        .value_kind:     global_buffer
      - .actual_access:  read_only
        .address_space:  global
        .offset:         24
        .size:           8
        .value_kind:     global_buffer
      - .offset:         32
        .size:           4
        .value_kind:     by_value
      - .offset:         40
        .size:           4
        .value_kind:     hidden_block_count_x
      - .offset:         44
        .size:           4
        .value_kind:     hidden_block_count_y
      - .offset:         48
        .size:           4
        .value_kind:     hidden_block_count_z
      - .offset:         52
        .size:           2
        .value_kind:     hidden_group_size_x
      - .offset:         54
        .size:           2
        .value_kind:     hidden_group_size_y
      - .offset:         56
        .size:           2
        .value_kind:     hidden_group_size_z
      - .offset:         58
        .size:           2
        .value_kind:     hidden_remainder_x
      - .offset:         60
        .size:           2
        .value_kind:     hidden_remainder_y
      - .offset:         62
        .size:           2
        .value_kind:     hidden_remainder_z
      - .offset:         80
        .size:           8
        .value_kind:     hidden_global_offset_x
      - .offset:         88
        .size:           8
        .value_kind:     hidden_global_offset_y
      - .offset:         96
        .size:           8
        .value_kind:     hidden_global_offset_z
      - .offset:         104
        .size:           2
        .value_kind:     hidden_grid_dims
    .group_segment_fixed_size: 0
    .kernarg_segment_align: 8
    .kernarg_segment_size: 296
    .language:       OpenCL C
    .language_version:
      - 2
      - 0
    .max_flat_workgroup_size: 1024
    .name:           _Z12ratt4_kernelIfEvPKT_S2_PS0_S2_S0_
    .private_segment_fixed_size: 0
    .sgpr_count:     15
    .sgpr_spill_count: 0
    .symbol:         _Z12ratt4_kernelIfEvPKT_S2_PS0_S2_S0_.kd
    .uniform_work_group_size: 1
    .uses_dynamic_stack: false
    .vgpr_count:     95
    .vgpr_spill_count: 0
    .wavefront_size: 32
    .workgroup_processor_mode: 1
  - .args:
      - .actual_access:  read_only
        .address_space:  global
        .offset:         0
        .size:           8
        .value_kind:     global_buffer
      - .actual_access:  read_only
        .address_space:  global
        .offset:         8
        .size:           8
        .value_kind:     global_buffer
      - .actual_access:  write_only
        .address_space:  global
        .offset:         16
        .size:           8
        .value_kind:     global_buffer
      - .actual_access:  read_only
        .address_space:  global
        .offset:         24
        .size:           8
        .value_kind:     global_buffer
      - .offset:         32
        .size:           4
        .value_kind:     by_value
      - .offset:         40
        .size:           4
        .value_kind:     hidden_block_count_x
      - .offset:         44
        .size:           4
        .value_kind:     hidden_block_count_y
      - .offset:         48
        .size:           4
        .value_kind:     hidden_block_count_z
      - .offset:         52
        .size:           2
        .value_kind:     hidden_group_size_x
      - .offset:         54
        .size:           2
        .value_kind:     hidden_group_size_y
      - .offset:         56
        .size:           2
        .value_kind:     hidden_group_size_z
      - .offset:         58
        .size:           2
        .value_kind:     hidden_remainder_x
      - .offset:         60
        .size:           2
        .value_kind:     hidden_remainder_y
      - .offset:         62
        .size:           2
        .value_kind:     hidden_remainder_z
      - .offset:         80
        .size:           8
        .value_kind:     hidden_global_offset_x
      - .offset:         88
        .size:           8
        .value_kind:     hidden_global_offset_y
      - .offset:         96
        .size:           8
        .value_kind:     hidden_global_offset_z
      - .offset:         104
        .size:           2
        .value_kind:     hidden_grid_dims
    .group_segment_fixed_size: 0
    .kernarg_segment_align: 8
    .kernarg_segment_size: 296
    .language:       OpenCL C
    .language_version:
      - 2
      - 0
    .max_flat_workgroup_size: 1024
    .name:           _Z12ratt5_kernelIfEvPKT_S2_PS0_S2_S0_
    .private_segment_fixed_size: 0
    .sgpr_count:     16
    .sgpr_spill_count: 0
    .symbol:         _Z12ratt5_kernelIfEvPKT_S2_PS0_S2_S0_.kd
    .uniform_work_group_size: 1
    .uses_dynamic_stack: false
    .vgpr_count:     94
    .vgpr_spill_count: 0
    .wavefront_size: 32
    .workgroup_processor_mode: 1
  - .args:
      - .actual_access:  read_only
        .address_space:  global
        .offset:         0
        .size:           8
        .value_kind:     global_buffer
      - .actual_access:  read_only
        .address_space:  global
        .offset:         8
        .size:           8
        .value_kind:     global_buffer
      - .actual_access:  write_only
        .address_space:  global
        .offset:         16
        .size:           8
        .value_kind:     global_buffer
      - .actual_access:  read_only
        .address_space:  global
        .offset:         24
        .size:           8
        .value_kind:     global_buffer
      - .offset:         32
        .size:           4
        .value_kind:     by_value
      - .offset:         40
        .size:           4
        .value_kind:     hidden_block_count_x
      - .offset:         44
        .size:           4
        .value_kind:     hidden_block_count_y
      - .offset:         48
        .size:           4
        .value_kind:     hidden_block_count_z
      - .offset:         52
        .size:           2
        .value_kind:     hidden_group_size_x
      - .offset:         54
        .size:           2
        .value_kind:     hidden_group_size_y
      - .offset:         56
        .size:           2
        .value_kind:     hidden_group_size_z
      - .offset:         58
        .size:           2
        .value_kind:     hidden_remainder_x
      - .offset:         60
        .size:           2
        .value_kind:     hidden_remainder_y
      - .offset:         62
        .size:           2
        .value_kind:     hidden_remainder_z
      - .offset:         80
        .size:           8
        .value_kind:     hidden_global_offset_x
      - .offset:         88
        .size:           8
        .value_kind:     hidden_global_offset_y
      - .offset:         96
        .size:           8
        .value_kind:     hidden_global_offset_z
      - .offset:         104
        .size:           2
        .value_kind:     hidden_grid_dims
    .group_segment_fixed_size: 0
    .kernarg_segment_align: 8
    .kernarg_segment_size: 296
    .language:       OpenCL C
    .language_version:
      - 2
      - 0
    .max_flat_workgroup_size: 1024
    .name:           _Z12ratt6_kernelIfEvPKT_S2_PS0_S2_S0_
    .private_segment_fixed_size: 0
    .sgpr_count:     18
    .sgpr_spill_count: 0
    .symbol:         _Z12ratt6_kernelIfEvPKT_S2_PS0_S2_S0_.kd
    .uniform_work_group_size: 1
    .uses_dynamic_stack: false
    .vgpr_count:     95
    .vgpr_spill_count: 0
    .wavefront_size: 32
    .workgroup_processor_mode: 1
  - .args:
      - .actual_access:  read_only
        .address_space:  global
        .offset:         0
        .size:           8
        .value_kind:     global_buffer
      - .actual_access:  read_only
        .address_space:  global
        .offset:         8
        .size:           8
        .value_kind:     global_buffer
      - .actual_access:  write_only
        .address_space:  global
        .offset:         16
        .size:           8
        .value_kind:     global_buffer
      - .actual_access:  read_only
        .address_space:  global
        .offset:         24
        .size:           8
        .value_kind:     global_buffer
      - .offset:         32
        .size:           4
        .value_kind:     by_value
      - .offset:         40
        .size:           4
        .value_kind:     hidden_block_count_x
      - .offset:         44
        .size:           4
        .value_kind:     hidden_block_count_y
      - .offset:         48
        .size:           4
        .value_kind:     hidden_block_count_z
      - .offset:         52
        .size:           2
        .value_kind:     hidden_group_size_x
      - .offset:         54
        .size:           2
        .value_kind:     hidden_group_size_y
      - .offset:         56
        .size:           2
        .value_kind:     hidden_group_size_z
      - .offset:         58
        .size:           2
        .value_kind:     hidden_remainder_x
      - .offset:         60
        .size:           2
        .value_kind:     hidden_remainder_y
      - .offset:         62
        .size:           2
        .value_kind:     hidden_remainder_z
      - .offset:         80
        .size:           8
        .value_kind:     hidden_global_offset_x
      - .offset:         88
        .size:           8
        .value_kind:     hidden_global_offset_y
      - .offset:         96
        .size:           8
        .value_kind:     hidden_global_offset_z
      - .offset:         104
        .size:           2
        .value_kind:     hidden_grid_dims
    .group_segment_fixed_size: 0
    .kernarg_segment_align: 8
    .kernarg_segment_size: 296
    .language:       OpenCL C
    .language_version:
      - 2
      - 0
    .max_flat_workgroup_size: 1024
    .name:           _Z12ratt7_kernelIfEvPKT_S2_PS0_S2_S0_
    .private_segment_fixed_size: 0
    .sgpr_count:     17
    .sgpr_spill_count: 0
    .symbol:         _Z12ratt7_kernelIfEvPKT_S2_PS0_S2_S0_.kd
    .uniform_work_group_size: 1
    .uses_dynamic_stack: false
    .vgpr_count:     94
    .vgpr_spill_count: 0
    .wavefront_size: 32
    .workgroup_processor_mode: 1
  - .args:
      - .actual_access:  read_only
        .address_space:  global
        .offset:         0
        .size:           8
        .value_kind:     global_buffer
      - .actual_access:  read_only
        .address_space:  global
        .offset:         8
        .size:           8
        .value_kind:     global_buffer
      - .actual_access:  write_only
        .address_space:  global
        .offset:         16
        .size:           8
        .value_kind:     global_buffer
      - .actual_access:  read_only
        .address_space:  global
        .offset:         24
        .size:           8
        .value_kind:     global_buffer
      - .offset:         32
        .size:           4
        .value_kind:     by_value
      - .offset:         40
        .size:           4
        .value_kind:     hidden_block_count_x
      - .offset:         44
        .size:           4
        .value_kind:     hidden_block_count_y
      - .offset:         48
        .size:           4
        .value_kind:     hidden_block_count_z
      - .offset:         52
        .size:           2
        .value_kind:     hidden_group_size_x
      - .offset:         54
        .size:           2
        .value_kind:     hidden_group_size_y
      - .offset:         56
        .size:           2
        .value_kind:     hidden_group_size_z
      - .offset:         58
        .size:           2
        .value_kind:     hidden_remainder_x
      - .offset:         60
        .size:           2
        .value_kind:     hidden_remainder_y
      - .offset:         62
        .size:           2
        .value_kind:     hidden_remainder_z
      - .offset:         80
        .size:           8
        .value_kind:     hidden_global_offset_x
      - .offset:         88
        .size:           8
        .value_kind:     hidden_global_offset_y
      - .offset:         96
        .size:           8
        .value_kind:     hidden_global_offset_z
      - .offset:         104
        .size:           2
        .value_kind:     hidden_grid_dims
    .group_segment_fixed_size: 0
    .kernarg_segment_align: 8
    .kernarg_segment_size: 296
    .language:       OpenCL C
    .language_version:
      - 2
      - 0
    .max_flat_workgroup_size: 1024
    .name:           _Z12ratt8_kernelIfEvPKT_S2_PS0_S2_S0_
    .private_segment_fixed_size: 0
    .sgpr_count:     17
    .sgpr_spill_count: 0
    .symbol:         _Z12ratt8_kernelIfEvPKT_S2_PS0_S2_S0_.kd
    .uniform_work_group_size: 1
    .uses_dynamic_stack: false
    .vgpr_count:     95
    .vgpr_spill_count: 0
    .wavefront_size: 32
    .workgroup_processor_mode: 1
  - .args:
      - .actual_access:  read_only
        .address_space:  global
        .offset:         0
        .size:           8
        .value_kind:     global_buffer
      - .actual_access:  read_only
        .address_space:  global
        .offset:         8
        .size:           8
        .value_kind:     global_buffer
      - .actual_access:  write_only
        .address_space:  global
        .offset:         16
        .size:           8
        .value_kind:     global_buffer
      - .actual_access:  read_only
        .address_space:  global
        .offset:         24
        .size:           8
        .value_kind:     global_buffer
      - .offset:         32
        .size:           4
        .value_kind:     by_value
      - .offset:         40
        .size:           4
        .value_kind:     hidden_block_count_x
      - .offset:         44
        .size:           4
        .value_kind:     hidden_block_count_y
      - .offset:         48
        .size:           4
        .value_kind:     hidden_block_count_z
      - .offset:         52
        .size:           2
        .value_kind:     hidden_group_size_x
      - .offset:         54
        .size:           2
        .value_kind:     hidden_group_size_y
      - .offset:         56
        .size:           2
        .value_kind:     hidden_group_size_z
      - .offset:         58
        .size:           2
        .value_kind:     hidden_remainder_x
      - .offset:         60
        .size:           2
        .value_kind:     hidden_remainder_y
      - .offset:         62
        .size:           2
        .value_kind:     hidden_remainder_z
      - .offset:         80
        .size:           8
        .value_kind:     hidden_global_offset_x
      - .offset:         88
        .size:           8
        .value_kind:     hidden_global_offset_y
      - .offset:         96
        .size:           8
        .value_kind:     hidden_global_offset_z
      - .offset:         104
        .size:           2
        .value_kind:     hidden_grid_dims
    .group_segment_fixed_size: 0
    .kernarg_segment_align: 8
    .kernarg_segment_size: 296
    .language:       OpenCL C
    .language_version:
      - 2
      - 0
    .max_flat_workgroup_size: 1024
    .name:           _Z12ratt9_kernelIfEvPKT_S2_PS0_S2_S0_
    .private_segment_fixed_size: 0
    .sgpr_count:     14
    .sgpr_spill_count: 0
    .symbol:         _Z12ratt9_kernelIfEvPKT_S2_PS0_S2_S0_.kd
    .uniform_work_group_size: 1
    .uses_dynamic_stack: false
    .vgpr_count:     97
    .vgpr_spill_count: 0
    .wavefront_size: 32
    .workgroup_processor_mode: 1
  - .args:
      - .actual_access:  read_only
        .address_space:  global
        .offset:         0
        .size:           8
        .value_kind:     global_buffer
      - .actual_access:  write_only
        .address_space:  global
        .offset:         8
        .size:           8
        .value_kind:     global_buffer
      - .offset:         16
        .size:           4
        .value_kind:     by_value
      - .offset:         24
        .size:           4
        .value_kind:     hidden_block_count_x
      - .offset:         28
        .size:           4
        .value_kind:     hidden_block_count_y
      - .offset:         32
        .size:           4
        .value_kind:     hidden_block_count_z
      - .offset:         36
        .size:           2
        .value_kind:     hidden_group_size_x
      - .offset:         38
        .size:           2
        .value_kind:     hidden_group_size_y
      - .offset:         40
        .size:           2
        .value_kind:     hidden_group_size_z
      - .offset:         42
        .size:           2
        .value_kind:     hidden_remainder_x
      - .offset:         44
        .size:           2
        .value_kind:     hidden_remainder_y
      - .offset:         46
        .size:           2
        .value_kind:     hidden_remainder_z
      - .offset:         64
        .size:           8
        .value_kind:     hidden_global_offset_x
      - .offset:         72
        .size:           8
        .value_kind:     hidden_global_offset_y
      - .offset:         80
        .size:           8
        .value_kind:     hidden_global_offset_z
      - .offset:         88
        .size:           2
        .value_kind:     hidden_grid_dims
    .group_segment_fixed_size: 0
    .kernarg_segment_align: 8
    .kernarg_segment_size: 280
    .language:       OpenCL C
    .language_version:
      - 2
      - 0
    .max_flat_workgroup_size: 1024
    .name:           _Z13ratt10_kernelIfEvPKT_PS0_S0_
    .private_segment_fixed_size: 0
    .sgpr_count:     10
    .sgpr_spill_count: 0
    .symbol:         _Z13ratt10_kernelIfEvPKT_PS0_S0_.kd
    .uniform_work_group_size: 1
    .uses_dynamic_stack: false
    .vgpr_count:     12
    .vgpr_spill_count: 0
    .wavefront_size: 32
    .workgroup_processor_mode: 1
  - .args:
      - .actual_access:  read_only
        .address_space:  global
        .offset:         0
        .size:           8
        .value_kind:     global_buffer
      - .actual_access:  read_only
        .address_space:  global
        .offset:         8
        .size:           8
        .value_kind:     global_buffer
      - .address_space:  global
        .offset:         16
        .size:           8
        .value_kind:     global_buffer
      - .address_space:  global
        .offset:         24
        .size:           8
        .value_kind:     global_buffer
      - .actual_access:  read_only
        .address_space:  global
        .offset:         32
        .size:           8
        .value_kind:     global_buffer
      - .offset:         40
        .size:           4
        .value_kind:     by_value
      - .offset:         48
        .size:           4
        .value_kind:     hidden_block_count_x
      - .offset:         52
        .size:           4
        .value_kind:     hidden_block_count_y
      - .offset:         56
        .size:           4
        .value_kind:     hidden_block_count_z
      - .offset:         60
        .size:           2
        .value_kind:     hidden_group_size_x
      - .offset:         62
        .size:           2
        .value_kind:     hidden_group_size_y
      - .offset:         64
        .size:           2
        .value_kind:     hidden_group_size_z
      - .offset:         66
        .size:           2
        .value_kind:     hidden_remainder_x
      - .offset:         68
        .size:           2
        .value_kind:     hidden_remainder_y
      - .offset:         70
        .size:           2
        .value_kind:     hidden_remainder_z
      - .offset:         88
        .size:           8
        .value_kind:     hidden_global_offset_x
      - .offset:         96
        .size:           8
        .value_kind:     hidden_global_offset_y
      - .offset:         104
        .size:           8
        .value_kind:     hidden_global_offset_z
      - .offset:         112
        .size:           2
        .value_kind:     hidden_grid_dims
    .group_segment_fixed_size: 0
    .kernarg_segment_align: 8
    .kernarg_segment_size: 304
    .language:       OpenCL C
    .language_version:
      - 2
      - 0
    .max_flat_workgroup_size: 1024
    .name:           _Z11ratx_kernelIfEvPKT_S2_PS0_S3_S2_S0_
    .private_segment_fixed_size: 0
    .sgpr_count:     17
    .sgpr_spill_count: 0
    .symbol:         _Z11ratx_kernelIfEvPKT_S2_PS0_S3_S2_S0_.kd
    .uniform_work_group_size: 1
    .uses_dynamic_stack: false
    .vgpr_count:     55
    .vgpr_spill_count: 0
    .wavefront_size: 32
    .workgroup_processor_mode: 1
  - .args:
      - .actual_access:  read_only
        .address_space:  global
        .offset:         0
        .size:           8
        .value_kind:     global_buffer
      - .actual_access:  read_only
        .address_space:  global
        .offset:         8
        .size:           8
        .value_kind:     global_buffer
      - .address_space:  global
        .offset:         16
        .size:           8
        .value_kind:     global_buffer
      - .address_space:  global
        .offset:         24
        .size:           8
        .value_kind:     global_buffer
      - .actual_access:  read_only
        .address_space:  global
        .offset:         32
        .size:           8
        .value_kind:     global_buffer
      - .offset:         40
        .size:           4
        .value_kind:     by_value
      - .offset:         48
        .size:           4
        .value_kind:     hidden_block_count_x
      - .offset:         52
        .size:           4
        .value_kind:     hidden_block_count_y
      - .offset:         56
        .size:           4
        .value_kind:     hidden_block_count_z
      - .offset:         60
        .size:           2
        .value_kind:     hidden_group_size_x
      - .offset:         62
        .size:           2
        .value_kind:     hidden_group_size_y
      - .offset:         64
        .size:           2
        .value_kind:     hidden_group_size_z
      - .offset:         66
        .size:           2
        .value_kind:     hidden_remainder_x
      - .offset:         68
        .size:           2
        .value_kind:     hidden_remainder_y
      - .offset:         70
        .size:           2
        .value_kind:     hidden_remainder_z
      - .offset:         88
        .size:           8
        .value_kind:     hidden_global_offset_x
      - .offset:         96
        .size:           8
        .value_kind:     hidden_global_offset_y
      - .offset:         104
        .size:           8
        .value_kind:     hidden_global_offset_z
      - .offset:         112
        .size:           2
        .value_kind:     hidden_grid_dims
    .group_segment_fixed_size: 0
    .kernarg_segment_align: 8
    .kernarg_segment_size: 304
    .language:       OpenCL C
    .language_version:
      - 2
      - 0
    .max_flat_workgroup_size: 1024
    .name:           _Z12ratxb_kernelIfEvPKT_S2_PS0_S3_S2_S0_
    .private_segment_fixed_size: 0
    .sgpr_count:     17
    .sgpr_spill_count: 0
    .symbol:         _Z12ratxb_kernelIfEvPKT_S2_PS0_S3_S2_S0_.kd
    .uniform_work_group_size: 1
    .uses_dynamic_stack: false
    .vgpr_count:     72
    .vgpr_spill_count: 0
    .wavefront_size: 32
    .workgroup_processor_mode: 1
  - .args:
      - .actual_access:  read_only
        .address_space:  global
        .offset:         0
        .size:           8
        .value_kind:     global_buffer
      - .address_space:  global
        .offset:         8
        .size:           8
        .value_kind:     global_buffer
      - .actual_access:  read_only
        .address_space:  global
        .offset:         16
        .size:           8
        .value_kind:     global_buffer
      - .offset:         24
        .size:           4
        .value_kind:     hidden_block_count_x
      - .offset:         28
        .size:           4
        .value_kind:     hidden_block_count_y
      - .offset:         32
        .size:           4
        .value_kind:     hidden_block_count_z
      - .offset:         36
        .size:           2
        .value_kind:     hidden_group_size_x
      - .offset:         38
        .size:           2
        .value_kind:     hidden_group_size_y
      - .offset:         40
        .size:           2
        .value_kind:     hidden_group_size_z
      - .offset:         42
        .size:           2
        .value_kind:     hidden_remainder_x
      - .offset:         44
        .size:           2
        .value_kind:     hidden_remainder_y
      - .offset:         46
        .size:           2
        .value_kind:     hidden_remainder_z
      - .offset:         64
        .size:           8
        .value_kind:     hidden_global_offset_x
      - .offset:         72
        .size:           8
        .value_kind:     hidden_global_offset_y
      - .offset:         80
        .size:           8
        .value_kind:     hidden_global_offset_z
      - .offset:         88
        .size:           2
        .value_kind:     hidden_grid_dims
    .group_segment_fixed_size: 0
    .kernarg_segment_align: 8
    .kernarg_segment_size: 280
    .language:       OpenCL C
    .language_version:
      - 2
      - 0
    .max_flat_workgroup_size: 1024
    .name:           _Z12ratx2_kernelIfEvPKT_PS0_S3_
    .private_segment_fixed_size: 0
    .sgpr_count:     10
    .sgpr_spill_count: 0
    .symbol:         _Z12ratx2_kernelIfEvPKT_PS0_S3_.kd
    .uniform_work_group_size: 1
    .uses_dynamic_stack: false
    .vgpr_count:     48
    .vgpr_spill_count: 0
    .wavefront_size: 32
    .workgroup_processor_mode: 1
  - .args:
      - .actual_access:  read_only
        .address_space:  global
        .offset:         0
        .size:           8
        .value_kind:     global_buffer
      - .actual_access:  read_only
        .address_space:  global
        .offset:         8
        .size:           8
        .value_kind:     global_buffer
      - .address_space:  global
        .offset:         16
        .size:           8
        .value_kind:     global_buffer
      - .offset:         24
        .size:           4
        .value_kind:     hidden_block_count_x
      - .offset:         28
        .size:           4
        .value_kind:     hidden_block_count_y
      - .offset:         32
        .size:           4
        .value_kind:     hidden_block_count_z
      - .offset:         36
        .size:           2
        .value_kind:     hidden_group_size_x
      - .offset:         38
        .size:           2
        .value_kind:     hidden_group_size_y
      - .offset:         40
        .size:           2
        .value_kind:     hidden_group_size_z
      - .offset:         42
        .size:           2
        .value_kind:     hidden_remainder_x
      - .offset:         44
        .size:           2
        .value_kind:     hidden_remainder_y
      - .offset:         46
        .size:           2
        .value_kind:     hidden_remainder_z
      - .offset:         64
        .size:           8
        .value_kind:     hidden_global_offset_x
      - .offset:         72
        .size:           8
        .value_kind:     hidden_global_offset_y
      - .offset:         80
        .size:           8
        .value_kind:     hidden_global_offset_z
      - .offset:         88
        .size:           2
        .value_kind:     hidden_grid_dims
    .group_segment_fixed_size: 0
    .kernarg_segment_align: 8
    .kernarg_segment_size: 280
    .language:       OpenCL C
    .language_version:
      - 2
      - 0
    .max_flat_workgroup_size: 1024
    .name:           _Z12ratx4_kernelIfEvPKT_PS0_S3_
    .private_segment_fixed_size: 0
    .sgpr_count:     9
    .sgpr_spill_count: 0
    .symbol:         _Z12ratx4_kernelIfEvPKT_PS0_S3_.kd
    .uniform_work_group_size: 1
    .uses_dynamic_stack: false
    .vgpr_count:     86
    .vgpr_spill_count: 0
    .wavefront_size: 32
    .workgroup_processor_mode: 1
  - .args:
      - .address_space:  global
        .offset:         0
        .size:           8
        .value_kind:     global_buffer
      - .address_space:  global
        .offset:         8
        .size:           8
        .value_kind:     global_buffer
      - .actual_access:  write_only
        .address_space:  global
        .offset:         16
        .size:           8
        .value_kind:     global_buffer
      - .offset:         24
        .size:           4
        .value_kind:     hidden_block_count_x
      - .offset:         28
        .size:           4
        .value_kind:     hidden_block_count_y
      - .offset:         32
        .size:           4
        .value_kind:     hidden_block_count_z
      - .offset:         36
        .size:           2
        .value_kind:     hidden_group_size_x
      - .offset:         38
        .size:           2
        .value_kind:     hidden_group_size_y
      - .offset:         40
        .size:           2
        .value_kind:     hidden_group_size_z
      - .offset:         42
        .size:           2
        .value_kind:     hidden_remainder_x
      - .offset:         44
        .size:           2
        .value_kind:     hidden_remainder_y
      - .offset:         46
        .size:           2
        .value_kind:     hidden_remainder_z
      - .offset:         64
        .size:           8
        .value_kind:     hidden_global_offset_x
      - .offset:         72
        .size:           8
        .value_kind:     hidden_global_offset_y
      - .offset:         80
        .size:           8
        .value_kind:     hidden_global_offset_z
      - .offset:         88
        .size:           2
        .value_kind:     hidden_grid_dims
    .group_segment_fixed_size: 0
    .kernarg_segment_align: 8
    .kernarg_segment_size: 280
    .language:       OpenCL C
    .language_version:
      - 2
      - 0
    .max_flat_workgroup_size: 1024
    .name:           _Z11qssa_kernelIfEvPT_S1_S1_
    .private_segment_fixed_size: 0
    .sgpr_count:     21
    .sgpr_spill_count: 0
    .symbol:         _Z11qssa_kernelIfEvPT_S1_S1_.kd
    .uniform_work_group_size: 1
    .uses_dynamic_stack: false
    .vgpr_count:     135
    .vgpr_spill_count: 0
    .wavefront_size: 32
    .workgroup_processor_mode: 1
  - .args:
      - .actual_access:  read_only
        .address_space:  global
        .offset:         0
        .size:           8
        .value_kind:     global_buffer
      - .actual_access:  read_only
        .address_space:  global
        .offset:         8
        .size:           8
        .value_kind:     global_buffer
      - .address_space:  global
        .offset:         16
        .size:           8
        .value_kind:     global_buffer
      - .offset:         24
        .size:           4
        .value_kind:     hidden_block_count_x
      - .offset:         28
        .size:           4
        .value_kind:     hidden_block_count_y
      - .offset:         32
        .size:           4
        .value_kind:     hidden_block_count_z
      - .offset:         36
        .size:           2
        .value_kind:     hidden_group_size_x
      - .offset:         38
        .size:           2
        .value_kind:     hidden_group_size_y
      - .offset:         40
        .size:           2
        .value_kind:     hidden_group_size_z
      - .offset:         42
        .size:           2
        .value_kind:     hidden_remainder_x
      - .offset:         44
        .size:           2
        .value_kind:     hidden_remainder_y
      - .offset:         46
        .size:           2
        .value_kind:     hidden_remainder_z
      - .offset:         64
        .size:           8
        .value_kind:     hidden_global_offset_x
      - .offset:         72
        .size:           8
        .value_kind:     hidden_global_offset_y
      - .offset:         80
        .size:           8
        .value_kind:     hidden_global_offset_z
      - .offset:         88
        .size:           2
        .value_kind:     hidden_grid_dims
    .group_segment_fixed_size: 0
    .kernarg_segment_align: 8
    .kernarg_segment_size: 280
    .language:       OpenCL C
    .language_version:
      - 2
      - 0
    .max_flat_workgroup_size: 1024
    .name:           _Z12qssab_kernelIfEvPT_S1_S1_
    .private_segment_fixed_size: 0
    .sgpr_count:     12
    .sgpr_spill_count: 0
    .symbol:         _Z12qssab_kernelIfEvPT_S1_S1_.kd
    .uniform_work_group_size: 1
    .uses_dynamic_stack: false
    .vgpr_count:     58
    .vgpr_spill_count: 0
    .wavefront_size: 32
    .workgroup_processor_mode: 1
  - .args:
      - .address_space:  global
        .offset:         0
        .size:           8
        .value_kind:     global_buffer
      - .address_space:  global
        .offset:         8
        .size:           8
        .value_kind:     global_buffer
      - .actual_access:  read_only
        .address_space:  global
        .offset:         16
        .size:           8
        .value_kind:     global_buffer
      - .offset:         24
        .size:           4
        .value_kind:     hidden_block_count_x
      - .offset:         28
        .size:           4
        .value_kind:     hidden_block_count_y
      - .offset:         32
        .size:           4
        .value_kind:     hidden_block_count_z
      - .offset:         36
        .size:           2
        .value_kind:     hidden_group_size_x
      - .offset:         38
        .size:           2
        .value_kind:     hidden_group_size_y
      - .offset:         40
        .size:           2
        .value_kind:     hidden_group_size_z
      - .offset:         42
        .size:           2
        .value_kind:     hidden_remainder_x
      - .offset:         44
        .size:           2
        .value_kind:     hidden_remainder_y
      - .offset:         46
        .size:           2
        .value_kind:     hidden_remainder_z
      - .offset:         64
        .size:           8
        .value_kind:     hidden_global_offset_x
      - .offset:         72
        .size:           8
        .value_kind:     hidden_global_offset_y
      - .offset:         80
        .size:           8
        .value_kind:     hidden_global_offset_z
      - .offset:         88
        .size:           2
        .value_kind:     hidden_grid_dims
    .group_segment_fixed_size: 0
    .kernarg_segment_align: 8
    .kernarg_segment_size: 280
    .language:       OpenCL C
    .language_version:
      - 2
      - 0
    .max_flat_workgroup_size: 1024
    .name:           _Z12qssa2_kernelIfEvPT_S1_PKS0_
    .private_segment_fixed_size: 0
    .sgpr_count:     12
    .sgpr_spill_count: 0
    .symbol:         _Z12qssa2_kernelIfEvPT_S1_PKS0_.kd
    .uniform_work_group_size: 1
    .uses_dynamic_stack: false
    .vgpr_count:     81
    .vgpr_spill_count: 0
    .wavefront_size: 32
    .workgroup_processor_mode: 1
  - .args:
      - .actual_access:  read_only
        .address_space:  global
        .offset:         0
        .size:           8
        .value_kind:     global_buffer
      - .actual_access:  read_only
        .address_space:  global
        .offset:         8
        .size:           8
        .value_kind:     global_buffer
      - .actual_access:  write_only
        .address_space:  global
        .offset:         16
        .size:           8
        .value_kind:     global_buffer
      - .offset:         24
        .size:           4
        .value_kind:     by_value
      - .actual_access:  read_only
        .address_space:  global
        .offset:         32
        .size:           8
        .value_kind:     global_buffer
      - .offset:         40
        .size:           4
        .value_kind:     hidden_block_count_x
      - .offset:         44
        .size:           4
        .value_kind:     hidden_block_count_y
      - .offset:         48
        .size:           4
        .value_kind:     hidden_block_count_z
      - .offset:         52
        .size:           2
        .value_kind:     hidden_group_size_x
      - .offset:         54
        .size:           2
        .value_kind:     hidden_group_size_y
      - .offset:         56
        .size:           2
        .value_kind:     hidden_group_size_z
      - .offset:         58
        .size:           2
        .value_kind:     hidden_remainder_x
      - .offset:         60
        .size:           2
        .value_kind:     hidden_remainder_y
      - .offset:         62
        .size:           2
        .value_kind:     hidden_remainder_z
      - .offset:         80
        .size:           8
        .value_kind:     hidden_global_offset_x
      - .offset:         88
        .size:           8
        .value_kind:     hidden_global_offset_y
      - .offset:         96
        .size:           8
        .value_kind:     hidden_global_offset_z
      - .offset:         104
        .size:           2
        .value_kind:     hidden_grid_dims
    .group_segment_fixed_size: 0
    .kernarg_segment_align: 8
    .kernarg_segment_size: 296
    .language:       OpenCL C
    .language_version:
      - 2
      - 0
    .max_flat_workgroup_size: 1024
    .name:           _Z13rdwdot_kernelIfEvPKT_S2_PS0_S0_S2_
    .private_segment_fixed_size: 0
    .sgpr_count:     19
    .sgpr_spill_count: 0
    .symbol:         _Z13rdwdot_kernelIfEvPKT_S2_PS0_S0_S2_.kd
    .uniform_work_group_size: 1
    .uses_dynamic_stack: false
    .vgpr_count:     11
    .vgpr_spill_count: 0
    .wavefront_size: 32
    .workgroup_processor_mode: 1
  - .args:
      - .actual_access:  read_only
        .address_space:  global
        .offset:         0
        .size:           8
        .value_kind:     global_buffer
      - .actual_access:  read_only
        .address_space:  global
        .offset:         8
        .size:           8
        .value_kind:     global_buffer
      - .actual_access:  write_only
        .address_space:  global
        .offset:         16
        .size:           8
        .value_kind:     global_buffer
      - .offset:         24
        .size:           4
        .value_kind:     by_value
      - .actual_access:  read_only
        .address_space:  global
        .offset:         32
        .size:           8
        .value_kind:     global_buffer
      - .offset:         40
        .size:           4
        .value_kind:     hidden_block_count_x
      - .offset:         44
        .size:           4
        .value_kind:     hidden_block_count_y
      - .offset:         48
        .size:           4
        .value_kind:     hidden_block_count_z
      - .offset:         52
        .size:           2
        .value_kind:     hidden_group_size_x
      - .offset:         54
        .size:           2
        .value_kind:     hidden_group_size_y
      - .offset:         56
        .size:           2
        .value_kind:     hidden_group_size_z
      - .offset:         58
        .size:           2
        .value_kind:     hidden_remainder_x
      - .offset:         60
        .size:           2
        .value_kind:     hidden_remainder_y
      - .offset:         62
        .size:           2
        .value_kind:     hidden_remainder_z
      - .offset:         80
        .size:           8
        .value_kind:     hidden_global_offset_x
      - .offset:         88
        .size:           8
        .value_kind:     hidden_global_offset_y
      - .offset:         96
        .size:           8
        .value_kind:     hidden_global_offset_z
      - .offset:         104
        .size:           2
        .value_kind:     hidden_grid_dims
    .group_segment_fixed_size: 0
    .kernarg_segment_align: 8
    .kernarg_segment_size: 296
    .language:       OpenCL C
    .language_version:
      - 2
      - 0
    .max_flat_workgroup_size: 1024
    .name:           _Z14rdwdot2_kernelIfEvPKT_S2_PS0_S0_S2_
    .private_segment_fixed_size: 0
    .sgpr_count:     14
    .sgpr_spill_count: 0
    .symbol:         _Z14rdwdot2_kernelIfEvPKT_S2_PS0_S0_S2_.kd
    .uniform_work_group_size: 1
    .uses_dynamic_stack: false
    .vgpr_count:     59
    .vgpr_spill_count: 0
    .wavefront_size: 32
    .workgroup_processor_mode: 1
  - .args:
      - .actual_access:  read_only
        .address_space:  global
        .offset:         0
        .size:           8
        .value_kind:     global_buffer
      - .actual_access:  read_only
        .address_space:  global
        .offset:         8
        .size:           8
        .value_kind:     global_buffer
      - .actual_access:  write_only
        .address_space:  global
        .offset:         16
        .size:           8
        .value_kind:     global_buffer
      - .offset:         24
        .size:           4
        .value_kind:     by_value
      - .actual_access:  read_only
        .address_space:  global
        .offset:         32
        .size:           8
        .value_kind:     global_buffer
      - .offset:         40
        .size:           4
        .value_kind:     hidden_block_count_x
      - .offset:         44
        .size:           4
        .value_kind:     hidden_block_count_y
      - .offset:         48
        .size:           4
        .value_kind:     hidden_block_count_z
      - .offset:         52
        .size:           2
        .value_kind:     hidden_group_size_x
      - .offset:         54
        .size:           2
        .value_kind:     hidden_group_size_y
      - .offset:         56
        .size:           2
        .value_kind:     hidden_group_size_z
      - .offset:         58
        .size:           2
        .value_kind:     hidden_remainder_x
      - .offset:         60
        .size:           2
        .value_kind:     hidden_remainder_y
      - .offset:         62
        .size:           2
        .value_kind:     hidden_remainder_z
      - .offset:         80
        .size:           8
        .value_kind:     hidden_global_offset_x
      - .offset:         88
        .size:           8
        .value_kind:     hidden_global_offset_y
      - .offset:         96
        .size:           8
        .value_kind:     hidden_global_offset_z
      - .offset:         104
        .size:           2
        .value_kind:     hidden_grid_dims
    .group_segment_fixed_size: 0
    .kernarg_segment_align: 8
    .kernarg_segment_size: 296
    .language:       OpenCL C
    .language_version:
      - 2
      - 0
    .max_flat_workgroup_size: 1024
    .name:           _Z14rdwdot3_kernelIfEvPKT_S2_PS0_S0_S2_
    .private_segment_fixed_size: 0
    .sgpr_count:     24
    .sgpr_spill_count: 0
    .symbol:         _Z14rdwdot3_kernelIfEvPKT_S2_PS0_S0_S2_.kd
    .uniform_work_group_size: 1
    .uses_dynamic_stack: false
    .vgpr_count:     35
    .vgpr_spill_count: 0
    .wavefront_size: 32
    .workgroup_processor_mode: 1
  - .args:
      - .actual_access:  read_only
        .address_space:  global
        .offset:         0
        .size:           8
        .value_kind:     global_buffer
      - .actual_access:  read_only
        .address_space:  global
        .offset:         8
        .size:           8
        .value_kind:     global_buffer
      - .actual_access:  write_only
        .address_space:  global
        .offset:         16
        .size:           8
        .value_kind:     global_buffer
      - .offset:         24
        .size:           4
        .value_kind:     by_value
      - .actual_access:  read_only
        .address_space:  global
        .offset:         32
        .size:           8
        .value_kind:     global_buffer
      - .offset:         40
        .size:           4
        .value_kind:     hidden_block_count_x
      - .offset:         44
        .size:           4
        .value_kind:     hidden_block_count_y
      - .offset:         48
        .size:           4
        .value_kind:     hidden_block_count_z
      - .offset:         52
        .size:           2
        .value_kind:     hidden_group_size_x
      - .offset:         54
        .size:           2
        .value_kind:     hidden_group_size_y
      - .offset:         56
        .size:           2
        .value_kind:     hidden_group_size_z
      - .offset:         58
        .size:           2
        .value_kind:     hidden_remainder_x
      - .offset:         60
        .size:           2
        .value_kind:     hidden_remainder_y
      - .offset:         62
        .size:           2
        .value_kind:     hidden_remainder_z
      - .offset:         80
        .size:           8
        .value_kind:     hidden_global_offset_x
      - .offset:         88
        .size:           8
        .value_kind:     hidden_global_offset_y
      - .offset:         96
        .size:           8
        .value_kind:     hidden_global_offset_z
      - .offset:         104
        .size:           2
        .value_kind:     hidden_grid_dims
    .group_segment_fixed_size: 0
    .kernarg_segment_align: 8
    .kernarg_segment_size: 296
    .language:       OpenCL C
    .language_version:
      - 2
      - 0
    .max_flat_workgroup_size: 1024
    .name:           _Z14rdwdot6_kernelIfEvPKT_S2_PS0_S0_S2_
    .private_segment_fixed_size: 0
    .sgpr_count:     16
    .sgpr_spill_count: 0
    .symbol:         _Z14rdwdot6_kernelIfEvPKT_S2_PS0_S0_S2_.kd
    .uniform_work_group_size: 1
    .uses_dynamic_stack: false
    .vgpr_count:     94
    .vgpr_spill_count: 0
    .wavefront_size: 32
    .workgroup_processor_mode: 1
  - .args:
      - .actual_access:  read_only
        .address_space:  global
        .offset:         0
        .size:           8
        .value_kind:     global_buffer
      - .actual_access:  read_only
        .address_space:  global
        .offset:         8
        .size:           8
        .value_kind:     global_buffer
      - .actual_access:  write_only
        .address_space:  global
        .offset:         16
        .size:           8
        .value_kind:     global_buffer
      - .offset:         24
        .size:           4
        .value_kind:     by_value
      - .actual_access:  read_only
        .address_space:  global
        .offset:         32
        .size:           8
        .value_kind:     global_buffer
      - .offset:         40
        .size:           4
        .value_kind:     hidden_block_count_x
      - .offset:         44
        .size:           4
        .value_kind:     hidden_block_count_y
      - .offset:         48
        .size:           4
        .value_kind:     hidden_block_count_z
      - .offset:         52
        .size:           2
        .value_kind:     hidden_group_size_x
      - .offset:         54
        .size:           2
        .value_kind:     hidden_group_size_y
      - .offset:         56
        .size:           2
        .value_kind:     hidden_group_size_z
      - .offset:         58
        .size:           2
        .value_kind:     hidden_remainder_x
      - .offset:         60
        .size:           2
        .value_kind:     hidden_remainder_y
      - .offset:         62
        .size:           2
        .value_kind:     hidden_remainder_z
      - .offset:         80
        .size:           8
        .value_kind:     hidden_global_offset_x
      - .offset:         88
        .size:           8
        .value_kind:     hidden_global_offset_y
      - .offset:         96
        .size:           8
        .value_kind:     hidden_global_offset_z
      - .offset:         104
        .size:           2
        .value_kind:     hidden_grid_dims
    .group_segment_fixed_size: 0
    .kernarg_segment_align: 8
    .kernarg_segment_size: 296
    .language:       OpenCL C
    .language_version:
      - 2
      - 0
    .max_flat_workgroup_size: 1024
    .name:           _Z14rdwdot7_kernelIfEvPKT_S2_PS0_S0_S2_
    .private_segment_fixed_size: 0
    .sgpr_count:     17
    .sgpr_spill_count: 0
    .symbol:         _Z14rdwdot7_kernelIfEvPKT_S2_PS0_S0_S2_.kd
    .uniform_work_group_size: 1
    .uses_dynamic_stack: false
    .vgpr_count:     22
    .vgpr_spill_count: 0
    .wavefront_size: 32
    .workgroup_processor_mode: 1
  - .args:
      - .actual_access:  read_only
        .address_space:  global
        .offset:         0
        .size:           8
        .value_kind:     global_buffer
      - .actual_access:  read_only
        .address_space:  global
        .offset:         8
        .size:           8
        .value_kind:     global_buffer
      - .actual_access:  write_only
        .address_space:  global
        .offset:         16
        .size:           8
        .value_kind:     global_buffer
      - .offset:         24
        .size:           4
        .value_kind:     by_value
      - .actual_access:  read_only
        .address_space:  global
        .offset:         32
        .size:           8
        .value_kind:     global_buffer
      - .offset:         40
        .size:           4
        .value_kind:     hidden_block_count_x
      - .offset:         44
        .size:           4
        .value_kind:     hidden_block_count_y
      - .offset:         48
        .size:           4
        .value_kind:     hidden_block_count_z
      - .offset:         52
        .size:           2
        .value_kind:     hidden_group_size_x
      - .offset:         54
        .size:           2
        .value_kind:     hidden_group_size_y
      - .offset:         56
        .size:           2
        .value_kind:     hidden_group_size_z
      - .offset:         58
        .size:           2
        .value_kind:     hidden_remainder_x
      - .offset:         60
        .size:           2
        .value_kind:     hidden_remainder_y
      - .offset:         62
        .size:           2
        .value_kind:     hidden_remainder_z
      - .offset:         80
        .size:           8
        .value_kind:     hidden_global_offset_x
      - .offset:         88
        .size:           8
        .value_kind:     hidden_global_offset_y
      - .offset:         96
        .size:           8
        .value_kind:     hidden_global_offset_z
      - .offset:         104
        .size:           2
        .value_kind:     hidden_grid_dims
    .group_segment_fixed_size: 0
    .kernarg_segment_align: 8
    .kernarg_segment_size: 296
    .language:       OpenCL C
    .language_version:
      - 2
      - 0
    .max_flat_workgroup_size: 1024
    .name:           _Z14rdwdot8_kernelIfEvPKT_S2_PS0_S0_S2_
    .private_segment_fixed_size: 0
    .sgpr_count:     17
    .sgpr_spill_count: 0
    .symbol:         _Z14rdwdot8_kernelIfEvPKT_S2_PS0_S0_S2_.kd
    .uniform_work_group_size: 1
    .uses_dynamic_stack: false
    .vgpr_count:     18
    .vgpr_spill_count: 0
    .wavefront_size: 32
    .workgroup_processor_mode: 1
  - .args:
      - .actual_access:  read_only
        .address_space:  global
        .offset:         0
        .size:           8
        .value_kind:     global_buffer
      - .actual_access:  read_only
        .address_space:  global
        .offset:         8
        .size:           8
        .value_kind:     global_buffer
      - .actual_access:  write_only
        .address_space:  global
        .offset:         16
        .size:           8
        .value_kind:     global_buffer
      - .offset:         24
        .size:           4
        .value_kind:     by_value
      - .actual_access:  read_only
        .address_space:  global
        .offset:         32
        .size:           8
        .value_kind:     global_buffer
      - .offset:         40
        .size:           4
        .value_kind:     hidden_block_count_x
      - .offset:         44
        .size:           4
        .value_kind:     hidden_block_count_y
      - .offset:         48
        .size:           4
        .value_kind:     hidden_block_count_z
      - .offset:         52
        .size:           2
        .value_kind:     hidden_group_size_x
      - .offset:         54
        .size:           2
        .value_kind:     hidden_group_size_y
      - .offset:         56
        .size:           2
        .value_kind:     hidden_group_size_z
      - .offset:         58
        .size:           2
        .value_kind:     hidden_remainder_x
      - .offset:         60
        .size:           2
        .value_kind:     hidden_remainder_y
      - .offset:         62
        .size:           2
        .value_kind:     hidden_remainder_z
      - .offset:         80
        .size:           8
        .value_kind:     hidden_global_offset_x
      - .offset:         88
        .size:           8
        .value_kind:     hidden_global_offset_y
      - .offset:         96
        .size:           8
        .value_kind:     hidden_global_offset_z
      - .offset:         104
        .size:           2
        .value_kind:     hidden_grid_dims
    .group_segment_fixed_size: 0
    .kernarg_segment_align: 8
    .kernarg_segment_size: 296
    .language:       OpenCL C
    .language_version:
      - 2
      - 0
    .max_flat_workgroup_size: 1024
    .name:           _Z14rdwdot9_kernelIfEvPKT_S2_PS0_S0_S2_
    .private_segment_fixed_size: 0
    .sgpr_count:     18
    .sgpr_spill_count: 0
    .symbol:         _Z14rdwdot9_kernelIfEvPKT_S2_PS0_S0_S2_.kd
    .uniform_work_group_size: 1
    .uses_dynamic_stack: false
    .vgpr_count:     8
    .vgpr_spill_count: 0
    .wavefront_size: 32
    .workgroup_processor_mode: 1
  - .args:
      - .actual_access:  read_only
        .address_space:  global
        .offset:         0
        .size:           8
        .value_kind:     global_buffer
      - .actual_access:  read_only
        .address_space:  global
        .offset:         8
        .size:           8
        .value_kind:     global_buffer
      - .actual_access:  write_only
        .address_space:  global
        .offset:         16
        .size:           8
        .value_kind:     global_buffer
      - .offset:         24
        .size:           4
        .value_kind:     by_value
      - .actual_access:  read_only
        .address_space:  global
        .offset:         32
        .size:           8
        .value_kind:     global_buffer
      - .offset:         40
        .size:           4
        .value_kind:     hidden_block_count_x
      - .offset:         44
        .size:           4
        .value_kind:     hidden_block_count_y
      - .offset:         48
        .size:           4
        .value_kind:     hidden_block_count_z
      - .offset:         52
        .size:           2
        .value_kind:     hidden_group_size_x
      - .offset:         54
        .size:           2
        .value_kind:     hidden_group_size_y
      - .offset:         56
        .size:           2
        .value_kind:     hidden_group_size_z
      - .offset:         58
        .size:           2
        .value_kind:     hidden_remainder_x
      - .offset:         60
        .size:           2
        .value_kind:     hidden_remainder_y
      - .offset:         62
        .size:           2
        .value_kind:     hidden_remainder_z
      - .offset:         80
        .size:           8
        .value_kind:     hidden_global_offset_x
      - .offset:         88
        .size:           8
        .value_kind:     hidden_global_offset_y
      - .offset:         96
        .size:           8
        .value_kind:     hidden_global_offset_z
      - .offset:         104
        .size:           2
        .value_kind:     hidden_grid_dims
    .group_segment_fixed_size: 0
    .kernarg_segment_align: 8
    .kernarg_segment_size: 296
    .language:       OpenCL C
    .language_version:
      - 2
      - 0
    .max_flat_workgroup_size: 1024
    .name:           _Z15rdwdot10_kernelIfEvPKT_S2_PS0_S0_S2_
    .private_segment_fixed_size: 0
    .sgpr_count:     26
    .sgpr_spill_count: 0
    .symbol:         _Z15rdwdot10_kernelIfEvPKT_S2_PS0_S0_S2_.kd
    .uniform_work_group_size: 1
    .uses_dynamic_stack: false
    .vgpr_count:     48
    .vgpr_spill_count: 0
    .wavefront_size: 32
    .workgroup_processor_mode: 1
  - .args:
      - .actual_access:  read_only
        .address_space:  global
        .offset:         0
        .size:           8
        .value_kind:     global_buffer
      - .actual_access:  write_only
        .address_space:  global
        .offset:         8
        .size:           8
        .value_kind:     global_buffer
      - .offset:         16
        .size:           8
        .value_kind:     by_value
      - .offset:         24
        .size:           4
        .value_kind:     hidden_block_count_x
      - .offset:         28
        .size:           4
        .value_kind:     hidden_block_count_y
      - .offset:         32
        .size:           4
        .value_kind:     hidden_block_count_z
      - .offset:         36
        .size:           2
        .value_kind:     hidden_group_size_x
      - .offset:         38
        .size:           2
        .value_kind:     hidden_group_size_y
      - .offset:         40
        .size:           2
        .value_kind:     hidden_group_size_z
      - .offset:         42
        .size:           2
        .value_kind:     hidden_remainder_x
      - .offset:         44
        .size:           2
        .value_kind:     hidden_remainder_y
      - .offset:         46
        .size:           2
        .value_kind:     hidden_remainder_z
      - .offset:         64
        .size:           8
        .value_kind:     hidden_global_offset_x
      - .offset:         72
        .size:           8
        .value_kind:     hidden_global_offset_y
      - .offset:         80
        .size:           8
        .value_kind:     hidden_global_offset_z
      - .offset:         88
        .size:           2
        .value_kind:     hidden_grid_dims
    .group_segment_fixed_size: 0
    .kernarg_segment_align: 8
    .kernarg_segment_size: 280
    .language:       OpenCL C
    .language_version:
      - 2
      - 0
    .max_flat_workgroup_size: 1024
    .name:           _Z11ratt_kernelIdEvPKT_PS0_S0_
    .private_segment_fixed_size: 0
    .sgpr_count:     88
    .sgpr_spill_count: 0
    .symbol:         _Z11ratt_kernelIdEvPKT_PS0_S0_.kd
    .uniform_work_group_size: 1
    .uses_dynamic_stack: false
    .vgpr_count:     104
    .vgpr_spill_count: 0
    .wavefront_size: 32
    .workgroup_processor_mode: 1
  - .args:
      - .actual_access:  read_only
        .address_space:  global
        .offset:         0
        .size:           8
        .value_kind:     global_buffer
      - .actual_access:  write_only
        .address_space:  global
        .offset:         8
        .size:           8
        .value_kind:     global_buffer
      - .offset:         16
        .size:           8
        .value_kind:     by_value
      - .offset:         24
        .size:           4
        .value_kind:     hidden_block_count_x
      - .offset:         28
        .size:           4
        .value_kind:     hidden_block_count_y
      - .offset:         32
        .size:           4
        .value_kind:     hidden_block_count_z
      - .offset:         36
        .size:           2
        .value_kind:     hidden_group_size_x
      - .offset:         38
        .size:           2
        .value_kind:     hidden_group_size_y
      - .offset:         40
        .size:           2
        .value_kind:     hidden_group_size_z
      - .offset:         42
        .size:           2
        .value_kind:     hidden_remainder_x
      - .offset:         44
        .size:           2
        .value_kind:     hidden_remainder_y
      - .offset:         46
        .size:           2
        .value_kind:     hidden_remainder_z
      - .offset:         64
        .size:           8
        .value_kind:     hidden_global_offset_x
      - .offset:         72
        .size:           8
        .value_kind:     hidden_global_offset_y
      - .offset:         80
        .size:           8
        .value_kind:     hidden_global_offset_z
      - .offset:         88
        .size:           2
        .value_kind:     hidden_grid_dims
    .group_segment_fixed_size: 0
    .kernarg_segment_align: 8
    .kernarg_segment_size: 280
    .language:       OpenCL C
    .language_version:
      - 2
      - 0
    .max_flat_workgroup_size: 1024
    .name:           _Z12rdsmh_kernelIdEvPKT_PS0_S0_
    .private_segment_fixed_size: 0
    .sgpr_count:     75
    .sgpr_spill_count: 0
    .symbol:         _Z12rdsmh_kernelIdEvPKT_PS0_S0_.kd
    .uniform_work_group_size: 1
    .uses_dynamic_stack: false
    .vgpr_count:     102
    .vgpr_spill_count: 0
    .wavefront_size: 32
    .workgroup_processor_mode: 1
  - .args:
      - .address_space:  global
        .offset:         0
        .size:           8
        .value_kind:     global_buffer
      - .address_space:  global
        .offset:         8
        .size:           8
        .value_kind:     global_buffer
      - .address_space:  global
        .offset:         16
        .size:           8
        .value_kind:     global_buffer
      - .address_space:  global
        .offset:         24
        .size:           8
        .value_kind:     global_buffer
      - .offset:         32
        .size:           8
        .value_kind:     by_value
      - .offset:         40
        .size:           8
        .value_kind:     by_value
      - .offset:         48
        .size:           4
        .value_kind:     hidden_block_count_x
      - .offset:         52
        .size:           4
        .value_kind:     hidden_block_count_y
      - .offset:         56
        .size:           4
        .value_kind:     hidden_block_count_z
      - .offset:         60
        .size:           2
        .value_kind:     hidden_group_size_x
      - .offset:         62
        .size:           2
        .value_kind:     hidden_group_size_y
      - .offset:         64
        .size:           2
        .value_kind:     hidden_group_size_z
      - .offset:         66
        .size:           2
        .value_kind:     hidden_remainder_x
      - .offset:         68
        .size:           2
        .value_kind:     hidden_remainder_y
      - .offset:         70
        .size:           2
        .value_kind:     hidden_remainder_z
      - .offset:         88
        .size:           8
        .value_kind:     hidden_global_offset_x
      - .offset:         96
        .size:           8
        .value_kind:     hidden_global_offset_y
      - .offset:         104
        .size:           8
        .value_kind:     hidden_global_offset_z
      - .offset:         112
        .size:           2
        .value_kind:     hidden_grid_dims
    .group_segment_fixed_size: 0
    .kernarg_segment_align: 8
    .kernarg_segment_size: 304
    .language:       OpenCL C
    .language_version:
      - 2
      - 0
    .max_flat_workgroup_size: 1024
    .name:           _Z7gr_baseIdEvPKT_S2_S2_PS0_S0_S0_
    .private_segment_fixed_size: 0
    .sgpr_count:     48
    .sgpr_spill_count: 0
    .symbol:         _Z7gr_baseIdEvPKT_S2_S2_PS0_S0_S0_.kd
    .uniform_work_group_size: 1
    .uses_dynamic_stack: false
    .vgpr_count:     80
    .vgpr_spill_count: 0
    .wavefront_size: 32
    .workgroup_processor_mode: 1
  - .args:
      - .actual_access:  read_only
        .address_space:  global
        .offset:         0
        .size:           8
        .value_kind:     global_buffer
      - .actual_access:  read_only
        .address_space:  global
        .offset:         8
        .size:           8
        .value_kind:     global_buffer
      - .actual_access:  write_only
        .address_space:  global
        .offset:         16
        .size:           8
        .value_kind:     global_buffer
      - .actual_access:  read_only
        .address_space:  global
        .offset:         24
        .size:           8
        .value_kind:     global_buffer
      - .offset:         32
        .size:           8
        .value_kind:     by_value
      - .offset:         40
        .size:           4
        .value_kind:     hidden_block_count_x
      - .offset:         44
        .size:           4
        .value_kind:     hidden_block_count_y
      - .offset:         48
        .size:           4
        .value_kind:     hidden_block_count_z
      - .offset:         52
        .size:           2
        .value_kind:     hidden_group_size_x
      - .offset:         54
        .size:           2
        .value_kind:     hidden_group_size_y
      - .offset:         56
        .size:           2
        .value_kind:     hidden_group_size_z
      - .offset:         58
        .size:           2
        .value_kind:     hidden_remainder_x
      - .offset:         60
        .size:           2
        .value_kind:     hidden_remainder_y
      - .offset:         62
        .size:           2
        .value_kind:     hidden_remainder_z
      - .offset:         80
        .size:           8
        .value_kind:     hidden_global_offset_x
      - .offset:         88
        .size:           8
        .value_kind:     hidden_global_offset_y
      - .offset:         96
        .size:           8
        .value_kind:     hidden_global_offset_z
      - .offset:         104
        .size:           2
        .value_kind:     hidden_grid_dims
    .group_segment_fixed_size: 0
    .kernarg_segment_align: 8
    .kernarg_segment_size: 296
    .language:       OpenCL C
    .language_version:
      - 2
      - 0
    .max_flat_workgroup_size: 1024
    .name:           _Z12ratt2_kernelIdEvPKT_S2_PS0_S2_S0_
    .private_segment_fixed_size: 0
    .sgpr_count:     17
    .sgpr_spill_count: 0
    .symbol:         _Z12ratt2_kernelIdEvPKT_S2_PS0_S2_S0_.kd
    .uniform_work_group_size: 1
    .uses_dynamic_stack: false
    .vgpr_count:     52
    .vgpr_spill_count: 0
    .wavefront_size: 32
    .workgroup_processor_mode: 1
  - .args:
      - .actual_access:  read_only
        .address_space:  global
        .offset:         0
        .size:           8
        .value_kind:     global_buffer
      - .actual_access:  read_only
        .address_space:  global
        .offset:         8
        .size:           8
        .value_kind:     global_buffer
      - .actual_access:  write_only
        .address_space:  global
        .offset:         16
        .size:           8
        .value_kind:     global_buffer
      - .actual_access:  read_only
        .address_space:  global
        .offset:         24
        .size:           8
        .value_kind:     global_buffer
      - .offset:         32
        .size:           8
        .value_kind:     by_value
      - .offset:         40
        .size:           4
        .value_kind:     hidden_block_count_x
      - .offset:         44
        .size:           4
        .value_kind:     hidden_block_count_y
      - .offset:         48
        .size:           4
        .value_kind:     hidden_block_count_z
      - .offset:         52
        .size:           2
        .value_kind:     hidden_group_size_x
      - .offset:         54
        .size:           2
        .value_kind:     hidden_group_size_y
      - .offset:         56
        .size:           2
        .value_kind:     hidden_group_size_z
      - .offset:         58
        .size:           2
        .value_kind:     hidden_remainder_x
      - .offset:         60
        .size:           2
        .value_kind:     hidden_remainder_y
      - .offset:         62
        .size:           2
        .value_kind:     hidden_remainder_z
      - .offset:         80
        .size:           8
        .value_kind:     hidden_global_offset_x
      - .offset:         88
        .size:           8
        .value_kind:     hidden_global_offset_y
      - .offset:         96
        .size:           8
        .value_kind:     hidden_global_offset_z
      - .offset:         104
        .size:           2
        .value_kind:     hidden_grid_dims
    .group_segment_fixed_size: 0
    .kernarg_segment_align: 8
    .kernarg_segment_size: 296
    .language:       OpenCL C
    .language_version:
      - 2
      - 0
    .max_flat_workgroup_size: 1024
    .name:           _Z12ratt3_kernelIdEvPKT_S2_PS0_S2_S0_
    .private_segment_fixed_size: 0
    .sgpr_count:     17
    .sgpr_spill_count: 0
    .symbol:         _Z12ratt3_kernelIdEvPKT_S2_PS0_S2_S0_.kd
    .uniform_work_group_size: 1
    .uses_dynamic_stack: false
    .vgpr_count:     65
    .vgpr_spill_count: 0
    .wavefront_size: 32
    .workgroup_processor_mode: 1
  - .args:
      - .actual_access:  read_only
        .address_space:  global
        .offset:         0
        .size:           8
        .value_kind:     global_buffer
      - .actual_access:  read_only
        .address_space:  global
        .offset:         8
        .size:           8
        .value_kind:     global_buffer
      - .actual_access:  write_only
        .address_space:  global
        .offset:         16
        .size:           8
        .value_kind:     global_buffer
      - .actual_access:  read_only
        .address_space:  global
        .offset:         24
        .size:           8
        .value_kind:     global_buffer
      - .offset:         32
        .size:           8
        .value_kind:     by_value
      - .offset:         40
        .size:           4
        .value_kind:     hidden_block_count_x
      - .offset:         44
        .size:           4
        .value_kind:     hidden_block_count_y
      - .offset:         48
        .size:           4
        .value_kind:     hidden_block_count_z
      - .offset:         52
        .size:           2
        .value_kind:     hidden_group_size_x
      - .offset:         54
        .size:           2
        .value_kind:     hidden_group_size_y
      - .offset:         56
        .size:           2
        .value_kind:     hidden_group_size_z
      - .offset:         58
        .size:           2
        .value_kind:     hidden_remainder_x
      - .offset:         60
        .size:           2
        .value_kind:     hidden_remainder_y
      - .offset:         62
        .size:           2
        .value_kind:     hidden_remainder_z
      - .offset:         80
        .size:           8
        .value_kind:     hidden_global_offset_x
      - .offset:         88
        .size:           8
        .value_kind:     hidden_global_offset_y
      - .offset:         96
        .size:           8
        .value_kind:     hidden_global_offset_z
      - .offset:         104
        .size:           2
        .value_kind:     hidden_grid_dims
    .group_segment_fixed_size: 0
    .kernarg_segment_align: 8
    .kernarg_segment_size: 296
    .language:       OpenCL C
    .language_version:
      - 2
      - 0
    .max_flat_workgroup_size: 1024
    .name:           _Z12ratt4_kernelIdEvPKT_S2_PS0_S2_S0_
    .private_segment_fixed_size: 0
    .sgpr_count:     17
    .sgpr_spill_count: 0
    .symbol:         _Z12ratt4_kernelIdEvPKT_S2_PS0_S2_S0_.kd
    .uniform_work_group_size: 1
    .uses_dynamic_stack: false
    .vgpr_count:     62
    .vgpr_spill_count: 0
    .wavefront_size: 32
    .workgroup_processor_mode: 1
  - .args:
      - .actual_access:  read_only
        .address_space:  global
        .offset:         0
        .size:           8
        .value_kind:     global_buffer
      - .actual_access:  read_only
        .address_space:  global
        .offset:         8
        .size:           8
        .value_kind:     global_buffer
      - .actual_access:  write_only
        .address_space:  global
        .offset:         16
        .size:           8
        .value_kind:     global_buffer
      - .actual_access:  read_only
        .address_space:  global
        .offset:         24
        .size:           8
        .value_kind:     global_buffer
      - .offset:         32
        .size:           8
        .value_kind:     by_value
      - .offset:         40
        .size:           4
        .value_kind:     hidden_block_count_x
      - .offset:         44
        .size:           4
        .value_kind:     hidden_block_count_y
      - .offset:         48
        .size:           4
        .value_kind:     hidden_block_count_z
      - .offset:         52
        .size:           2
        .value_kind:     hidden_group_size_x
      - .offset:         54
        .size:           2
        .value_kind:     hidden_group_size_y
      - .offset:         56
        .size:           2
        .value_kind:     hidden_group_size_z
      - .offset:         58
        .size:           2
        .value_kind:     hidden_remainder_x
      - .offset:         60
        .size:           2
        .value_kind:     hidden_remainder_y
      - .offset:         62
        .size:           2
        .value_kind:     hidden_remainder_z
      - .offset:         80
        .size:           8
        .value_kind:     hidden_global_offset_x
      - .offset:         88
        .size:           8
        .value_kind:     hidden_global_offset_y
      - .offset:         96
        .size:           8
        .value_kind:     hidden_global_offset_z
      - .offset:         104
        .size:           2
        .value_kind:     hidden_grid_dims
    .group_segment_fixed_size: 0
    .kernarg_segment_align: 8
    .kernarg_segment_size: 296
    .language:       OpenCL C
    .language_version:
      - 2
      - 0
    .max_flat_workgroup_size: 1024
    .name:           _Z12ratt5_kernelIdEvPKT_S2_PS0_S2_S0_
    .private_segment_fixed_size: 0
    .sgpr_count:     17
    .sgpr_spill_count: 0
    .symbol:         _Z12ratt5_kernelIdEvPKT_S2_PS0_S2_S0_.kd
    .uniform_work_group_size: 1
    .uses_dynamic_stack: false
    .vgpr_count:     61
    .vgpr_spill_count: 0
    .wavefront_size: 32
    .workgroup_processor_mode: 1
  - .args:
      - .actual_access:  read_only
        .address_space:  global
        .offset:         0
        .size:           8
        .value_kind:     global_buffer
      - .actual_access:  read_only
        .address_space:  global
        .offset:         8
        .size:           8
        .value_kind:     global_buffer
      - .actual_access:  write_only
        .address_space:  global
        .offset:         16
        .size:           8
        .value_kind:     global_buffer
      - .actual_access:  read_only
        .address_space:  global
        .offset:         24
        .size:           8
        .value_kind:     global_buffer
      - .offset:         32
        .size:           8
        .value_kind:     by_value
      - .offset:         40
        .size:           4
        .value_kind:     hidden_block_count_x
      - .offset:         44
        .size:           4
        .value_kind:     hidden_block_count_y
      - .offset:         48
        .size:           4
        .value_kind:     hidden_block_count_z
      - .offset:         52
        .size:           2
        .value_kind:     hidden_group_size_x
      - .offset:         54
        .size:           2
        .value_kind:     hidden_group_size_y
      - .offset:         56
        .size:           2
        .value_kind:     hidden_group_size_z
      - .offset:         58
        .size:           2
        .value_kind:     hidden_remainder_x
      - .offset:         60
        .size:           2
        .value_kind:     hidden_remainder_y
      - .offset:         62
        .size:           2
        .value_kind:     hidden_remainder_z
      - .offset:         80
        .size:           8
        .value_kind:     hidden_global_offset_x
      - .offset:         88
        .size:           8
        .value_kind:     hidden_global_offset_y
      - .offset:         96
        .size:           8
        .value_kind:     hidden_global_offset_z
      - .offset:         104
        .size:           2
        .value_kind:     hidden_grid_dims
    .group_segment_fixed_size: 0
    .kernarg_segment_align: 8
    .kernarg_segment_size: 296
    .language:       OpenCL C
    .language_version:
      - 2
      - 0
    .max_flat_workgroup_size: 1024
    .name:           _Z12ratt6_kernelIdEvPKT_S2_PS0_S2_S0_
    .private_segment_fixed_size: 0
    .sgpr_count:     17
    .sgpr_spill_count: 0
    .symbol:         _Z12ratt6_kernelIdEvPKT_S2_PS0_S2_S0_.kd
    .uniform_work_group_size: 1
    .uses_dynamic_stack: false
    .vgpr_count:     48
    .vgpr_spill_count: 0
    .wavefront_size: 32
    .workgroup_processor_mode: 1
  - .args:
      - .actual_access:  read_only
        .address_space:  global
        .offset:         0
        .size:           8
        .value_kind:     global_buffer
      - .actual_access:  read_only
        .address_space:  global
        .offset:         8
        .size:           8
        .value_kind:     global_buffer
      - .actual_access:  write_only
        .address_space:  global
        .offset:         16
        .size:           8
        .value_kind:     global_buffer
      - .actual_access:  read_only
        .address_space:  global
        .offset:         24
        .size:           8
        .value_kind:     global_buffer
      - .offset:         32
        .size:           8
        .value_kind:     by_value
      - .offset:         40
        .size:           4
        .value_kind:     hidden_block_count_x
      - .offset:         44
        .size:           4
        .value_kind:     hidden_block_count_y
      - .offset:         48
        .size:           4
        .value_kind:     hidden_block_count_z
      - .offset:         52
        .size:           2
        .value_kind:     hidden_group_size_x
      - .offset:         54
        .size:           2
        .value_kind:     hidden_group_size_y
      - .offset:         56
        .size:           2
        .value_kind:     hidden_group_size_z
      - .offset:         58
        .size:           2
        .value_kind:     hidden_remainder_x
      - .offset:         60
        .size:           2
        .value_kind:     hidden_remainder_y
      - .offset:         62
        .size:           2
        .value_kind:     hidden_remainder_z
      - .offset:         80
        .size:           8
        .value_kind:     hidden_global_offset_x
      - .offset:         88
        .size:           8
        .value_kind:     hidden_global_offset_y
      - .offset:         96
        .size:           8
        .value_kind:     hidden_global_offset_z
      - .offset:         104
        .size:           2
        .value_kind:     hidden_grid_dims
    .group_segment_fixed_size: 0
    .kernarg_segment_align: 8
    .kernarg_segment_size: 296
    .language:       OpenCL C
    .language_version:
      - 2
      - 0
    .max_flat_workgroup_size: 1024
    .name:           _Z12ratt7_kernelIdEvPKT_S2_PS0_S2_S0_
    .private_segment_fixed_size: 0
    .sgpr_count:     17
    .sgpr_spill_count: 0
    .symbol:         _Z12ratt7_kernelIdEvPKT_S2_PS0_S2_S0_.kd
    .uniform_work_group_size: 1
    .uses_dynamic_stack: false
    .vgpr_count:     54
    .vgpr_spill_count: 0
    .wavefront_size: 32
    .workgroup_processor_mode: 1
  - .args:
      - .actual_access:  read_only
        .address_space:  global
        .offset:         0
        .size:           8
        .value_kind:     global_buffer
      - .actual_access:  read_only
        .address_space:  global
        .offset:         8
        .size:           8
        .value_kind:     global_buffer
      - .actual_access:  write_only
        .address_space:  global
        .offset:         16
        .size:           8
        .value_kind:     global_buffer
      - .actual_access:  read_only
        .address_space:  global
        .offset:         24
        .size:           8
        .value_kind:     global_buffer
      - .offset:         32
        .size:           8
        .value_kind:     by_value
      - .offset:         40
        .size:           4
        .value_kind:     hidden_block_count_x
      - .offset:         44
        .size:           4
        .value_kind:     hidden_block_count_y
      - .offset:         48
        .size:           4
        .value_kind:     hidden_block_count_z
      - .offset:         52
        .size:           2
        .value_kind:     hidden_group_size_x
      - .offset:         54
        .size:           2
        .value_kind:     hidden_group_size_y
      - .offset:         56
        .size:           2
        .value_kind:     hidden_group_size_z
      - .offset:         58
        .size:           2
        .value_kind:     hidden_remainder_x
      - .offset:         60
        .size:           2
        .value_kind:     hidden_remainder_y
      - .offset:         62
        .size:           2
        .value_kind:     hidden_remainder_z
      - .offset:         80
        .size:           8
        .value_kind:     hidden_global_offset_x
      - .offset:         88
        .size:           8
        .value_kind:     hidden_global_offset_y
      - .offset:         96
        .size:           8
        .value_kind:     hidden_global_offset_z
      - .offset:         104
        .size:           2
        .value_kind:     hidden_grid_dims
    .group_segment_fixed_size: 0
    .kernarg_segment_align: 8
    .kernarg_segment_size: 296
    .language:       OpenCL C
    .language_version:
      - 2
      - 0
    .max_flat_workgroup_size: 1024
    .name:           _Z12ratt8_kernelIdEvPKT_S2_PS0_S2_S0_
    .private_segment_fixed_size: 0
    .sgpr_count:     17
    .sgpr_spill_count: 0
    .symbol:         _Z12ratt8_kernelIdEvPKT_S2_PS0_S2_S0_.kd
    .uniform_work_group_size: 1
    .uses_dynamic_stack: false
    .vgpr_count:     61
    .vgpr_spill_count: 0
    .wavefront_size: 32
    .workgroup_processor_mode: 1
  - .args:
      - .actual_access:  read_only
        .address_space:  global
        .offset:         0
        .size:           8
        .value_kind:     global_buffer
      - .actual_access:  read_only
        .address_space:  global
        .offset:         8
        .size:           8
        .value_kind:     global_buffer
      - .actual_access:  write_only
        .address_space:  global
        .offset:         16
        .size:           8
        .value_kind:     global_buffer
      - .actual_access:  read_only
        .address_space:  global
        .offset:         24
        .size:           8
        .value_kind:     global_buffer
      - .offset:         32
        .size:           8
        .value_kind:     by_value
      - .offset:         40
        .size:           4
        .value_kind:     hidden_block_count_x
      - .offset:         44
        .size:           4
        .value_kind:     hidden_block_count_y
      - .offset:         48
        .size:           4
        .value_kind:     hidden_block_count_z
      - .offset:         52
        .size:           2
        .value_kind:     hidden_group_size_x
      - .offset:         54
        .size:           2
        .value_kind:     hidden_group_size_y
      - .offset:         56
        .size:           2
        .value_kind:     hidden_group_size_z
      - .offset:         58
        .size:           2
        .value_kind:     hidden_remainder_x
      - .offset:         60
        .size:           2
        .value_kind:     hidden_remainder_y
      - .offset:         62
        .size:           2
        .value_kind:     hidden_remainder_z
      - .offset:         80
        .size:           8
        .value_kind:     hidden_global_offset_x
      - .offset:         88
        .size:           8
        .value_kind:     hidden_global_offset_y
      - .offset:         96
        .size:           8
        .value_kind:     hidden_global_offset_z
      - .offset:         104
        .size:           2
        .value_kind:     hidden_grid_dims
    .group_segment_fixed_size: 0
    .kernarg_segment_align: 8
    .kernarg_segment_size: 296
    .language:       OpenCL C
    .language_version:
      - 2
      - 0
    .max_flat_workgroup_size: 1024
    .name:           _Z12ratt9_kernelIdEvPKT_S2_PS0_S2_S0_
    .private_segment_fixed_size: 0
    .sgpr_count:     17
    .sgpr_spill_count: 0
    .symbol:         _Z12ratt9_kernelIdEvPKT_S2_PS0_S2_S0_.kd
    .uniform_work_group_size: 1
    .uses_dynamic_stack: false
    .vgpr_count:     66
    .vgpr_spill_count: 0
    .wavefront_size: 32
    .workgroup_processor_mode: 1
  - .args:
      - .actual_access:  read_only
        .address_space:  global
        .offset:         0
        .size:           8
        .value_kind:     global_buffer
      - .actual_access:  write_only
        .address_space:  global
        .offset:         8
        .size:           8
        .value_kind:     global_buffer
      - .offset:         16
        .size:           8
        .value_kind:     by_value
      - .offset:         24
        .size:           4
        .value_kind:     hidden_block_count_x
      - .offset:         28
        .size:           4
        .value_kind:     hidden_block_count_y
      - .offset:         32
        .size:           4
        .value_kind:     hidden_block_count_z
      - .offset:         36
        .size:           2
        .value_kind:     hidden_group_size_x
      - .offset:         38
        .size:           2
        .value_kind:     hidden_group_size_y
      - .offset:         40
        .size:           2
        .value_kind:     hidden_group_size_z
      - .offset:         42
        .size:           2
        .value_kind:     hidden_remainder_x
      - .offset:         44
        .size:           2
        .value_kind:     hidden_remainder_y
      - .offset:         46
        .size:           2
        .value_kind:     hidden_remainder_z
      - .offset:         64
        .size:           8
        .value_kind:     hidden_global_offset_x
      - .offset:         72
        .size:           8
        .value_kind:     hidden_global_offset_y
      - .offset:         80
        .size:           8
        .value_kind:     hidden_global_offset_z
      - .offset:         88
        .size:           2
        .value_kind:     hidden_grid_dims
    .group_segment_fixed_size: 0
    .kernarg_segment_align: 8
    .kernarg_segment_size: 280
    .language:       OpenCL C
    .language_version:
      - 2
      - 0
    .max_flat_workgroup_size: 1024
    .name:           _Z13ratt10_kernelIdEvPKT_PS0_S0_
    .private_segment_fixed_size: 0
    .sgpr_count:     44
    .sgpr_spill_count: 0
    .symbol:         _Z13ratt10_kernelIdEvPKT_PS0_S0_.kd
    .uniform_work_group_size: 1
    .uses_dynamic_stack: false
    .vgpr_count:     21
    .vgpr_spill_count: 0
    .wavefront_size: 32
    .workgroup_processor_mode: 1
  - .args:
      - .actual_access:  read_only
        .address_space:  global
        .offset:         0
        .size:           8
        .value_kind:     global_buffer
      - .actual_access:  read_only
        .address_space:  global
        .offset:         8
        .size:           8
        .value_kind:     global_buffer
      - .address_space:  global
        .offset:         16
        .size:           8
        .value_kind:     global_buffer
      - .address_space:  global
        .offset:         24
        .size:           8
        .value_kind:     global_buffer
      - .actual_access:  read_only
        .address_space:  global
        .offset:         32
        .size:           8
        .value_kind:     global_buffer
      - .offset:         40
        .size:           8
        .value_kind:     by_value
      - .offset:         48
        .size:           4
        .value_kind:     hidden_block_count_x
      - .offset:         52
        .size:           4
        .value_kind:     hidden_block_count_y
      - .offset:         56
        .size:           4
        .value_kind:     hidden_block_count_z
      - .offset:         60
        .size:           2
        .value_kind:     hidden_group_size_x
      - .offset:         62
        .size:           2
        .value_kind:     hidden_group_size_y
      - .offset:         64
        .size:           2
        .value_kind:     hidden_group_size_z
      - .offset:         66
        .size:           2
        .value_kind:     hidden_remainder_x
      - .offset:         68
        .size:           2
        .value_kind:     hidden_remainder_y
      - .offset:         70
        .size:           2
        .value_kind:     hidden_remainder_z
      - .offset:         88
        .size:           8
        .value_kind:     hidden_global_offset_x
      - .offset:         96
        .size:           8
        .value_kind:     hidden_global_offset_y
      - .offset:         104
        .size:           8
        .value_kind:     hidden_global_offset_z
      - .offset:         112
        .size:           2
        .value_kind:     hidden_grid_dims
    .group_segment_fixed_size: 0
    .kernarg_segment_align: 8
    .kernarg_segment_size: 304
    .language:       OpenCL C
    .language_version:
      - 2
      - 0
    .max_flat_workgroup_size: 1024
    .name:           _Z11ratx_kernelIdEvPKT_S2_PS0_S3_S2_S0_
    .private_segment_fixed_size: 0
    .sgpr_count:     82
    .sgpr_spill_count: 0
    .symbol:         _Z11ratx_kernelIdEvPKT_S2_PS0_S3_S2_S0_.kd
    .uniform_work_group_size: 1
    .uses_dynamic_stack: false
    .vgpr_count:     94
    .vgpr_spill_count: 0
    .wavefront_size: 32
    .workgroup_processor_mode: 1
  - .args:
      - .actual_access:  read_only
        .address_space:  global
        .offset:         0
        .size:           8
        .value_kind:     global_buffer
      - .actual_access:  read_only
        .address_space:  global
        .offset:         8
        .size:           8
        .value_kind:     global_buffer
      - .address_space:  global
        .offset:         16
        .size:           8
        .value_kind:     global_buffer
      - .address_space:  global
        .offset:         24
        .size:           8
        .value_kind:     global_buffer
      - .actual_access:  read_only
        .address_space:  global
        .offset:         32
        .size:           8
        .value_kind:     global_buffer
      - .offset:         40
        .size:           8
        .value_kind:     by_value
      - .offset:         48
        .size:           4
        .value_kind:     hidden_block_count_x
      - .offset:         52
        .size:           4
        .value_kind:     hidden_block_count_y
      - .offset:         56
        .size:           4
        .value_kind:     hidden_block_count_z
      - .offset:         60
        .size:           2
        .value_kind:     hidden_group_size_x
      - .offset:         62
        .size:           2
        .value_kind:     hidden_group_size_y
      - .offset:         64
        .size:           2
        .value_kind:     hidden_group_size_z
      - .offset:         66
        .size:           2
        .value_kind:     hidden_remainder_x
      - .offset:         68
        .size:           2
        .value_kind:     hidden_remainder_y
      - .offset:         70
        .size:           2
        .value_kind:     hidden_remainder_z
      - .offset:         88
        .size:           8
        .value_kind:     hidden_global_offset_x
      - .offset:         96
        .size:           8
        .value_kind:     hidden_global_offset_y
      - .offset:         104
        .size:           8
        .value_kind:     hidden_global_offset_z
      - .offset:         112
        .size:           2
        .value_kind:     hidden_grid_dims
    .group_segment_fixed_size: 0
    .kernarg_segment_align: 8
    .kernarg_segment_size: 304
    .language:       OpenCL C
    .language_version:
      - 2
      - 0
    .max_flat_workgroup_size: 1024
    .name:           _Z12ratxb_kernelIdEvPKT_S2_PS0_S3_S2_S0_
    .private_segment_fixed_size: 0
    .sgpr_count:     87
    .sgpr_spill_count: 0
    .symbol:         _Z12ratxb_kernelIdEvPKT_S2_PS0_S3_S2_S0_.kd
    .uniform_work_group_size: 1
    .uses_dynamic_stack: false
    .vgpr_count:     72
    .vgpr_spill_count: 0
    .wavefront_size: 32
    .workgroup_processor_mode: 1
  - .args:
      - .actual_access:  read_only
        .address_space:  global
        .offset:         0
        .size:           8
        .value_kind:     global_buffer
      - .address_space:  global
        .offset:         8
        .size:           8
        .value_kind:     global_buffer
      - .actual_access:  read_only
        .address_space:  global
        .offset:         16
        .size:           8
        .value_kind:     global_buffer
      - .offset:         24
        .size:           4
        .value_kind:     hidden_block_count_x
      - .offset:         28
        .size:           4
        .value_kind:     hidden_block_count_y
      - .offset:         32
        .size:           4
        .value_kind:     hidden_block_count_z
      - .offset:         36
        .size:           2
        .value_kind:     hidden_group_size_x
      - .offset:         38
        .size:           2
        .value_kind:     hidden_group_size_y
      - .offset:         40
        .size:           2
        .value_kind:     hidden_group_size_z
      - .offset:         42
        .size:           2
        .value_kind:     hidden_remainder_x
      - .offset:         44
        .size:           2
        .value_kind:     hidden_remainder_y
      - .offset:         46
        .size:           2
        .value_kind:     hidden_remainder_z
      - .offset:         64
        .size:           8
        .value_kind:     hidden_global_offset_x
      - .offset:         72
        .size:           8
        .value_kind:     hidden_global_offset_y
      - .offset:         80
        .size:           8
        .value_kind:     hidden_global_offset_z
      - .offset:         88
        .size:           2
        .value_kind:     hidden_grid_dims
    .group_segment_fixed_size: 0
    .kernarg_segment_align: 8
    .kernarg_segment_size: 280
    .language:       OpenCL C
    .language_version:
      - 2
      - 0
    .max_flat_workgroup_size: 1024
    .name:           _Z12ratx2_kernelIdEvPKT_PS0_S3_
    .private_segment_fixed_size: 0
    .sgpr_count:     8
    .sgpr_spill_count: 0
    .symbol:         _Z12ratx2_kernelIdEvPKT_PS0_S3_.kd
    .uniform_work_group_size: 1
    .uses_dynamic_stack: false
    .vgpr_count:     88
    .vgpr_spill_count: 0
    .wavefront_size: 32
    .workgroup_processor_mode: 1
  - .args:
      - .actual_access:  read_only
        .address_space:  global
        .offset:         0
        .size:           8
        .value_kind:     global_buffer
      - .actual_access:  read_only
        .address_space:  global
        .offset:         8
        .size:           8
        .value_kind:     global_buffer
      - .address_space:  global
        .offset:         16
        .size:           8
        .value_kind:     global_buffer
      - .offset:         24
        .size:           4
        .value_kind:     hidden_block_count_x
      - .offset:         28
        .size:           4
        .value_kind:     hidden_block_count_y
      - .offset:         32
        .size:           4
        .value_kind:     hidden_block_count_z
      - .offset:         36
        .size:           2
        .value_kind:     hidden_group_size_x
      - .offset:         38
        .size:           2
        .value_kind:     hidden_group_size_y
      - .offset:         40
        .size:           2
        .value_kind:     hidden_group_size_z
      - .offset:         42
        .size:           2
        .value_kind:     hidden_remainder_x
      - .offset:         44
        .size:           2
        .value_kind:     hidden_remainder_y
      - .offset:         46
        .size:           2
        .value_kind:     hidden_remainder_z
      - .offset:         64
        .size:           8
        .value_kind:     hidden_global_offset_x
      - .offset:         72
        .size:           8
        .value_kind:     hidden_global_offset_y
      - .offset:         80
        .size:           8
        .value_kind:     hidden_global_offset_z
      - .offset:         88
        .size:           2
        .value_kind:     hidden_grid_dims
    .group_segment_fixed_size: 0
    .kernarg_segment_align: 8
    .kernarg_segment_size: 280
    .language:       OpenCL C
    .language_version:
      - 2
      - 0
    .max_flat_workgroup_size: 1024
    .name:           _Z12ratx4_kernelIdEvPKT_PS0_S3_
    .private_segment_fixed_size: 0
    .sgpr_count:     9
    .sgpr_spill_count: 0
    .symbol:         _Z12ratx4_kernelIdEvPKT_PS0_S3_.kd
    .uniform_work_group_size: 1
    .uses_dynamic_stack: false
    .vgpr_count:     125
    .vgpr_spill_count: 0
    .wavefront_size: 32
    .workgroup_processor_mode: 1
  - .args:
      - .address_space:  global
        .offset:         0
        .size:           8
        .value_kind:     global_buffer
      - .address_space:  global
        .offset:         8
        .size:           8
        .value_kind:     global_buffer
      - .actual_access:  write_only
        .address_space:  global
        .offset:         16
        .size:           8
        .value_kind:     global_buffer
      - .offset:         24
        .size:           4
        .value_kind:     hidden_block_count_x
      - .offset:         28
        .size:           4
        .value_kind:     hidden_block_count_y
      - .offset:         32
        .size:           4
        .value_kind:     hidden_block_count_z
      - .offset:         36
        .size:           2
        .value_kind:     hidden_group_size_x
      - .offset:         38
        .size:           2
        .value_kind:     hidden_group_size_y
      - .offset:         40
        .size:           2
        .value_kind:     hidden_group_size_z
      - .offset:         42
        .size:           2
        .value_kind:     hidden_remainder_x
      - .offset:         44
        .size:           2
        .value_kind:     hidden_remainder_y
      - .offset:         46
        .size:           2
        .value_kind:     hidden_remainder_z
      - .offset:         64
        .size:           8
        .value_kind:     hidden_global_offset_x
      - .offset:         72
        .size:           8
        .value_kind:     hidden_global_offset_y
      - .offset:         80
        .size:           8
        .value_kind:     hidden_global_offset_z
      - .offset:         88
        .size:           2
        .value_kind:     hidden_grid_dims
    .group_segment_fixed_size: 0
    .kernarg_segment_align: 8
    .kernarg_segment_size: 280
    .language:       OpenCL C
    .language_version:
      - 2
      - 0
    .max_flat_workgroup_size: 1024
    .name:           _Z11qssa_kernelIdEvPT_S1_S1_
    .private_segment_fixed_size: 0
    .sgpr_count:     21
    .sgpr_spill_count: 0
    .symbol:         _Z11qssa_kernelIdEvPT_S1_S1_.kd
    .uniform_work_group_size: 1
    .uses_dynamic_stack: false
    .vgpr_count:     133
    .vgpr_spill_count: 0
    .wavefront_size: 32
    .workgroup_processor_mode: 1
  - .args:
      - .actual_access:  read_only
        .address_space:  global
        .offset:         0
        .size:           8
        .value_kind:     global_buffer
      - .actual_access:  read_only
        .address_space:  global
        .offset:         8
        .size:           8
        .value_kind:     global_buffer
      - .address_space:  global
        .offset:         16
        .size:           8
        .value_kind:     global_buffer
      - .offset:         24
        .size:           4
        .value_kind:     hidden_block_count_x
      - .offset:         28
        .size:           4
        .value_kind:     hidden_block_count_y
      - .offset:         32
        .size:           4
        .value_kind:     hidden_block_count_z
      - .offset:         36
        .size:           2
        .value_kind:     hidden_group_size_x
      - .offset:         38
        .size:           2
        .value_kind:     hidden_group_size_y
      - .offset:         40
        .size:           2
        .value_kind:     hidden_group_size_z
      - .offset:         42
        .size:           2
        .value_kind:     hidden_remainder_x
      - .offset:         44
        .size:           2
        .value_kind:     hidden_remainder_y
      - .offset:         46
        .size:           2
        .value_kind:     hidden_remainder_z
      - .offset:         64
        .size:           8
        .value_kind:     hidden_global_offset_x
      - .offset:         72
        .size:           8
        .value_kind:     hidden_global_offset_y
      - .offset:         80
        .size:           8
        .value_kind:     hidden_global_offset_z
      - .offset:         88
        .size:           2
        .value_kind:     hidden_grid_dims
    .group_segment_fixed_size: 0
    .kernarg_segment_align: 8
    .kernarg_segment_size: 280
    .language:       OpenCL C
    .language_version:
      - 2
      - 0
    .max_flat_workgroup_size: 1024
    .name:           _Z12qssab_kernelIdEvPT_S1_S1_
    .private_segment_fixed_size: 0
    .sgpr_count:     12
    .sgpr_spill_count: 0
    .symbol:         _Z12qssab_kernelIdEvPT_S1_S1_.kd
    .uniform_work_group_size: 1
    .uses_dynamic_stack: false
    .vgpr_count:     64
    .vgpr_spill_count: 0
    .wavefront_size: 32
    .workgroup_processor_mode: 1
  - .args:
      - .address_space:  global
        .offset:         0
        .size:           8
        .value_kind:     global_buffer
      - .address_space:  global
        .offset:         8
        .size:           8
        .value_kind:     global_buffer
      - .actual_access:  read_only
        .address_space:  global
        .offset:         16
        .size:           8
        .value_kind:     global_buffer
      - .offset:         24
        .size:           4
        .value_kind:     hidden_block_count_x
      - .offset:         28
        .size:           4
        .value_kind:     hidden_block_count_y
      - .offset:         32
        .size:           4
        .value_kind:     hidden_block_count_z
      - .offset:         36
        .size:           2
        .value_kind:     hidden_group_size_x
      - .offset:         38
        .size:           2
        .value_kind:     hidden_group_size_y
      - .offset:         40
        .size:           2
        .value_kind:     hidden_group_size_z
      - .offset:         42
        .size:           2
        .value_kind:     hidden_remainder_x
      - .offset:         44
        .size:           2
        .value_kind:     hidden_remainder_y
      - .offset:         46
        .size:           2
        .value_kind:     hidden_remainder_z
      - .offset:         64
        .size:           8
        .value_kind:     hidden_global_offset_x
      - .offset:         72
        .size:           8
        .value_kind:     hidden_global_offset_y
      - .offset:         80
        .size:           8
        .value_kind:     hidden_global_offset_z
      - .offset:         88
        .size:           2
        .value_kind:     hidden_grid_dims
    .group_segment_fixed_size: 0
    .kernarg_segment_align: 8
    .kernarg_segment_size: 280
    .language:       OpenCL C
    .language_version:
      - 2
      - 0
    .max_flat_workgroup_size: 1024
    .name:           _Z12qssa2_kernelIdEvPT_S1_PKS0_
    .private_segment_fixed_size: 0
    .sgpr_count:     12
    .sgpr_spill_count: 0
    .symbol:         _Z12qssa2_kernelIdEvPT_S1_PKS0_.kd
    .uniform_work_group_size: 1
    .uses_dynamic_stack: false
    .vgpr_count:     90
    .vgpr_spill_count: 0
    .wavefront_size: 32
    .workgroup_processor_mode: 1
  - .args:
      - .actual_access:  read_only
        .address_space:  global
        .offset:         0
        .size:           8
        .value_kind:     global_buffer
      - .actual_access:  read_only
        .address_space:  global
        .offset:         8
        .size:           8
        .value_kind:     global_buffer
      - .actual_access:  write_only
        .address_space:  global
        .offset:         16
        .size:           8
        .value_kind:     global_buffer
      - .offset:         24
        .size:           8
        .value_kind:     by_value
      - .actual_access:  read_only
        .address_space:  global
        .offset:         32
        .size:           8
        .value_kind:     global_buffer
      - .offset:         40
        .size:           4
        .value_kind:     hidden_block_count_x
      - .offset:         44
        .size:           4
        .value_kind:     hidden_block_count_y
      - .offset:         48
        .size:           4
        .value_kind:     hidden_block_count_z
      - .offset:         52
        .size:           2
        .value_kind:     hidden_group_size_x
      - .offset:         54
        .size:           2
        .value_kind:     hidden_group_size_y
      - .offset:         56
        .size:           2
        .value_kind:     hidden_group_size_z
      - .offset:         58
        .size:           2
        .value_kind:     hidden_remainder_x
      - .offset:         60
        .size:           2
        .value_kind:     hidden_remainder_y
      - .offset:         62
        .size:           2
        .value_kind:     hidden_remainder_z
      - .offset:         80
        .size:           8
        .value_kind:     hidden_global_offset_x
      - .offset:         88
        .size:           8
        .value_kind:     hidden_global_offset_y
      - .offset:         96
        .size:           8
        .value_kind:     hidden_global_offset_z
      - .offset:         104
        .size:           2
        .value_kind:     hidden_grid_dims
    .group_segment_fixed_size: 0
    .kernarg_segment_align: 8
    .kernarg_segment_size: 296
    .language:       OpenCL C
    .language_version:
      - 2
      - 0
    .max_flat_workgroup_size: 1024
    .name:           _Z13rdwdot_kernelIdEvPKT_S2_PS0_S0_S2_
    .private_segment_fixed_size: 0
    .sgpr_count:     20
    .sgpr_spill_count: 0
    .symbol:         _Z13rdwdot_kernelIdEvPKT_S2_PS0_S0_S2_.kd
    .uniform_work_group_size: 1
    .uses_dynamic_stack: false
    .vgpr_count:     60
    .vgpr_spill_count: 0
    .wavefront_size: 32
    .workgroup_processor_mode: 1
  - .args:
      - .actual_access:  read_only
        .address_space:  global
        .offset:         0
        .size:           8
        .value_kind:     global_buffer
      - .actual_access:  read_only
        .address_space:  global
        .offset:         8
        .size:           8
        .value_kind:     global_buffer
      - .actual_access:  write_only
        .address_space:  global
        .offset:         16
        .size:           8
        .value_kind:     global_buffer
      - .offset:         24
        .size:           8
        .value_kind:     by_value
      - .actual_access:  read_only
        .address_space:  global
        .offset:         32
        .size:           8
        .value_kind:     global_buffer
      - .offset:         40
        .size:           4
        .value_kind:     hidden_block_count_x
      - .offset:         44
        .size:           4
        .value_kind:     hidden_block_count_y
      - .offset:         48
        .size:           4
        .value_kind:     hidden_block_count_z
      - .offset:         52
        .size:           2
        .value_kind:     hidden_group_size_x
      - .offset:         54
        .size:           2
        .value_kind:     hidden_group_size_y
      - .offset:         56
        .size:           2
        .value_kind:     hidden_group_size_z
      - .offset:         58
        .size:           2
        .value_kind:     hidden_remainder_x
      - .offset:         60
        .size:           2
        .value_kind:     hidden_remainder_y
      - .offset:         62
        .size:           2
        .value_kind:     hidden_remainder_z
      - .offset:         80
        .size:           8
        .value_kind:     hidden_global_offset_x
      - .offset:         88
        .size:           8
        .value_kind:     hidden_global_offset_y
      - .offset:         96
        .size:           8
        .value_kind:     hidden_global_offset_z
      - .offset:         104
        .size:           2
        .value_kind:     hidden_grid_dims
    .group_segment_fixed_size: 0
    .kernarg_segment_align: 8
    .kernarg_segment_size: 296
    .language:       OpenCL C
    .language_version:
      - 2
      - 0
    .max_flat_workgroup_size: 1024
    .name:           _Z14rdwdot2_kernelIdEvPKT_S2_PS0_S0_S2_
    .private_segment_fixed_size: 0
    .sgpr_count:     14
    .sgpr_spill_count: 0
    .symbol:         _Z14rdwdot2_kernelIdEvPKT_S2_PS0_S0_S2_.kd
    .uniform_work_group_size: 1
    .uses_dynamic_stack: false
    .vgpr_count:     81
    .vgpr_spill_count: 0
    .wavefront_size: 32
    .workgroup_processor_mode: 1
  - .args:
      - .actual_access:  read_only
        .address_space:  global
        .offset:         0
        .size:           8
        .value_kind:     global_buffer
      - .actual_access:  read_only
        .address_space:  global
        .offset:         8
        .size:           8
        .value_kind:     global_buffer
      - .actual_access:  write_only
        .address_space:  global
        .offset:         16
        .size:           8
        .value_kind:     global_buffer
      - .offset:         24
        .size:           8
        .value_kind:     by_value
      - .actual_access:  read_only
        .address_space:  global
        .offset:         32
        .size:           8
        .value_kind:     global_buffer
      - .offset:         40
        .size:           4
        .value_kind:     hidden_block_count_x
      - .offset:         44
        .size:           4
        .value_kind:     hidden_block_count_y
      - .offset:         48
        .size:           4
        .value_kind:     hidden_block_count_z
      - .offset:         52
        .size:           2
        .value_kind:     hidden_group_size_x
      - .offset:         54
        .size:           2
        .value_kind:     hidden_group_size_y
      - .offset:         56
        .size:           2
        .value_kind:     hidden_group_size_z
      - .offset:         58
        .size:           2
        .value_kind:     hidden_remainder_x
      - .offset:         60
        .size:           2
        .value_kind:     hidden_remainder_y
      - .offset:         62
        .size:           2
        .value_kind:     hidden_remainder_z
      - .offset:         80
        .size:           8
        .value_kind:     hidden_global_offset_x
      - .offset:         88
        .size:           8
        .value_kind:     hidden_global_offset_y
      - .offset:         96
        .size:           8
        .value_kind:     hidden_global_offset_z
      - .offset:         104
        .size:           2
        .value_kind:     hidden_grid_dims
    .group_segment_fixed_size: 0
    .kernarg_segment_align: 8
    .kernarg_segment_size: 296
    .language:       OpenCL C
    .language_version:
      - 2
      - 0
    .max_flat_workgroup_size: 1024
    .name:           _Z14rdwdot3_kernelIdEvPKT_S2_PS0_S0_S2_
    .private_segment_fixed_size: 0
    .sgpr_count:     32
    .sgpr_spill_count: 0
    .symbol:         _Z14rdwdot3_kernelIdEvPKT_S2_PS0_S0_S2_.kd
    .uniform_work_group_size: 1
    .uses_dynamic_stack: false
    .vgpr_count:     37
    .vgpr_spill_count: 0
    .wavefront_size: 32
    .workgroup_processor_mode: 1
  - .args:
      - .actual_access:  read_only
        .address_space:  global
        .offset:         0
        .size:           8
        .value_kind:     global_buffer
      - .actual_access:  read_only
        .address_space:  global
        .offset:         8
        .size:           8
        .value_kind:     global_buffer
      - .actual_access:  write_only
        .address_space:  global
        .offset:         16
        .size:           8
        .value_kind:     global_buffer
      - .offset:         24
        .size:           8
        .value_kind:     by_value
      - .actual_access:  read_only
        .address_space:  global
        .offset:         32
        .size:           8
        .value_kind:     global_buffer
      - .offset:         40
        .size:           4
        .value_kind:     hidden_block_count_x
      - .offset:         44
        .size:           4
        .value_kind:     hidden_block_count_y
      - .offset:         48
        .size:           4
        .value_kind:     hidden_block_count_z
      - .offset:         52
        .size:           2
        .value_kind:     hidden_group_size_x
      - .offset:         54
        .size:           2
        .value_kind:     hidden_group_size_y
      - .offset:         56
        .size:           2
        .value_kind:     hidden_group_size_z
      - .offset:         58
        .size:           2
        .value_kind:     hidden_remainder_x
      - .offset:         60
        .size:           2
        .value_kind:     hidden_remainder_y
      - .offset:         62
        .size:           2
        .value_kind:     hidden_remainder_z
      - .offset:         80
        .size:           8
        .value_kind:     hidden_global_offset_x
      - .offset:         88
        .size:           8
        .value_kind:     hidden_global_offset_y
      - .offset:         96
        .size:           8
        .value_kind:     hidden_global_offset_z
      - .offset:         104
        .size:           2
        .value_kind:     hidden_grid_dims
    .group_segment_fixed_size: 0
    .kernarg_segment_align: 8
    .kernarg_segment_size: 296
    .language:       OpenCL C
    .language_version:
      - 2
      - 0
    .max_flat_workgroup_size: 1024
    .name:           _Z14rdwdot6_kernelIdEvPKT_S2_PS0_S0_S2_
    .private_segment_fixed_size: 0
    .sgpr_count:     17
    .sgpr_spill_count: 0
    .symbol:         _Z14rdwdot6_kernelIdEvPKT_S2_PS0_S0_S2_.kd
    .uniform_work_group_size: 1
    .uses_dynamic_stack: false
    .vgpr_count:     75
    .vgpr_spill_count: 0
    .wavefront_size: 32
    .workgroup_processor_mode: 1
  - .args:
      - .actual_access:  read_only
        .address_space:  global
        .offset:         0
        .size:           8
        .value_kind:     global_buffer
      - .actual_access:  read_only
        .address_space:  global
        .offset:         8
        .size:           8
        .value_kind:     global_buffer
      - .actual_access:  write_only
        .address_space:  global
        .offset:         16
        .size:           8
        .value_kind:     global_buffer
      - .offset:         24
        .size:           8
        .value_kind:     by_value
      - .actual_access:  read_only
        .address_space:  global
        .offset:         32
        .size:           8
        .value_kind:     global_buffer
      - .offset:         40
        .size:           4
        .value_kind:     hidden_block_count_x
      - .offset:         44
        .size:           4
        .value_kind:     hidden_block_count_y
      - .offset:         48
        .size:           4
        .value_kind:     hidden_block_count_z
      - .offset:         52
        .size:           2
        .value_kind:     hidden_group_size_x
      - .offset:         54
        .size:           2
        .value_kind:     hidden_group_size_y
      - .offset:         56
        .size:           2
        .value_kind:     hidden_group_size_z
      - .offset:         58
        .size:           2
        .value_kind:     hidden_remainder_x
      - .offset:         60
        .size:           2
        .value_kind:     hidden_remainder_y
      - .offset:         62
        .size:           2
        .value_kind:     hidden_remainder_z
      - .offset:         80
        .size:           8
        .value_kind:     hidden_global_offset_x
      - .offset:         88
        .size:           8
        .value_kind:     hidden_global_offset_y
      - .offset:         96
        .size:           8
        .value_kind:     hidden_global_offset_z
      - .offset:         104
        .size:           2
        .value_kind:     hidden_grid_dims
    .group_segment_fixed_size: 0
    .kernarg_segment_align: 8
    .kernarg_segment_size: 296
    .language:       OpenCL C
    .language_version:
      - 2
      - 0
    .max_flat_workgroup_size: 1024
    .name:           _Z14rdwdot7_kernelIdEvPKT_S2_PS0_S0_S2_
    .private_segment_fixed_size: 0
    .sgpr_count:     17
    .sgpr_spill_count: 0
    .symbol:         _Z14rdwdot7_kernelIdEvPKT_S2_PS0_S0_S2_.kd
    .uniform_work_group_size: 1
    .uses_dynamic_stack: false
    .vgpr_count:     86
    .vgpr_spill_count: 0
    .wavefront_size: 32
    .workgroup_processor_mode: 1
  - .args:
      - .actual_access:  read_only
        .address_space:  global
        .offset:         0
        .size:           8
        .value_kind:     global_buffer
      - .actual_access:  read_only
        .address_space:  global
        .offset:         8
        .size:           8
        .value_kind:     global_buffer
      - .actual_access:  write_only
        .address_space:  global
        .offset:         16
        .size:           8
        .value_kind:     global_buffer
      - .offset:         24
        .size:           8
        .value_kind:     by_value
      - .actual_access:  read_only
        .address_space:  global
        .offset:         32
        .size:           8
        .value_kind:     global_buffer
      - .offset:         40
        .size:           4
        .value_kind:     hidden_block_count_x
      - .offset:         44
        .size:           4
        .value_kind:     hidden_block_count_y
      - .offset:         48
        .size:           4
        .value_kind:     hidden_block_count_z
      - .offset:         52
        .size:           2
        .value_kind:     hidden_group_size_x
      - .offset:         54
        .size:           2
        .value_kind:     hidden_group_size_y
      - .offset:         56
        .size:           2
        .value_kind:     hidden_group_size_z
      - .offset:         58
        .size:           2
        .value_kind:     hidden_remainder_x
      - .offset:         60
        .size:           2
        .value_kind:     hidden_remainder_y
      - .offset:         62
        .size:           2
        .value_kind:     hidden_remainder_z
      - .offset:         80
        .size:           8
        .value_kind:     hidden_global_offset_x
      - .offset:         88
        .size:           8
        .value_kind:     hidden_global_offset_y
      - .offset:         96
        .size:           8
        .value_kind:     hidden_global_offset_z
      - .offset:         104
        .size:           2
        .value_kind:     hidden_grid_dims
    .group_segment_fixed_size: 0
    .kernarg_segment_align: 8
    .kernarg_segment_size: 296
    .language:       OpenCL C
    .language_version:
      - 2
      - 0
    .max_flat_workgroup_size: 1024
    .name:           _Z14rdwdot8_kernelIdEvPKT_S2_PS0_S0_S2_
    .private_segment_fixed_size: 0
    .sgpr_count:     16
    .sgpr_spill_count: 0
    .symbol:         _Z14rdwdot8_kernelIdEvPKT_S2_PS0_S0_S2_.kd
    .uniform_work_group_size: 1
    .uses_dynamic_stack: false
    .vgpr_count:     78
    .vgpr_spill_count: 0
    .wavefront_size: 32
    .workgroup_processor_mode: 1
  - .args:
      - .actual_access:  read_only
        .address_space:  global
        .offset:         0
        .size:           8
        .value_kind:     global_buffer
      - .actual_access:  read_only
        .address_space:  global
        .offset:         8
        .size:           8
        .value_kind:     global_buffer
      - .actual_access:  write_only
        .address_space:  global
        .offset:         16
        .size:           8
        .value_kind:     global_buffer
      - .offset:         24
        .size:           8
        .value_kind:     by_value
      - .actual_access:  read_only
        .address_space:  global
        .offset:         32
        .size:           8
        .value_kind:     global_buffer
      - .offset:         40
        .size:           4
        .value_kind:     hidden_block_count_x
      - .offset:         44
        .size:           4
        .value_kind:     hidden_block_count_y
      - .offset:         48
        .size:           4
        .value_kind:     hidden_block_count_z
      - .offset:         52
        .size:           2
        .value_kind:     hidden_group_size_x
      - .offset:         54
        .size:           2
        .value_kind:     hidden_group_size_y
      - .offset:         56
        .size:           2
        .value_kind:     hidden_group_size_z
      - .offset:         58
        .size:           2
        .value_kind:     hidden_remainder_x
      - .offset:         60
        .size:           2
        .value_kind:     hidden_remainder_y
      - .offset:         62
        .size:           2
        .value_kind:     hidden_remainder_z
      - .offset:         80
        .size:           8
        .value_kind:     hidden_global_offset_x
      - .offset:         88
        .size:           8
        .value_kind:     hidden_global_offset_y
      - .offset:         96
        .size:           8
        .value_kind:     hidden_global_offset_z
      - .offset:         104
        .size:           2
        .value_kind:     hidden_grid_dims
    .group_segment_fixed_size: 0
    .kernarg_segment_align: 8
    .kernarg_segment_size: 296
    .language:       OpenCL C
    .language_version:
      - 2
      - 0
    .max_flat_workgroup_size: 1024
    .name:           _Z14rdwdot9_kernelIdEvPKT_S2_PS0_S0_S2_
    .private_segment_fixed_size: 0
    .sgpr_count:     19
    .sgpr_spill_count: 0
    .symbol:         _Z14rdwdot9_kernelIdEvPKT_S2_PS0_S0_S2_.kd
    .uniform_work_group_size: 1
    .uses_dynamic_stack: false
    .vgpr_count:     46
    .vgpr_spill_count: 0
    .wavefront_size: 32
    .workgroup_processor_mode: 1
  - .args:
      - .actual_access:  read_only
        .address_space:  global
        .offset:         0
        .size:           8
        .value_kind:     global_buffer
      - .actual_access:  read_only
        .address_space:  global
        .offset:         8
        .size:           8
        .value_kind:     global_buffer
      - .actual_access:  write_only
        .address_space:  global
        .offset:         16
        .size:           8
        .value_kind:     global_buffer
      - .offset:         24
        .size:           8
        .value_kind:     by_value
      - .actual_access:  read_only
        .address_space:  global
        .offset:         32
        .size:           8
        .value_kind:     global_buffer
      - .offset:         40
        .size:           4
        .value_kind:     hidden_block_count_x
      - .offset:         44
        .size:           4
        .value_kind:     hidden_block_count_y
      - .offset:         48
        .size:           4
        .value_kind:     hidden_block_count_z
      - .offset:         52
        .size:           2
        .value_kind:     hidden_group_size_x
      - .offset:         54
        .size:           2
        .value_kind:     hidden_group_size_y
      - .offset:         56
        .size:           2
        .value_kind:     hidden_group_size_z
      - .offset:         58
        .size:           2
        .value_kind:     hidden_remainder_x
      - .offset:         60
        .size:           2
        .value_kind:     hidden_remainder_y
      - .offset:         62
        .size:           2
        .value_kind:     hidden_remainder_z
      - .offset:         80
        .size:           8
        .value_kind:     hidden_global_offset_x
      - .offset:         88
        .size:           8
        .value_kind:     hidden_global_offset_y
      - .offset:         96
        .size:           8
        .value_kind:     hidden_global_offset_z
      - .offset:         104
        .size:           2
        .value_kind:     hidden_grid_dims
    .group_segment_fixed_size: 0
    .kernarg_segment_align: 8
    .kernarg_segment_size: 296
    .language:       OpenCL C
    .language_version:
      - 2
      - 0
    .max_flat_workgroup_size: 1024
    .name:           _Z15rdwdot10_kernelIdEvPKT_S2_PS0_S0_S2_
    .private_segment_fixed_size: 0
    .sgpr_count:     30
    .sgpr_spill_count: 0
    .symbol:         _Z15rdwdot10_kernelIdEvPKT_S2_PS0_S0_S2_.kd
    .uniform_work_group_size: 1
    .uses_dynamic_stack: false
    .vgpr_count:     56
    .vgpr_spill_count: 0
    .wavefront_size: 32
    .workgroup_processor_mode: 1
amdhsa.target:   amdgcn-amd-amdhsa--gfx1201
amdhsa.version:
  - 1
  - 2
...

	.end_amdgpu_metadata
